;; amdgpu-corpus repo=ggml-org/llama.cpp kind=compiled arch=gfx1201 opt=O3
	.amdgcn_target "amdgcn-amd-amdhsa--gfx1201"
	.amdhsa_code_object_version 6
	.text
	.p2align	2                               ; -- Begin function __ockl_printf_append_string_n
	.type	__ockl_printf_append_string_n,@function
__ockl_printf_append_string_n:          ; @__ockl_printf_append_string_n
; %bb.0:
	s_wait_loadcnt_dscnt 0x0
	s_wait_expcnt 0x0
	s_wait_samplecnt 0x0
	s_wait_bvhcnt 0x0
	s_wait_kmcnt 0x0
	v_dual_mov_b32 v7, v3 :: v_dual_mov_b32 v6, v2
                                        ; kill: def $vgpr1 killed $vgpr1 def $vgpr0
	v_mov_b32_e32 v3, v0
	v_mbcnt_lo_u32_b32 v34, -1, 0
	s_mov_b32 s0, exec_lo
	s_delay_alu instid0(VALU_DEP_3)
	v_cmpx_ne_u64_e32 0, v[6:7]
	s_wait_alu 0xfffe
	s_xor_b32 s6, exec_lo, s0
	s_cbranch_execz .LBB0_86
; %bb.1:
	s_load_b64 s[2:3], s[8:9], 0x50
	v_dual_mov_b32 v10, 2 :: v_dual_and_b32 v35, 2, v3
	v_dual_mov_b32 v9, 0 :: v_dual_and_b32 v0, -3, v3
	v_mov_b32_e32 v11, 1
	s_mov_b32 s10, 0
	s_mov_b32 s7, 0
	s_branch .LBB0_3
.LBB0_2:                                ;   in Loop: Header=BB0_3 Depth=1
	s_wait_alu 0xfffe
	s_or_b32 exec_lo, exec_lo, s11
	v_sub_co_u32 v4, vcc_lo, v4, v28
	s_wait_alu 0xfffd
	v_sub_co_ci_u32_e64 v5, null, v5, v29, vcc_lo
	v_add_co_u32 v6, s0, v6, v28
	s_wait_alu 0xf1ff
	v_add_co_ci_u32_e64 v7, null, v7, v29, s0
	s_delay_alu instid0(VALU_DEP_3)
	v_cmp_eq_u64_e32 vcc_lo, 0, v[4:5]
	s_or_b32 s7, vcc_lo, s7
	s_wait_alu 0xfffe
	s_and_not1_b32 exec_lo, exec_lo, s7
	s_cbranch_execz .LBB0_85
.LBB0_3:                                ; =>This Loop Header: Depth=1
                                        ;     Child Loop BB0_6 Depth 2
                                        ;     Child Loop BB0_14 Depth 2
	;; [unrolled: 1-line block ×11, first 2 shown]
	v_cmp_gt_u64_e32 vcc_lo, 56, v[4:5]
	s_mov_b32 s1, exec_lo
	s_wait_alu 0xfffd
	v_dual_cndmask_b32 v29, 0, v5 :: v_dual_cndmask_b32 v28, 56, v4
	v_add_co_u32 v14, vcc_lo, v6, 8
	s_wait_alu 0xfffd
	v_add_co_ci_u32_e64 v15, null, 0, v7, vcc_lo
	v_cmpx_gt_u64_e32 8, v[4:5]
	s_wait_alu 0xfffe
	s_xor_b32 s1, exec_lo, s1
	s_cbranch_execz .LBB0_9
; %bb.4:                                ;   in Loop: Header=BB0_3 Depth=1
	v_mov_b32_e32 v2, 0
	v_mov_b32_e32 v3, 0
	s_mov_b32 s11, exec_lo
	v_cmpx_ne_u64_e32 0, v[4:5]
	s_cbranch_execz .LBB0_8
; %bb.5:                                ;   in Loop: Header=BB0_3 Depth=1
	v_lshlrev_b64_e32 v[12:13], 3, v[28:29]
	v_mov_b32_e32 v2, 0
	v_dual_mov_b32 v3, 0 :: v_dual_mov_b32 v14, v7
	v_mov_b32_e32 v13, v6
	s_mov_b64 s[4:5], 0
	s_mov_b32 s12, 0
.LBB0_6:                                ;   Parent Loop BB0_3 Depth=1
                                        ; =>  This Inner Loop Header: Depth=2
	global_load_u8 v8, v[13:14], off
	v_mov_b32_e32 v16, s10
	v_add_co_u32 v13, vcc_lo, v13, 1
	s_wait_alu 0xfffd
	v_add_co_ci_u32_e64 v14, null, 0, v14, vcc_lo
	s_wait_loadcnt 0x0
	v_and_b32_e32 v15, 0xffff, v8
	s_wait_alu 0xfffe
	s_delay_alu instid0(VALU_DEP_1) | instskip(SKIP_3) | instid1(VALU_DEP_2)
	v_lshlrev_b64_e32 v[15:16], s4, v[15:16]
	s_add_nc_u64 s[4:5], s[4:5], 8
	s_wait_alu 0xfffe
	v_cmp_eq_u32_e64 s0, s4, v12
	v_or_b32_e32 v3, v16, v3
	s_delay_alu instid0(VALU_DEP_3)
	v_or_b32_e32 v2, v15, v2
	s_or_b32 s12, s0, s12
	s_wait_alu 0xfffe
	s_and_not1_b32 exec_lo, exec_lo, s12
	s_cbranch_execnz .LBB0_6
; %bb.7:                                ;   in Loop: Header=BB0_3 Depth=1
	s_or_b32 exec_lo, exec_lo, s12
.LBB0_8:                                ;   in Loop: Header=BB0_3 Depth=1
	s_wait_alu 0xfffe
	s_or_b32 exec_lo, exec_lo, s11
	v_dual_mov_b32 v15, v7 :: v_dual_mov_b32 v14, v6
.LBB0_9:                                ;   in Loop: Header=BB0_3 Depth=1
	s_wait_alu 0xfffe
	s_or_saveexec_b32 s0, s1
	v_mov_b32_e32 v8, 0
	s_wait_alu 0xfffe
	s_xor_b32 exec_lo, exec_lo, s0
	s_cbranch_execz .LBB0_11
; %bb.10:                               ;   in Loop: Header=BB0_3 Depth=1
	global_load_b64 v[2:3], v[6:7], off
	v_add_nc_u32_e32 v8, -8, v28
.LBB0_11:                               ;   in Loop: Header=BB0_3 Depth=1
	s_or_b32 exec_lo, exec_lo, s0
	v_add_co_u32 v16, s0, v14, 8
	s_wait_alu 0xf1ff
	v_add_co_ci_u32_e64 v17, null, 0, v15, s0
                                        ; implicit-def: $vgpr12_vgpr13
	s_mov_b32 s0, exec_lo
	v_cmpx_gt_u32_e32 8, v8
	s_wait_alu 0xfffe
	s_xor_b32 s11, exec_lo, s0
	s_cbranch_execz .LBB0_17
; %bb.12:                               ;   in Loop: Header=BB0_3 Depth=1
	v_mov_b32_e32 v12, 0
	v_mov_b32_e32 v13, 0
	s_mov_b32 s12, exec_lo
	v_cmpx_ne_u32_e32 0, v8
	s_cbranch_execz .LBB0_16
; %bb.13:                               ;   in Loop: Header=BB0_3 Depth=1
	v_mov_b32_e32 v12, 0
	v_mov_b32_e32 v13, 0
	s_mov_b64 s[0:1], 0
	s_mov_b32 s13, 0
	s_mov_b64 s[4:5], 0
.LBB0_14:                               ;   Parent Loop BB0_3 Depth=1
                                        ; =>  This Inner Loop Header: Depth=2
	s_wait_alu 0xfffe
	v_add_co_u32 v16, vcc_lo, v14, s4
	s_wait_alu 0xfffd
	v_add_co_ci_u32_e64 v17, null, s5, v15, vcc_lo
	s_add_nc_u64 s[4:5], s[4:5], 1
	s_wait_alu 0xfffe
	v_cmp_eq_u32_e32 vcc_lo, s4, v8
	global_load_u8 v16, v[16:17], off
	v_mov_b32_e32 v17, s10
	s_or_b32 s13, vcc_lo, s13
	s_wait_loadcnt 0x0
	v_and_b32_e32 v16, 0xffff, v16
	s_delay_alu instid0(VALU_DEP_1) | instskip(SKIP_1) | instid1(VALU_DEP_1)
	v_lshlrev_b64_e32 v[16:17], s0, v[16:17]
	s_add_nc_u64 s[0:1], s[0:1], 8
	v_or_b32_e32 v13, v17, v13
	s_delay_alu instid0(VALU_DEP_2)
	v_or_b32_e32 v12, v16, v12
	s_wait_alu 0xfffe
	s_and_not1_b32 exec_lo, exec_lo, s13
	s_cbranch_execnz .LBB0_14
; %bb.15:                               ;   in Loop: Header=BB0_3 Depth=1
	s_or_b32 exec_lo, exec_lo, s13
.LBB0_16:                               ;   in Loop: Header=BB0_3 Depth=1
	s_wait_alu 0xfffe
	s_or_b32 exec_lo, exec_lo, s12
	v_dual_mov_b32 v17, v15 :: v_dual_mov_b32 v16, v14
                                        ; implicit-def: $vgpr8
.LBB0_17:                               ;   in Loop: Header=BB0_3 Depth=1
	s_wait_alu 0xfffe
	s_or_saveexec_b32 s0, s11
	v_mov_b32_e32 v20, 0
	s_wait_alu 0xfffe
	s_xor_b32 exec_lo, exec_lo, s0
	s_cbranch_execz .LBB0_19
; %bb.18:                               ;   in Loop: Header=BB0_3 Depth=1
	global_load_b64 v[12:13], v[14:15], off
	v_add_nc_u32_e32 v20, -8, v8
.LBB0_19:                               ;   in Loop: Header=BB0_3 Depth=1
	s_or_b32 exec_lo, exec_lo, s0
	v_add_co_u32 v18, s0, v16, 8
	s_wait_alu 0xf1ff
	v_add_co_ci_u32_e64 v19, null, 0, v17, s0
	s_mov_b32 s0, exec_lo
	v_cmpx_gt_u32_e32 8, v20
	s_wait_alu 0xfffe
	s_xor_b32 s11, exec_lo, s0
	s_cbranch_execz .LBB0_25
; %bb.20:                               ;   in Loop: Header=BB0_3 Depth=1
	v_mov_b32_e32 v14, 0
	v_mov_b32_e32 v15, 0
	s_mov_b32 s12, exec_lo
	v_cmpx_ne_u32_e32 0, v20
	s_cbranch_execz .LBB0_24
; %bb.21:                               ;   in Loop: Header=BB0_3 Depth=1
	v_mov_b32_e32 v14, 0
	v_mov_b32_e32 v15, 0
	s_mov_b64 s[0:1], 0
	s_mov_b32 s13, 0
	s_mov_b64 s[4:5], 0
.LBB0_22:                               ;   Parent Loop BB0_3 Depth=1
                                        ; =>  This Inner Loop Header: Depth=2
	s_wait_alu 0xfffe
	v_add_co_u32 v18, vcc_lo, v16, s4
	s_wait_alu 0xfffd
	v_add_co_ci_u32_e64 v19, null, s5, v17, vcc_lo
	s_add_nc_u64 s[4:5], s[4:5], 1
	s_wait_alu 0xfffe
	v_cmp_eq_u32_e32 vcc_lo, s4, v20
	global_load_u8 v8, v[18:19], off
	v_mov_b32_e32 v19, s10
	s_or_b32 s13, vcc_lo, s13
	s_wait_loadcnt 0x0
	v_and_b32_e32 v18, 0xffff, v8
	s_delay_alu instid0(VALU_DEP_1) | instskip(SKIP_1) | instid1(VALU_DEP_1)
	v_lshlrev_b64_e32 v[18:19], s0, v[18:19]
	s_add_nc_u64 s[0:1], s[0:1], 8
	v_or_b32_e32 v15, v19, v15
	s_delay_alu instid0(VALU_DEP_2)
	v_or_b32_e32 v14, v18, v14
	s_wait_alu 0xfffe
	s_and_not1_b32 exec_lo, exec_lo, s13
	s_cbranch_execnz .LBB0_22
; %bb.23:                               ;   in Loop: Header=BB0_3 Depth=1
	s_or_b32 exec_lo, exec_lo, s13
.LBB0_24:                               ;   in Loop: Header=BB0_3 Depth=1
	s_wait_alu 0xfffe
	s_or_b32 exec_lo, exec_lo, s12
	v_dual_mov_b32 v19, v17 :: v_dual_mov_b32 v18, v16
                                        ; implicit-def: $vgpr20
.LBB0_25:                               ;   in Loop: Header=BB0_3 Depth=1
	s_wait_alu 0xfffe
	s_or_saveexec_b32 s0, s11
	v_mov_b32_e32 v8, 0
	s_wait_alu 0xfffe
	s_xor_b32 exec_lo, exec_lo, s0
	s_cbranch_execz .LBB0_27
; %bb.26:                               ;   in Loop: Header=BB0_3 Depth=1
	global_load_b64 v[14:15], v[16:17], off
	v_add_nc_u32_e32 v8, -8, v20
.LBB0_27:                               ;   in Loop: Header=BB0_3 Depth=1
	s_or_b32 exec_lo, exec_lo, s0
	v_add_co_u32 v20, s0, v18, 8
	s_wait_alu 0xf1ff
	v_add_co_ci_u32_e64 v21, null, 0, v19, s0
                                        ; implicit-def: $vgpr16_vgpr17
	s_mov_b32 s0, exec_lo
	v_cmpx_gt_u32_e32 8, v8
	s_wait_alu 0xfffe
	s_xor_b32 s11, exec_lo, s0
	s_cbranch_execz .LBB0_33
; %bb.28:                               ;   in Loop: Header=BB0_3 Depth=1
	v_mov_b32_e32 v16, 0
	v_mov_b32_e32 v17, 0
	s_mov_b32 s12, exec_lo
	v_cmpx_ne_u32_e32 0, v8
	s_cbranch_execz .LBB0_32
; %bb.29:                               ;   in Loop: Header=BB0_3 Depth=1
	v_mov_b32_e32 v16, 0
	v_mov_b32_e32 v17, 0
	s_mov_b64 s[0:1], 0
	s_mov_b32 s13, 0
	s_mov_b64 s[4:5], 0
.LBB0_30:                               ;   Parent Loop BB0_3 Depth=1
                                        ; =>  This Inner Loop Header: Depth=2
	s_wait_alu 0xfffe
	v_add_co_u32 v20, vcc_lo, v18, s4
	s_wait_alu 0xfffd
	v_add_co_ci_u32_e64 v21, null, s5, v19, vcc_lo
	s_add_nc_u64 s[4:5], s[4:5], 1
	s_wait_alu 0xfffe
	v_cmp_eq_u32_e32 vcc_lo, s4, v8
	global_load_u8 v20, v[20:21], off
	v_mov_b32_e32 v21, s10
	s_or_b32 s13, vcc_lo, s13
	s_wait_loadcnt 0x0
	v_and_b32_e32 v20, 0xffff, v20
	s_delay_alu instid0(VALU_DEP_1) | instskip(SKIP_1) | instid1(VALU_DEP_1)
	v_lshlrev_b64_e32 v[20:21], s0, v[20:21]
	s_add_nc_u64 s[0:1], s[0:1], 8
	v_or_b32_e32 v17, v21, v17
	s_delay_alu instid0(VALU_DEP_2)
	v_or_b32_e32 v16, v20, v16
	s_wait_alu 0xfffe
	s_and_not1_b32 exec_lo, exec_lo, s13
	s_cbranch_execnz .LBB0_30
; %bb.31:                               ;   in Loop: Header=BB0_3 Depth=1
	s_or_b32 exec_lo, exec_lo, s13
.LBB0_32:                               ;   in Loop: Header=BB0_3 Depth=1
	s_wait_alu 0xfffe
	s_or_b32 exec_lo, exec_lo, s12
	v_dual_mov_b32 v21, v19 :: v_dual_mov_b32 v20, v18
                                        ; implicit-def: $vgpr8
.LBB0_33:                               ;   in Loop: Header=BB0_3 Depth=1
	s_wait_alu 0xfffe
	s_or_saveexec_b32 s0, s11
	v_mov_b32_e32 v24, 0
	s_wait_alu 0xfffe
	s_xor_b32 exec_lo, exec_lo, s0
	s_cbranch_execz .LBB0_35
; %bb.34:                               ;   in Loop: Header=BB0_3 Depth=1
	global_load_b64 v[16:17], v[18:19], off
	v_add_nc_u32_e32 v24, -8, v8
.LBB0_35:                               ;   in Loop: Header=BB0_3 Depth=1
	s_or_b32 exec_lo, exec_lo, s0
	v_add_co_u32 v22, s0, v20, 8
	s_wait_alu 0xf1ff
	v_add_co_ci_u32_e64 v23, null, 0, v21, s0
	s_mov_b32 s0, exec_lo
	v_cmpx_gt_u32_e32 8, v24
	s_wait_alu 0xfffe
	s_xor_b32 s11, exec_lo, s0
	s_cbranch_execz .LBB0_41
; %bb.36:                               ;   in Loop: Header=BB0_3 Depth=1
	v_mov_b32_e32 v18, 0
	v_mov_b32_e32 v19, 0
	s_mov_b32 s12, exec_lo
	v_cmpx_ne_u32_e32 0, v24
	s_cbranch_execz .LBB0_40
; %bb.37:                               ;   in Loop: Header=BB0_3 Depth=1
	v_mov_b32_e32 v18, 0
	v_mov_b32_e32 v19, 0
	s_mov_b64 s[0:1], 0
	s_mov_b32 s13, 0
	s_mov_b64 s[4:5], 0
.LBB0_38:                               ;   Parent Loop BB0_3 Depth=1
                                        ; =>  This Inner Loop Header: Depth=2
	s_wait_alu 0xfffe
	v_add_co_u32 v22, vcc_lo, v20, s4
	s_wait_alu 0xfffd
	v_add_co_ci_u32_e64 v23, null, s5, v21, vcc_lo
	s_add_nc_u64 s[4:5], s[4:5], 1
	s_wait_alu 0xfffe
	v_cmp_eq_u32_e32 vcc_lo, s4, v24
	global_load_u8 v8, v[22:23], off
	v_mov_b32_e32 v23, s10
	s_or_b32 s13, vcc_lo, s13
	s_wait_loadcnt 0x0
	v_and_b32_e32 v22, 0xffff, v8
	s_delay_alu instid0(VALU_DEP_1) | instskip(SKIP_1) | instid1(VALU_DEP_1)
	v_lshlrev_b64_e32 v[22:23], s0, v[22:23]
	s_add_nc_u64 s[0:1], s[0:1], 8
	v_or_b32_e32 v19, v23, v19
	s_delay_alu instid0(VALU_DEP_2)
	v_or_b32_e32 v18, v22, v18
	s_wait_alu 0xfffe
	s_and_not1_b32 exec_lo, exec_lo, s13
	s_cbranch_execnz .LBB0_38
; %bb.39:                               ;   in Loop: Header=BB0_3 Depth=1
	s_or_b32 exec_lo, exec_lo, s13
.LBB0_40:                               ;   in Loop: Header=BB0_3 Depth=1
	s_wait_alu 0xfffe
	s_or_b32 exec_lo, exec_lo, s12
	v_dual_mov_b32 v23, v21 :: v_dual_mov_b32 v22, v20
                                        ; implicit-def: $vgpr24
.LBB0_41:                               ;   in Loop: Header=BB0_3 Depth=1
	s_wait_alu 0xfffe
	s_or_saveexec_b32 s0, s11
	v_mov_b32_e32 v8, 0
	s_wait_alu 0xfffe
	s_xor_b32 exec_lo, exec_lo, s0
	s_cbranch_execz .LBB0_43
; %bb.42:                               ;   in Loop: Header=BB0_3 Depth=1
	global_load_b64 v[18:19], v[20:21], off
	v_add_nc_u32_e32 v8, -8, v24
.LBB0_43:                               ;   in Loop: Header=BB0_3 Depth=1
	s_or_b32 exec_lo, exec_lo, s0
	v_add_co_u32 v24, s0, v22, 8
	s_wait_alu 0xf1ff
	v_add_co_ci_u32_e64 v25, null, 0, v23, s0
                                        ; implicit-def: $vgpr20_vgpr21
	s_mov_b32 s0, exec_lo
	v_cmpx_gt_u32_e32 8, v8
	s_wait_alu 0xfffe
	s_xor_b32 s11, exec_lo, s0
	s_cbranch_execz .LBB0_49
; %bb.44:                               ;   in Loop: Header=BB0_3 Depth=1
	v_mov_b32_e32 v20, 0
	v_mov_b32_e32 v21, 0
	s_mov_b32 s12, exec_lo
	v_cmpx_ne_u32_e32 0, v8
	s_cbranch_execz .LBB0_48
; %bb.45:                               ;   in Loop: Header=BB0_3 Depth=1
	v_mov_b32_e32 v20, 0
	v_mov_b32_e32 v21, 0
	s_mov_b64 s[0:1], 0
	s_mov_b32 s13, 0
	s_mov_b64 s[4:5], 0
.LBB0_46:                               ;   Parent Loop BB0_3 Depth=1
                                        ; =>  This Inner Loop Header: Depth=2
	s_wait_alu 0xfffe
	v_add_co_u32 v24, vcc_lo, v22, s4
	s_wait_alu 0xfffd
	v_add_co_ci_u32_e64 v25, null, s5, v23, vcc_lo
	s_add_nc_u64 s[4:5], s[4:5], 1
	s_wait_alu 0xfffe
	v_cmp_eq_u32_e32 vcc_lo, s4, v8
	global_load_u8 v24, v[24:25], off
	v_mov_b32_e32 v25, s10
	s_or_b32 s13, vcc_lo, s13
	s_wait_loadcnt 0x0
	v_and_b32_e32 v24, 0xffff, v24
	s_delay_alu instid0(VALU_DEP_1) | instskip(SKIP_1) | instid1(VALU_DEP_1)
	v_lshlrev_b64_e32 v[24:25], s0, v[24:25]
	s_add_nc_u64 s[0:1], s[0:1], 8
	v_or_b32_e32 v21, v25, v21
	s_delay_alu instid0(VALU_DEP_2)
	v_or_b32_e32 v20, v24, v20
	s_wait_alu 0xfffe
	s_and_not1_b32 exec_lo, exec_lo, s13
	s_cbranch_execnz .LBB0_46
; %bb.47:                               ;   in Loop: Header=BB0_3 Depth=1
	s_or_b32 exec_lo, exec_lo, s13
.LBB0_48:                               ;   in Loop: Header=BB0_3 Depth=1
	s_wait_alu 0xfffe
	s_or_b32 exec_lo, exec_lo, s12
	v_dual_mov_b32 v25, v23 :: v_dual_mov_b32 v24, v22
                                        ; implicit-def: $vgpr8
.LBB0_49:                               ;   in Loop: Header=BB0_3 Depth=1
	s_wait_alu 0xfffe
	s_or_saveexec_b32 s0, s11
	v_mov_b32_e32 v26, 0
	s_wait_alu 0xfffe
	s_xor_b32 exec_lo, exec_lo, s0
	s_cbranch_execz .LBB0_51
; %bb.50:                               ;   in Loop: Header=BB0_3 Depth=1
	global_load_b64 v[20:21], v[22:23], off
	v_add_nc_u32_e32 v26, -8, v8
.LBB0_51:                               ;   in Loop: Header=BB0_3 Depth=1
	s_or_b32 exec_lo, exec_lo, s0
	s_delay_alu instid0(SALU_CYCLE_1) | instskip(NEXT) | instid1(VALU_DEP_1)
	s_mov_b32 s0, exec_lo
	v_cmpx_gt_u32_e32 8, v26
	s_wait_alu 0xfffe
	s_xor_b32 s1, exec_lo, s0
	s_cbranch_execz .LBB0_57
; %bb.52:                               ;   in Loop: Header=BB0_3 Depth=1
	v_mov_b32_e32 v22, 0
	v_mov_b32_e32 v23, 0
	s_mov_b32 s11, exec_lo
	v_cmpx_ne_u32_e32 0, v26
	s_cbranch_execz .LBB0_56
; %bb.53:                               ;   in Loop: Header=BB0_3 Depth=1
	v_mov_b32_e32 v22, 0
	v_mov_b32_e32 v23, 0
	s_mov_b64 s[4:5], 0
	s_mov_b32 s12, 0
.LBB0_54:                               ;   Parent Loop BB0_3 Depth=1
                                        ; =>  This Inner Loop Header: Depth=2
	global_load_u8 v8, v[24:25], off
	v_dual_mov_b32 v31, s10 :: v_dual_add_nc_u32 v26, -1, v26
	v_add_co_u32 v24, vcc_lo, v24, 1
	s_wait_alu 0xfffd
	v_add_co_ci_u32_e64 v25, null, 0, v25, vcc_lo
	s_delay_alu instid0(VALU_DEP_3) | instskip(SKIP_4) | instid1(VALU_DEP_1)
	v_cmp_eq_u32_e64 s0, 0, v26
	s_wait_alu 0xfffe
	s_or_b32 s12, s0, s12
	s_wait_loadcnt 0x0
	v_and_b32_e32 v30, 0xffff, v8
	v_lshlrev_b64_e32 v[30:31], s4, v[30:31]
	s_add_nc_u64 s[4:5], s[4:5], 8
	s_delay_alu instid0(VALU_DEP_1) | instskip(NEXT) | instid1(VALU_DEP_2)
	v_or_b32_e32 v23, v31, v23
	v_or_b32_e32 v22, v30, v22
	s_wait_alu 0xfffe
	s_and_not1_b32 exec_lo, exec_lo, s12
	s_cbranch_execnz .LBB0_54
; %bb.55:                               ;   in Loop: Header=BB0_3 Depth=1
	s_or_b32 exec_lo, exec_lo, s12
.LBB0_56:                               ;   in Loop: Header=BB0_3 Depth=1
	s_wait_alu 0xfffe
	s_or_b32 exec_lo, exec_lo, s11
                                        ; implicit-def: $vgpr24_vgpr25
.LBB0_57:                               ;   in Loop: Header=BB0_3 Depth=1
	s_wait_alu 0xfffe
	s_and_not1_saveexec_b32 s0, s1
	s_cbranch_execz .LBB0_59
; %bb.58:                               ;   in Loop: Header=BB0_3 Depth=1
	global_load_b64 v[22:23], v[24:25], off
.LBB0_59:                               ;   in Loop: Header=BB0_3 Depth=1
	s_wait_alu 0xfffe
	s_or_b32 exec_lo, exec_lo, s0
	v_readfirstlane_b32 s0, v34
	v_mov_b32_e32 v30, 0
	v_mov_b32_e32 v31, 0
	s_wait_alu 0xf1ff
	s_delay_alu instid0(VALU_DEP_3)
	v_cmp_eq_u32_e64 s0, s0, v34
	s_and_saveexec_b32 s1, s0
	s_cbranch_execz .LBB0_65
; %bb.60:                               ;   in Loop: Header=BB0_3 Depth=1
	s_wait_kmcnt 0x0
	global_load_b64 v[26:27], v9, s[2:3] offset:24 scope:SCOPE_SYS
	s_wait_loadcnt 0x0
	global_inv scope:SCOPE_SYS
	s_clause 0x1
	global_load_b64 v[24:25], v9, s[2:3] offset:40
	global_load_b64 v[30:31], v9, s[2:3]
	s_mov_b32 s4, exec_lo
	s_wait_loadcnt 0x1
	v_and_b32_e32 v8, v25, v27
	v_and_b32_e32 v24, v24, v26
	s_delay_alu instid0(VALU_DEP_2) | instskip(NEXT) | instid1(VALU_DEP_2)
	v_mul_lo_u32 v8, 24, v8
	v_mul_lo_u32 v25, 0, v24
	v_mul_hi_u32 v32, 24, v24
	v_mul_lo_u32 v24, 24, v24
	s_delay_alu instid0(VALU_DEP_3) | instskip(SKIP_1) | instid1(VALU_DEP_2)
	v_add_nc_u32_e32 v8, v8, v25
	s_wait_loadcnt 0x0
	v_add_co_u32 v24, vcc_lo, v30, v24
	s_delay_alu instid0(VALU_DEP_2) | instskip(SKIP_1) | instid1(VALU_DEP_1)
	v_add_nc_u32_e32 v8, v8, v32
	s_wait_alu 0xfffd
	v_add_co_ci_u32_e64 v25, null, v31, v8, vcc_lo
	global_load_b64 v[24:25], v[24:25], off scope:SCOPE_SYS
	s_wait_loadcnt 0x0
	global_atomic_cmpswap_b64 v[30:31], v9, v[24:27], s[2:3] offset:24 th:TH_ATOMIC_RETURN scope:SCOPE_SYS
	s_wait_loadcnt 0x0
	global_inv scope:SCOPE_SYS
	v_cmpx_ne_u64_e64 v[30:31], v[26:27]
	s_cbranch_execz .LBB0_64
; %bb.61:                               ;   in Loop: Header=BB0_3 Depth=1
	s_mov_b32 s5, 0
.LBB0_62:                               ;   Parent Loop BB0_3 Depth=1
                                        ; =>  This Inner Loop Header: Depth=2
	s_sleep 1
	s_clause 0x1
	global_load_b64 v[24:25], v9, s[2:3] offset:40
	global_load_b64 v[32:33], v9, s[2:3]
	v_dual_mov_b32 v26, v30 :: v_dual_mov_b32 v27, v31
	s_wait_loadcnt 0x1
	s_delay_alu instid0(VALU_DEP_1) | instskip(NEXT) | instid1(VALU_DEP_2)
	v_and_b32_e32 v8, v24, v26
	v_and_b32_e32 v24, v25, v27
	s_wait_loadcnt 0x0
	s_delay_alu instid0(VALU_DEP_2) | instskip(NEXT) | instid1(VALU_DEP_1)
	v_mad_co_u64_u32 v[30:31], null, v8, 24, v[32:33]
	v_mov_b32_e32 v8, v31
	s_delay_alu instid0(VALU_DEP_1) | instskip(NEXT) | instid1(VALU_DEP_1)
	v_mad_co_u64_u32 v[24:25], null, v24, 24, v[8:9]
	v_mov_b32_e32 v31, v24
	global_load_b64 v[24:25], v[30:31], off scope:SCOPE_SYS
	s_wait_loadcnt 0x0
	global_atomic_cmpswap_b64 v[30:31], v9, v[24:27], s[2:3] offset:24 th:TH_ATOMIC_RETURN scope:SCOPE_SYS
	s_wait_loadcnt 0x0
	global_inv scope:SCOPE_SYS
	v_cmp_eq_u64_e32 vcc_lo, v[30:31], v[26:27]
	s_wait_alu 0xfffe
	s_or_b32 s5, vcc_lo, s5
	s_wait_alu 0xfffe
	s_and_not1_b32 exec_lo, exec_lo, s5
	s_cbranch_execnz .LBB0_62
; %bb.63:                               ;   in Loop: Header=BB0_3 Depth=1
	s_or_b32 exec_lo, exec_lo, s5
.LBB0_64:                               ;   in Loop: Header=BB0_3 Depth=1
	s_wait_alu 0xfffe
	s_or_b32 exec_lo, exec_lo, s4
.LBB0_65:                               ;   in Loop: Header=BB0_3 Depth=1
	s_wait_alu 0xfffe
	s_or_b32 exec_lo, exec_lo, s1
	s_wait_kmcnt 0x0
	s_clause 0x1
	global_load_b64 v[32:33], v9, s[2:3] offset:40
	global_load_b128 v[24:27], v9, s[2:3]
	v_readfirstlane_b32 s5, v31
	v_readfirstlane_b32 s4, v30
	s_mov_b32 s1, exec_lo
	s_wait_loadcnt 0x1
	s_wait_alu 0xf1ff
	v_and_b32_e32 v33, s5, v33
	v_and_b32_e32 v32, s4, v32
	s_delay_alu instid0(VALU_DEP_2) | instskip(NEXT) | instid1(VALU_DEP_2)
	v_mul_lo_u32 v8, 24, v33
	v_mul_lo_u32 v30, 0, v32
	v_mul_hi_u32 v31, 24, v32
	v_mul_lo_u32 v36, 24, v32
	s_delay_alu instid0(VALU_DEP_3) | instskip(SKIP_1) | instid1(VALU_DEP_2)
	v_add_nc_u32_e32 v8, v8, v30
	s_wait_loadcnt 0x0
	v_add_co_u32 v30, vcc_lo, v24, v36
	s_delay_alu instid0(VALU_DEP_2) | instskip(SKIP_1) | instid1(VALU_DEP_1)
	v_add_nc_u32_e32 v8, v8, v31
	s_wait_alu 0xfffd
	v_add_co_ci_u32_e64 v31, null, v25, v8, vcc_lo
	s_and_saveexec_b32 s11, s0
	s_cbranch_execz .LBB0_67
; %bb.66:                               ;   in Loop: Header=BB0_3 Depth=1
	s_wait_alu 0xfffe
	v_mov_b32_e32 v8, s1
	global_store_b128 v[30:31], v[8:11], off offset:8
.LBB0_67:                               ;   in Loop: Header=BB0_3 Depth=1
	s_wait_alu 0xfffe
	s_or_b32 exec_lo, exec_lo, s11
	v_cmp_gt_u64_e32 vcc_lo, 57, v[4:5]
	v_lshlrev_b64_e32 v[32:33], 12, v[32:33]
	v_and_b32_e32 v0, 0xffffff1f, v0
	v_lshl_add_u32 v36, v28, 2, 28
	s_wait_alu 0xfffd
	v_cndmask_b32_e32 v8, 0, v35, vcc_lo
	s_delay_alu instid0(VALU_DEP_4) | instskip(SKIP_2) | instid1(VALU_DEP_3)
	v_add_co_u32 v26, vcc_lo, v26, v32
	s_wait_alu 0xfffd
	v_add_co_ci_u32_e64 v27, null, v27, v33, vcc_lo
	v_or_b32_e32 v0, v0, v8
	v_lshlrev_b32_e32 v32, 6, v34
	v_readfirstlane_b32 s12, v26
	s_delay_alu instid0(VALU_DEP_4) | instskip(NEXT) | instid1(VALU_DEP_4)
	v_readfirstlane_b32 s13, v27
	v_and_or_b32 v0, 0x1e0, v36, v0
	s_clause 0x3
	global_store_b128 v32, v[0:3], s[12:13]
	global_store_b128 v32, v[12:15], s[12:13] offset:16
	global_store_b128 v32, v[16:19], s[12:13] offset:32
	global_store_b128 v32, v[20:23], s[12:13] offset:48
	s_and_saveexec_b32 s1, s0
	s_cbranch_execz .LBB0_75
; %bb.68:                               ;   in Loop: Header=BB0_3 Depth=1
	s_clause 0x1
	global_load_b64 v[16:17], v9, s[2:3] offset:32 scope:SCOPE_SYS
	global_load_b64 v[0:1], v9, s[2:3] offset:40
	s_mov_b32 s11, exec_lo
	v_dual_mov_b32 v14, s4 :: v_dual_mov_b32 v15, s5
	s_wait_loadcnt 0x0
	v_and_b32_e32 v0, s4, v0
	v_and_b32_e32 v1, s5, v1
	s_delay_alu instid0(VALU_DEP_2) | instskip(NEXT) | instid1(VALU_DEP_2)
	v_mul_lo_u32 v2, 0, v0
	v_mul_lo_u32 v1, 24, v1
	v_mul_hi_u32 v3, 24, v0
	v_mul_lo_u32 v0, 24, v0
	s_delay_alu instid0(VALU_DEP_3) | instskip(NEXT) | instid1(VALU_DEP_2)
	v_add_nc_u32_e32 v1, v1, v2
	v_add_co_u32 v12, vcc_lo, v24, v0
	s_delay_alu instid0(VALU_DEP_2) | instskip(SKIP_1) | instid1(VALU_DEP_1)
	v_add_nc_u32_e32 v1, v1, v3
	s_wait_alu 0xfffd
	v_add_co_ci_u32_e64 v13, null, v25, v1, vcc_lo
	global_store_b64 v[12:13], v[16:17], off
	global_wb scope:SCOPE_SYS
	s_wait_storecnt 0x0
	global_atomic_cmpswap_b64 v[2:3], v9, v[14:17], s[2:3] offset:32 th:TH_ATOMIC_RETURN scope:SCOPE_SYS
	s_wait_loadcnt 0x0
	v_cmpx_ne_u64_e64 v[2:3], v[16:17]
	s_cbranch_execz .LBB0_71
; %bb.69:                               ;   in Loop: Header=BB0_3 Depth=1
	s_mov_b32 s12, 0
.LBB0_70:                               ;   Parent Loop BB0_3 Depth=1
                                        ; =>  This Inner Loop Header: Depth=2
	v_dual_mov_b32 v0, s4 :: v_dual_mov_b32 v1, s5
	s_sleep 1
	global_store_b64 v[12:13], v[2:3], off
	global_wb scope:SCOPE_SYS
	s_wait_storecnt 0x0
	global_atomic_cmpswap_b64 v[0:1], v9, v[0:3], s[2:3] offset:32 th:TH_ATOMIC_RETURN scope:SCOPE_SYS
	s_wait_loadcnt 0x0
	v_cmp_eq_u64_e32 vcc_lo, v[0:1], v[2:3]
	v_dual_mov_b32 v3, v1 :: v_dual_mov_b32 v2, v0
	s_wait_alu 0xfffe
	s_or_b32 s12, vcc_lo, s12
	s_wait_alu 0xfffe
	s_and_not1_b32 exec_lo, exec_lo, s12
	s_cbranch_execnz .LBB0_70
.LBB0_71:                               ;   in Loop: Header=BB0_3 Depth=1
	s_wait_alu 0xfffe
	s_or_b32 exec_lo, exec_lo, s11
	global_load_b64 v[0:1], v9, s[2:3] offset:16
	s_mov_b32 s12, exec_lo
	s_mov_b32 s11, exec_lo
	s_wait_alu 0xfffe
	v_mbcnt_lo_u32_b32 v2, s12, 0
	s_delay_alu instid0(VALU_DEP_1)
	v_cmpx_eq_u32_e32 0, v2
	s_cbranch_execz .LBB0_73
; %bb.72:                               ;   in Loop: Header=BB0_3 Depth=1
	s_bcnt1_i32_b32 s12, s12
	s_wait_alu 0xfffe
	v_mov_b32_e32 v8, s12
	global_wb scope:SCOPE_SYS
	s_wait_loadcnt 0x0
	s_wait_storecnt 0x0
	global_atomic_add_u64 v[0:1], v[8:9], off offset:8 scope:SCOPE_SYS
.LBB0_73:                               ;   in Loop: Header=BB0_3 Depth=1
	s_or_b32 exec_lo, exec_lo, s11
	s_wait_loadcnt 0x0
	global_load_b64 v[2:3], v[0:1], off offset:16
	s_wait_loadcnt 0x0
	v_cmp_eq_u64_e32 vcc_lo, 0, v[2:3]
	s_cbranch_vccnz .LBB0_75
; %bb.74:                               ;   in Loop: Header=BB0_3 Depth=1
	global_load_b32 v8, v[0:1], off offset:24
	s_wait_loadcnt 0x0
	v_readfirstlane_b32 s11, v8
	global_wb scope:SCOPE_SYS
	s_wait_storecnt 0x0
	global_store_b64 v[2:3], v[8:9], off scope:SCOPE_SYS
	s_and_b32 m0, s11, 0xffffff
	s_sendmsg sendmsg(MSG_INTERRUPT)
.LBB0_75:                               ;   in Loop: Header=BB0_3 Depth=1
	s_wait_alu 0xfffe
	s_or_b32 exec_lo, exec_lo, s1
	v_add_co_u32 v0, vcc_lo, v26, v32
	s_wait_alu 0xfffd
	v_add_co_ci_u32_e64 v1, null, 0, v27, vcc_lo
	s_branch .LBB0_79
.LBB0_76:                               ;   in Loop: Header=BB0_79 Depth=2
	s_wait_alu 0xfffe
	s_or_b32 exec_lo, exec_lo, s1
	s_delay_alu instid0(VALU_DEP_1)
	v_readfirstlane_b32 s1, v2
	s_cmp_eq_u32 s1, 0
	s_cbranch_scc1 .LBB0_78
; %bb.77:                               ;   in Loop: Header=BB0_79 Depth=2
	s_sleep 1
	s_cbranch_execnz .LBB0_79
	s_branch .LBB0_81
.LBB0_78:                               ;   in Loop: Header=BB0_3 Depth=1
	s_branch .LBB0_81
.LBB0_79:                               ;   Parent Loop BB0_3 Depth=1
                                        ; =>  This Inner Loop Header: Depth=2
	v_mov_b32_e32 v2, 1
	s_and_saveexec_b32 s1, s0
	s_cbranch_execz .LBB0_76
; %bb.80:                               ;   in Loop: Header=BB0_79 Depth=2
	global_load_b32 v2, v[30:31], off offset:20 scope:SCOPE_SYS
	s_wait_loadcnt 0x0
	global_inv scope:SCOPE_SYS
	v_and_b32_e32 v2, 1, v2
	s_branch .LBB0_76
.LBB0_81:                               ;   in Loop: Header=BB0_3 Depth=1
	global_load_b64 v[0:1], v[0:1], off
	s_and_saveexec_b32 s11, s0
	s_cbranch_execz .LBB0_2
; %bb.82:                               ;   in Loop: Header=BB0_3 Depth=1
	s_clause 0x2
	global_load_b64 v[2:3], v9, s[2:3] offset:40
	global_load_b64 v[16:17], v9, s[2:3] offset:24 scope:SCOPE_SYS
	global_load_b64 v[12:13], v9, s[2:3]
	s_wait_loadcnt 0x2
	v_readfirstlane_b32 s12, v2
	v_readfirstlane_b32 s13, v3
	s_add_nc_u64 s[0:1], s[12:13], 1
	s_wait_alu 0xfffe
	s_add_nc_u64 s[4:5], s[0:1], s[4:5]
	s_wait_alu 0xfffe
	s_cmp_eq_u64 s[4:5], 0
	s_cselect_b32 s1, s1, s5
	s_cselect_b32 s0, s0, s4
	s_wait_alu 0xfffe
	v_dual_mov_b32 v15, s1 :: v_dual_mov_b32 v14, s0
	s_and_b64 s[4:5], s[0:1], s[12:13]
	s_wait_alu 0xfffe
	s_mul_u64 s[4:5], s[4:5], 24
	s_wait_loadcnt 0x0
	s_wait_alu 0xfffe
	v_add_co_u32 v2, vcc_lo, v12, s4
	s_wait_alu 0xfffd
	v_add_co_ci_u32_e64 v3, null, s5, v13, vcc_lo
	global_store_b64 v[2:3], v[16:17], off
	global_wb scope:SCOPE_SYS
	s_wait_storecnt 0x0
	global_atomic_cmpswap_b64 v[14:15], v9, v[14:17], s[2:3] offset:24 th:TH_ATOMIC_RETURN scope:SCOPE_SYS
	s_wait_loadcnt 0x0
	v_cmp_ne_u64_e32 vcc_lo, v[14:15], v[16:17]
	s_and_b32 exec_lo, exec_lo, vcc_lo
	s_cbranch_execz .LBB0_2
; %bb.83:                               ;   in Loop: Header=BB0_3 Depth=1
	s_mov_b32 s4, 0
.LBB0_84:                               ;   Parent Loop BB0_3 Depth=1
                                        ; =>  This Inner Loop Header: Depth=2
	v_dual_mov_b32 v12, s0 :: v_dual_mov_b32 v13, s1
	s_sleep 1
	global_store_b64 v[2:3], v[14:15], off
	global_wb scope:SCOPE_SYS
	s_wait_storecnt 0x0
	global_atomic_cmpswap_b64 v[12:13], v9, v[12:15], s[2:3] offset:24 th:TH_ATOMIC_RETURN scope:SCOPE_SYS
	s_wait_loadcnt 0x0
	v_cmp_eq_u64_e32 vcc_lo, v[12:13], v[14:15]
	v_dual_mov_b32 v15, v13 :: v_dual_mov_b32 v14, v12
	s_wait_alu 0xfffe
	s_or_b32 s4, vcc_lo, s4
	s_wait_alu 0xfffe
	s_and_not1_b32 exec_lo, exec_lo, s4
	s_cbranch_execnz .LBB0_84
	s_branch .LBB0_2
.LBB0_85:
	s_or_b32 exec_lo, exec_lo, s7
                                        ; implicit-def: $vgpr3
                                        ; implicit-def: $vgpr34
.LBB0_86:
	s_wait_alu 0xfffe
	s_and_not1_saveexec_b32 s6, s6
	s_cbranch_execz .LBB0_108
; %bb.87:
	s_load_b64 s[2:3], s[8:9], 0x50
	v_readfirstlane_b32 s0, v34
	v_mov_b32_e32 v8, 0
	v_mov_b32_e32 v9, 0
	s_wait_alu 0xf1ff
	s_delay_alu instid0(VALU_DEP_3)
	v_cmp_eq_u32_e64 s0, s0, v34
	s_and_saveexec_b32 s1, s0
	s_cbranch_execz .LBB0_93
; %bb.88:
	s_wait_loadcnt 0x0
	v_mov_b32_e32 v0, 0
	s_mov_b32 s4, exec_lo
	s_wait_kmcnt 0x0
	global_load_b64 v[6:7], v0, s[2:3] offset:24 scope:SCOPE_SYS
	s_wait_loadcnt 0x0
	global_inv scope:SCOPE_SYS
	s_clause 0x1
	global_load_b64 v[4:5], v0, s[2:3] offset:40
	global_load_b64 v[8:9], v0, s[2:3]
	s_wait_loadcnt 0x1
	v_and_b32_e32 v2, v5, v7
	v_and_b32_e32 v4, v4, v6
	s_delay_alu instid0(VALU_DEP_2) | instskip(NEXT) | instid1(VALU_DEP_2)
	v_mul_lo_u32 v2, 24, v2
	v_mul_lo_u32 v5, 0, v4
	v_mul_hi_u32 v10, 24, v4
	v_mul_lo_u32 v4, 24, v4
	s_delay_alu instid0(VALU_DEP_3) | instskip(SKIP_1) | instid1(VALU_DEP_2)
	v_add_nc_u32_e32 v2, v2, v5
	s_wait_loadcnt 0x0
	v_add_co_u32 v4, vcc_lo, v8, v4
	s_delay_alu instid0(VALU_DEP_2) | instskip(SKIP_1) | instid1(VALU_DEP_1)
	v_add_nc_u32_e32 v2, v2, v10
	s_wait_alu 0xfffd
	v_add_co_ci_u32_e64 v5, null, v9, v2, vcc_lo
	global_load_b64 v[4:5], v[4:5], off scope:SCOPE_SYS
	s_wait_loadcnt 0x0
	global_atomic_cmpswap_b64 v[8:9], v0, v[4:7], s[2:3] offset:24 th:TH_ATOMIC_RETURN scope:SCOPE_SYS
	s_wait_loadcnt 0x0
	global_inv scope:SCOPE_SYS
	v_cmpx_ne_u64_e64 v[8:9], v[6:7]
	s_cbranch_execz .LBB0_92
; %bb.89:
	s_mov_b32 s5, 0
.LBB0_90:                               ; =>This Inner Loop Header: Depth=1
	s_sleep 1
	s_clause 0x1
	global_load_b64 v[4:5], v0, s[2:3] offset:40
	global_load_b64 v[10:11], v0, s[2:3]
	v_dual_mov_b32 v6, v8 :: v_dual_mov_b32 v7, v9
	s_wait_loadcnt 0x1
	s_delay_alu instid0(VALU_DEP_1) | instskip(NEXT) | instid1(VALU_DEP_2)
	v_and_b32_e32 v2, v4, v6
	v_and_b32_e32 v4, v5, v7
	s_wait_loadcnt 0x0
	s_delay_alu instid0(VALU_DEP_2) | instskip(NEXT) | instid1(VALU_DEP_1)
	v_mad_co_u64_u32 v[8:9], null, v2, 24, v[10:11]
	v_mov_b32_e32 v2, v9
	s_delay_alu instid0(VALU_DEP_1) | instskip(NEXT) | instid1(VALU_DEP_1)
	v_mad_co_u64_u32 v[4:5], null, v4, 24, v[2:3]
	v_mov_b32_e32 v9, v4
	global_load_b64 v[4:5], v[8:9], off scope:SCOPE_SYS
	s_wait_loadcnt 0x0
	global_atomic_cmpswap_b64 v[8:9], v0, v[4:7], s[2:3] offset:24 th:TH_ATOMIC_RETURN scope:SCOPE_SYS
	s_wait_loadcnt 0x0
	global_inv scope:SCOPE_SYS
	v_cmp_eq_u64_e32 vcc_lo, v[8:9], v[6:7]
	s_wait_alu 0xfffe
	s_or_b32 s5, vcc_lo, s5
	s_wait_alu 0xfffe
	s_and_not1_b32 exec_lo, exec_lo, s5
	s_cbranch_execnz .LBB0_90
; %bb.91:
	s_or_b32 exec_lo, exec_lo, s5
.LBB0_92:
	s_wait_alu 0xfffe
	s_or_b32 exec_lo, exec_lo, s4
.LBB0_93:
	s_wait_alu 0xfffe
	s_or_b32 exec_lo, exec_lo, s1
	v_readfirstlane_b32 s5, v9
	v_mov_b32_e32 v2, 0
	v_readfirstlane_b32 s4, v8
	s_mov_b32 s1, exec_lo
	s_wait_kmcnt 0x0
	s_clause 0x1
	global_load_b64 v[10:11], v2, s[2:3] offset:40
	global_load_b128 v[4:7], v2, s[2:3]
	s_wait_loadcnt 0x1
	s_wait_alu 0xf1ff
	v_and_b32_e32 v11, s5, v11
	v_and_b32_e32 v10, s4, v10
	s_delay_alu instid0(VALU_DEP_2) | instskip(NEXT) | instid1(VALU_DEP_2)
	v_mul_lo_u32 v0, 24, v11
	v_mul_lo_u32 v8, 0, v10
	v_mul_hi_u32 v9, 24, v10
	v_mul_lo_u32 v12, 24, v10
	s_delay_alu instid0(VALU_DEP_3) | instskip(SKIP_1) | instid1(VALU_DEP_2)
	v_add_nc_u32_e32 v0, v0, v8
	s_wait_loadcnt 0x0
	v_add_co_u32 v8, vcc_lo, v4, v12
	s_delay_alu instid0(VALU_DEP_2) | instskip(SKIP_1) | instid1(VALU_DEP_1)
	v_add_nc_u32_e32 v0, v0, v9
	s_wait_alu 0xfffd
	v_add_co_ci_u32_e64 v9, null, v5, v0, vcc_lo
	s_and_saveexec_b32 s7, s0
	s_cbranch_execz .LBB0_95
; %bb.94:
	s_wait_alu 0xfffe
	v_dual_mov_b32 v12, s1 :: v_dual_mov_b32 v13, v2
	v_dual_mov_b32 v14, 2 :: v_dual_mov_b32 v15, 1
	global_store_b128 v[8:9], v[12:15], off offset:8
.LBB0_95:
	s_wait_alu 0xfffe
	s_or_b32 exec_lo, exec_lo, s7
	v_lshlrev_b64_e32 v[10:11], 12, v[10:11]
	v_lshlrev_b32_e32 v14, 6, v34
	s_mov_b32 s8, 0
	v_and_or_b32 v0, 0xffffff1f, v3, 32
	v_mov_b32_e32 v3, v2
	s_wait_alu 0xfffe
	s_mov_b32 s11, s8
	v_add_co_u32 v6, vcc_lo, v6, v10
	s_wait_alu 0xfffd
	v_add_co_ci_u32_e64 v7, null, v7, v11, vcc_lo
	s_mov_b32 s9, s8
	v_readfirstlane_b32 s12, v6
	v_add_co_u32 v6, vcc_lo, v6, v14
	s_mov_b32 s10, s8
	v_readfirstlane_b32 s13, v7
	s_wait_alu 0xfffe
	v_dual_mov_b32 v13, s11 :: v_dual_mov_b32 v12, s10
	s_wait_alu 0xfffd
	v_add_co_ci_u32_e64 v7, null, 0, v7, vcc_lo
	v_dual_mov_b32 v11, s9 :: v_dual_mov_b32 v10, s8
	s_clause 0x3
	global_store_b128 v14, v[0:3], s[12:13]
	global_store_b128 v14, v[10:13], s[12:13] offset:16
	global_store_b128 v14, v[10:13], s[12:13] offset:32
	;; [unrolled: 1-line block ×3, first 2 shown]
	s_and_saveexec_b32 s1, s0
	s_cbranch_execz .LBB0_102
; %bb.96:
	v_mov_b32_e32 v10, 0
	s_mov_b32 s7, exec_lo
	s_clause 0x1
	global_load_b64 v[13:14], v10, s[2:3] offset:32 scope:SCOPE_SYS
	global_load_b64 v[0:1], v10, s[2:3] offset:40
	v_dual_mov_b32 v11, s4 :: v_dual_mov_b32 v12, s5
	s_wait_loadcnt 0x0
	v_and_b32_e32 v1, s5, v1
	v_and_b32_e32 v0, s4, v0
	s_delay_alu instid0(VALU_DEP_2) | instskip(NEXT) | instid1(VALU_DEP_2)
	v_mul_lo_u32 v1, 24, v1
	v_mul_lo_u32 v2, 0, v0
	v_mul_hi_u32 v3, 24, v0
	v_mul_lo_u32 v0, 24, v0
	s_delay_alu instid0(VALU_DEP_3) | instskip(NEXT) | instid1(VALU_DEP_2)
	v_add_nc_u32_e32 v1, v1, v2
	v_add_co_u32 v4, vcc_lo, v4, v0
	s_delay_alu instid0(VALU_DEP_2) | instskip(SKIP_1) | instid1(VALU_DEP_1)
	v_add_nc_u32_e32 v1, v1, v3
	s_wait_alu 0xfffd
	v_add_co_ci_u32_e64 v5, null, v5, v1, vcc_lo
	global_store_b64 v[4:5], v[13:14], off
	global_wb scope:SCOPE_SYS
	s_wait_storecnt 0x0
	global_atomic_cmpswap_b64 v[2:3], v10, v[11:14], s[2:3] offset:32 th:TH_ATOMIC_RETURN scope:SCOPE_SYS
	s_wait_loadcnt 0x0
	v_cmpx_ne_u64_e64 v[2:3], v[13:14]
	s_cbranch_execz .LBB0_98
.LBB0_97:                               ; =>This Inner Loop Header: Depth=1
	v_dual_mov_b32 v0, s4 :: v_dual_mov_b32 v1, s5
	s_sleep 1
	global_store_b64 v[4:5], v[2:3], off
	global_wb scope:SCOPE_SYS
	s_wait_storecnt 0x0
	global_atomic_cmpswap_b64 v[0:1], v10, v[0:3], s[2:3] offset:32 th:TH_ATOMIC_RETURN scope:SCOPE_SYS
	s_wait_loadcnt 0x0
	v_cmp_eq_u64_e32 vcc_lo, v[0:1], v[2:3]
	v_dual_mov_b32 v3, v1 :: v_dual_mov_b32 v2, v0
	s_or_b32 s8, vcc_lo, s8
	s_wait_alu 0xfffe
	s_and_not1_b32 exec_lo, exec_lo, s8
	s_cbranch_execnz .LBB0_97
.LBB0_98:
	s_wait_alu 0xfffe
	s_or_b32 exec_lo, exec_lo, s7
	v_mov_b32_e32 v3, 0
	s_mov_b32 s8, exec_lo
	s_mov_b32 s7, exec_lo
	s_wait_alu 0xfffe
	v_mbcnt_lo_u32_b32 v2, s8, 0
	global_load_b64 v[0:1], v3, s[2:3] offset:16
	v_cmpx_eq_u32_e32 0, v2
	s_cbranch_execz .LBB0_100
; %bb.99:
	s_bcnt1_i32_b32 s8, s8
	s_wait_alu 0xfffe
	v_mov_b32_e32 v2, s8
	global_wb scope:SCOPE_SYS
	s_wait_loadcnt 0x0
	s_wait_storecnt 0x0
	global_atomic_add_u64 v[0:1], v[2:3], off offset:8 scope:SCOPE_SYS
.LBB0_100:
	s_or_b32 exec_lo, exec_lo, s7
	s_wait_loadcnt 0x0
	global_load_b64 v[2:3], v[0:1], off offset:16
	s_wait_loadcnt 0x0
	v_cmp_eq_u64_e32 vcc_lo, 0, v[2:3]
	s_cbranch_vccnz .LBB0_102
; %bb.101:
	global_load_b32 v0, v[0:1], off offset:24
	v_mov_b32_e32 v1, 0
	s_wait_loadcnt 0x0
	v_readfirstlane_b32 s7, v0
	global_wb scope:SCOPE_SYS
	s_wait_storecnt 0x0
	global_store_b64 v[2:3], v[0:1], off scope:SCOPE_SYS
	s_and_b32 m0, s7, 0xffffff
	s_sendmsg sendmsg(MSG_INTERRUPT)
.LBB0_102:
	s_wait_alu 0xfffe
	s_or_b32 exec_lo, exec_lo, s1
	s_branch .LBB0_106
.LBB0_103:                              ;   in Loop: Header=BB0_106 Depth=1
	s_wait_alu 0xfffe
	s_or_b32 exec_lo, exec_lo, s1
	s_delay_alu instid0(VALU_DEP_1)
	v_readfirstlane_b32 s1, v0
	s_cmp_eq_u32 s1, 0
	s_cbranch_scc1 .LBB0_105
; %bb.104:                              ;   in Loop: Header=BB0_106 Depth=1
	s_sleep 1
	s_cbranch_execnz .LBB0_106
	s_branch .LBB0_109
.LBB0_105:
	s_branch .LBB0_109
.LBB0_106:                              ; =>This Inner Loop Header: Depth=1
	v_mov_b32_e32 v0, 1
	s_and_saveexec_b32 s1, s0
	s_cbranch_execz .LBB0_103
; %bb.107:                              ;   in Loop: Header=BB0_106 Depth=1
	global_load_b32 v0, v[8:9], off offset:20 scope:SCOPE_SYS
	s_wait_loadcnt 0x0
	global_inv scope:SCOPE_SYS
	v_and_b32_e32 v0, 1, v0
	s_branch .LBB0_103
.LBB0_108:
	s_wait_alu 0xfffe
	s_or_b32 exec_lo, exec_lo, s6
	s_wait_loadcnt 0x0
	s_wait_kmcnt 0x0
	s_setpc_b64 s[30:31]
.LBB0_109:
	global_load_b64 v[0:1], v[6:7], off
	s_and_saveexec_b32 s7, s0
	s_cbranch_execz .LBB0_113
; %bb.110:
	v_mov_b32_e32 v8, 0
	s_clause 0x2
	global_load_b64 v[2:3], v8, s[2:3] offset:40
	global_load_b64 v[11:12], v8, s[2:3] offset:24 scope:SCOPE_SYS
	global_load_b64 v[4:5], v8, s[2:3]
	s_wait_loadcnt 0x2
	v_readfirstlane_b32 s8, v2
	v_readfirstlane_b32 s9, v3
	s_add_nc_u64 s[0:1], s[8:9], 1
	s_wait_alu 0xfffe
	s_add_nc_u64 s[4:5], s[0:1], s[4:5]
	s_wait_alu 0xfffe
	s_cmp_eq_u64 s[4:5], 0
	s_cselect_b32 s1, s1, s5
	s_cselect_b32 s0, s0, s4
	s_wait_alu 0xfffe
	v_mov_b32_e32 v10, s1
	s_and_b64 s[4:5], s[0:1], s[8:9]
	v_mov_b32_e32 v9, s0
	s_wait_alu 0xfffe
	s_mul_u64 s[4:5], s[4:5], 24
	s_wait_loadcnt 0x0
	s_wait_alu 0xfffe
	v_add_co_u32 v6, vcc_lo, v4, s4
	s_wait_alu 0xfffd
	v_add_co_ci_u32_e64 v7, null, s5, v5, vcc_lo
	global_store_b64 v[6:7], v[11:12], off
	global_wb scope:SCOPE_SYS
	s_wait_storecnt 0x0
	global_atomic_cmpswap_b64 v[4:5], v8, v[9:12], s[2:3] offset:24 th:TH_ATOMIC_RETURN scope:SCOPE_SYS
	s_wait_loadcnt 0x0
	v_cmp_ne_u64_e32 vcc_lo, v[4:5], v[11:12]
	s_and_b32 exec_lo, exec_lo, vcc_lo
	s_cbranch_execz .LBB0_113
; %bb.111:
	s_mov_b32 s4, 0
.LBB0_112:                              ; =>This Inner Loop Header: Depth=1
	v_dual_mov_b32 v2, s0 :: v_dual_mov_b32 v3, s1
	s_sleep 1
	global_store_b64 v[6:7], v[4:5], off
	global_wb scope:SCOPE_SYS
	s_wait_storecnt 0x0
	global_atomic_cmpswap_b64 v[2:3], v8, v[2:5], s[2:3] offset:24 th:TH_ATOMIC_RETURN scope:SCOPE_SYS
	s_wait_loadcnt 0x0
	v_cmp_eq_u64_e32 vcc_lo, v[2:3], v[4:5]
	v_dual_mov_b32 v5, v3 :: v_dual_mov_b32 v4, v2
	s_wait_alu 0xfffe
	s_or_b32 s4, vcc_lo, s4
	s_wait_alu 0xfffe
	s_and_not1_b32 exec_lo, exec_lo, s4
	s_cbranch_execnz .LBB0_112
.LBB0_113:
	s_wait_alu 0xfffe
	s_or_b32 exec_lo, exec_lo, s7
	s_delay_alu instid0(SALU_CYCLE_1)
	s_or_b32 exec_lo, exec_lo, s6
	s_wait_loadcnt 0x0
	s_wait_kmcnt 0x0
	s_setpc_b64 s[30:31]
.Lfunc_end0:
	.size	__ockl_printf_append_string_n, .Lfunc_end0-__ockl_printf_append_string_n
                                        ; -- End function
	.set .L__ockl_printf_append_string_n.num_vgpr, 37
	.set .L__ockl_printf_append_string_n.num_agpr, 0
	.set .L__ockl_printf_append_string_n.numbered_sgpr, 32
	.set .L__ockl_printf_append_string_n.num_named_barrier, 0
	.set .L__ockl_printf_append_string_n.private_seg_size, 0
	.set .L__ockl_printf_append_string_n.uses_vcc, 1
	.set .L__ockl_printf_append_string_n.uses_flat_scratch, 0
	.set .L__ockl_printf_append_string_n.has_dyn_sized_stack, 0
	.set .L__ockl_printf_append_string_n.has_recursion, 0
	.set .L__ockl_printf_append_string_n.has_indirect_call, 0
	.section	.AMDGPU.csdata,"",@progbits
; Function info:
; codeLenInByte = 5260
; TotalNumSgprs: 34
; NumVgprs: 37
; ScratchSize: 0
; MemoryBound: 0
	.text
	.p2align	2                               ; -- Begin function __ockl_printf_append_args
	.type	__ockl_printf_append_args,@function
__ockl_printf_append_args:              ; @__ockl_printf_append_args
; %bb.0:
	s_wait_loadcnt_dscnt 0x0
	s_wait_expcnt 0x0
	s_wait_samplecnt 0x0
	s_wait_bvhcnt 0x0
	s_wait_kmcnt 0x0
	s_load_b64 s[2:3], s[8:9], 0x50
	v_mbcnt_lo_u32_b32 v17, -1, 0
	v_mov_b32_e32 v11, 0
	v_mov_b32_e32 v12, 0
	s_delay_alu instid0(VALU_DEP_3) | instskip(SKIP_1) | instid1(VALU_DEP_1)
	v_readfirstlane_b32 s0, v17
	s_wait_alu 0xf1ff
	v_cmp_eq_u32_e64 s0, s0, v17
	s_and_saveexec_b32 s1, s0
	s_cbranch_execz .LBB1_6
; %bb.1:
	v_mov_b32_e32 v5, 0
	s_mov_b32 s4, exec_lo
	s_wait_kmcnt 0x0
	global_load_b64 v[8:9], v5, s[2:3] offset:24 scope:SCOPE_SYS
	s_wait_loadcnt 0x0
	global_inv scope:SCOPE_SYS
	s_clause 0x1
	global_load_b64 v[6:7], v5, s[2:3] offset:40
	global_load_b64 v[10:11], v5, s[2:3]
	s_wait_loadcnt 0x1
	v_and_b32_e32 v7, v7, v9
	v_and_b32_e32 v6, v6, v8
	s_delay_alu instid0(VALU_DEP_2) | instskip(NEXT) | instid1(VALU_DEP_2)
	v_mul_lo_u32 v7, 24, v7
	v_mul_lo_u32 v12, 0, v6
	v_mul_hi_u32 v13, 24, v6
	v_mul_lo_u32 v6, 24, v6
	s_delay_alu instid0(VALU_DEP_3) | instskip(SKIP_1) | instid1(VALU_DEP_2)
	v_add_nc_u32_e32 v7, v7, v12
	s_wait_loadcnt 0x0
	v_add_co_u32 v6, vcc_lo, v10, v6
	s_delay_alu instid0(VALU_DEP_2) | instskip(SKIP_1) | instid1(VALU_DEP_1)
	v_add_nc_u32_e32 v7, v7, v13
	s_wait_alu 0xfffd
	v_add_co_ci_u32_e64 v7, null, v11, v7, vcc_lo
	global_load_b64 v[6:7], v[6:7], off scope:SCOPE_SYS
	s_wait_loadcnt 0x0
	global_atomic_cmpswap_b64 v[11:12], v5, v[6:9], s[2:3] offset:24 th:TH_ATOMIC_RETURN scope:SCOPE_SYS
	s_wait_loadcnt 0x0
	global_inv scope:SCOPE_SYS
	v_cmpx_ne_u64_e64 v[11:12], v[8:9]
	s_cbranch_execz .LBB1_5
; %bb.2:
	s_mov_b32 s5, 0
.LBB1_3:                                ; =>This Inner Loop Header: Depth=1
	s_sleep 1
	s_clause 0x1
	global_load_b64 v[6:7], v5, s[2:3] offset:40
	global_load_b64 v[13:14], v5, s[2:3]
	v_dual_mov_b32 v8, v11 :: v_dual_mov_b32 v9, v12
	s_wait_loadcnt 0x1
	s_delay_alu instid0(VALU_DEP_1) | instskip(NEXT) | instid1(VALU_DEP_2)
	v_and_b32_e32 v6, v6, v8
	v_and_b32_e32 v7, v7, v9
	s_wait_loadcnt 0x0
	s_delay_alu instid0(VALU_DEP_2) | instskip(NEXT) | instid1(VALU_DEP_1)
	v_mad_co_u64_u32 v[10:11], null, v6, 24, v[13:14]
	v_mov_b32_e32 v6, v11
	s_delay_alu instid0(VALU_DEP_1) | instskip(NEXT) | instid1(VALU_DEP_1)
	v_mad_co_u64_u32 v[6:7], null, v7, 24, v[6:7]
	v_mov_b32_e32 v11, v6
	global_load_b64 v[6:7], v[10:11], off scope:SCOPE_SYS
	s_wait_loadcnt 0x0
	global_atomic_cmpswap_b64 v[11:12], v5, v[6:9], s[2:3] offset:24 th:TH_ATOMIC_RETURN scope:SCOPE_SYS
	s_wait_loadcnt 0x0
	global_inv scope:SCOPE_SYS
	v_cmp_eq_u64_e32 vcc_lo, v[11:12], v[8:9]
	s_wait_alu 0xfffe
	s_or_b32 s5, vcc_lo, s5
	s_wait_alu 0xfffe
	s_and_not1_b32 exec_lo, exec_lo, s5
	s_cbranch_execnz .LBB1_3
; %bb.4:
	s_or_b32 exec_lo, exec_lo, s5
.LBB1_5:
	s_wait_alu 0xfffe
	s_or_b32 exec_lo, exec_lo, s4
.LBB1_6:
	s_wait_alu 0xfffe
	s_or_b32 exec_lo, exec_lo, s1
	v_readfirstlane_b32 s4, v11
	v_mov_b32_e32 v10, 0
	v_readfirstlane_b32 s5, v12
	s_mov_b32 s1, exec_lo
	s_wait_kmcnt 0x0
	s_clause 0x1
	global_load_b64 v[13:14], v10, s[2:3] offset:40
	global_load_b128 v[5:8], v10, s[2:3]
	s_wait_loadcnt 0x1
	s_wait_alu 0xf1ff
	v_and_b32_e32 v16, s5, v14
	v_and_b32_e32 v15, s4, v13
	s_delay_alu instid0(VALU_DEP_2) | instskip(NEXT) | instid1(VALU_DEP_2)
	v_mul_lo_u32 v9, 24, v16
	v_mul_lo_u32 v11, 0, v15
	v_mul_hi_u32 v12, 24, v15
	v_mul_lo_u32 v13, 24, v15
	s_delay_alu instid0(VALU_DEP_3) | instskip(SKIP_1) | instid1(VALU_DEP_2)
	v_add_nc_u32_e32 v9, v9, v11
	s_wait_loadcnt 0x0
	v_add_co_u32 v13, vcc_lo, v5, v13
	s_delay_alu instid0(VALU_DEP_2) | instskip(SKIP_1) | instid1(VALU_DEP_1)
	v_add_nc_u32_e32 v9, v9, v12
	s_wait_alu 0xfffd
	v_add_co_ci_u32_e64 v14, null, v6, v9, vcc_lo
	s_and_saveexec_b32 s6, s0
	s_cbranch_execz .LBB1_8
; %bb.7:
	s_wait_alu 0xfffe
	v_dual_mov_b32 v9, s1 :: v_dual_mov_b32 v12, 1
	v_mov_b32_e32 v11, 2
	global_store_b128 v[13:14], v[9:12], off offset:8
.LBB1_8:
	s_wait_alu 0xfffe
	s_or_b32 exec_lo, exec_lo, s6
	v_lshlrev_b64_e32 v[9:10], 12, v[15:16]
	v_or_b32_e32 v11, 2, v0
	v_cmp_eq_u32_e32 vcc_lo, 0, v4
	s_mov_b32 s8, 0
	s_wait_alu 0xfffe
	s_mov_b32 s9, s8
	s_mov_b32 s10, s8
	s_wait_alu 0xfffd
	v_dual_cndmask_b32 v0, v11, v0 :: v_dual_lshlrev_b32 v11, 6, v17
	v_add_co_u32 v4, vcc_lo, v7, v9
	s_wait_alu 0xfffd
	v_add_co_ci_u32_e64 v7, null, v8, v10, vcc_lo
	s_mov_b32 s11, s8
	v_and_or_b32 v0, 0xffffff1f, v0, 32
	v_readfirstlane_b32 s6, v4
	v_readfirstlane_b32 s7, v7
	s_wait_alu 0xfffe
	v_dual_mov_b32 v7, s8 :: v_dual_mov_b32 v8, s9
	v_dual_mov_b32 v9, s10 :: v_dual_mov_b32 v10, s11
	s_clause 0x3
	global_store_b128 v11, v[0:3], s[6:7]
	global_store_b128 v11, v[7:10], s[6:7] offset:16
	global_store_b128 v11, v[7:10], s[6:7] offset:32
	;; [unrolled: 1-line block ×3, first 2 shown]
	s_and_saveexec_b32 s1, s0
	s_cbranch_execz .LBB1_16
; %bb.9:
	v_mov_b32_e32 v7, 0
	v_mov_b32_e32 v9, s5
	s_mov_b32 s6, exec_lo
	s_clause 0x1
	global_load_b64 v[10:11], v7, s[2:3] offset:32 scope:SCOPE_SYS
	global_load_b64 v[0:1], v7, s[2:3] offset:40
	s_wait_loadcnt 0x0
	v_dual_mov_b32 v8, s4 :: v_dual_and_b32 v1, s5, v1
	v_and_b32_e32 v0, s4, v0
	s_delay_alu instid0(VALU_DEP_2) | instskip(NEXT) | instid1(VALU_DEP_2)
	v_mul_lo_u32 v1, 24, v1
	v_mul_lo_u32 v2, 0, v0
	v_mul_hi_u32 v3, 24, v0
	v_mul_lo_u32 v0, 24, v0
	s_delay_alu instid0(VALU_DEP_3) | instskip(NEXT) | instid1(VALU_DEP_2)
	v_add_nc_u32_e32 v1, v1, v2
	v_add_co_u32 v4, vcc_lo, v5, v0
	s_delay_alu instid0(VALU_DEP_2) | instskip(SKIP_1) | instid1(VALU_DEP_1)
	v_add_nc_u32_e32 v1, v1, v3
	s_wait_alu 0xfffd
	v_add_co_ci_u32_e64 v5, null, v6, v1, vcc_lo
	global_store_b64 v[4:5], v[10:11], off
	global_wb scope:SCOPE_SYS
	s_wait_storecnt 0x0
	global_atomic_cmpswap_b64 v[2:3], v7, v[8:11], s[2:3] offset:32 th:TH_ATOMIC_RETURN scope:SCOPE_SYS
	s_wait_loadcnt 0x0
	v_cmpx_ne_u64_e64 v[2:3], v[10:11]
	s_cbranch_execz .LBB1_12
; %bb.10:
	s_mov_b32 s7, 0
.LBB1_11:                               ; =>This Inner Loop Header: Depth=1
	v_dual_mov_b32 v0, s4 :: v_dual_mov_b32 v1, s5
	s_sleep 1
	global_store_b64 v[4:5], v[2:3], off
	global_wb scope:SCOPE_SYS
	s_wait_storecnt 0x0
	global_atomic_cmpswap_b64 v[0:1], v7, v[0:3], s[2:3] offset:32 th:TH_ATOMIC_RETURN scope:SCOPE_SYS
	s_wait_loadcnt 0x0
	v_cmp_eq_u64_e32 vcc_lo, v[0:1], v[2:3]
	v_dual_mov_b32 v3, v1 :: v_dual_mov_b32 v2, v0
	s_wait_alu 0xfffe
	s_or_b32 s7, vcc_lo, s7
	s_wait_alu 0xfffe
	s_and_not1_b32 exec_lo, exec_lo, s7
	s_cbranch_execnz .LBB1_11
.LBB1_12:
	s_wait_alu 0xfffe
	s_or_b32 exec_lo, exec_lo, s6
	v_mov_b32_e32 v3, 0
	s_mov_b32 s7, exec_lo
	s_mov_b32 s6, exec_lo
	s_wait_alu 0xfffe
	v_mbcnt_lo_u32_b32 v2, s7, 0
	global_load_b64 v[0:1], v3, s[2:3] offset:16
	v_cmpx_eq_u32_e32 0, v2
	s_cbranch_execz .LBB1_14
; %bb.13:
	s_bcnt1_i32_b32 s7, s7
	s_wait_alu 0xfffe
	v_mov_b32_e32 v2, s7
	global_wb scope:SCOPE_SYS
	s_wait_loadcnt 0x0
	s_wait_storecnt 0x0
	global_atomic_add_u64 v[0:1], v[2:3], off offset:8 scope:SCOPE_SYS
.LBB1_14:
	s_or_b32 exec_lo, exec_lo, s6
	s_wait_loadcnt 0x0
	global_load_b64 v[2:3], v[0:1], off offset:16
	s_wait_loadcnt 0x0
	v_cmp_eq_u64_e32 vcc_lo, 0, v[2:3]
	s_cbranch_vccnz .LBB1_16
; %bb.15:
	global_load_b32 v0, v[0:1], off offset:24
	v_mov_b32_e32 v1, 0
	s_wait_loadcnt 0x0
	v_readfirstlane_b32 s6, v0
	global_wb scope:SCOPE_SYS
	s_wait_storecnt 0x0
	global_store_b64 v[2:3], v[0:1], off scope:SCOPE_SYS
	s_and_b32 m0, s6, 0xffffff
	s_sendmsg sendmsg(MSG_INTERRUPT)
.LBB1_16:
	s_wait_alu 0xfffe
	s_or_b32 exec_lo, exec_lo, s1
	s_branch .LBB1_20
.LBB1_17:                               ;   in Loop: Header=BB1_20 Depth=1
	s_wait_alu 0xfffe
	s_or_b32 exec_lo, exec_lo, s1
	s_delay_alu instid0(VALU_DEP_1)
	v_readfirstlane_b32 s1, v0
	s_cmp_eq_u32 s1, 0
	s_cbranch_scc1 .LBB1_19
; %bb.18:                               ;   in Loop: Header=BB1_20 Depth=1
	s_sleep 1
	s_cbranch_execnz .LBB1_20
	s_branch .LBB1_22
.LBB1_19:
	s_branch .LBB1_22
.LBB1_20:                               ; =>This Inner Loop Header: Depth=1
	v_mov_b32_e32 v0, 1
	s_and_saveexec_b32 s1, s0
	s_cbranch_execz .LBB1_17
; %bb.21:                               ;   in Loop: Header=BB1_20 Depth=1
	global_load_b32 v0, v[13:14], off offset:20 scope:SCOPE_SYS
	s_wait_loadcnt 0x0
	global_inv scope:SCOPE_SYS
	v_and_b32_e32 v0, 1, v0
	s_branch .LBB1_17
.LBB1_22:
	s_and_saveexec_b32 s6, s0
	s_cbranch_execz .LBB1_26
; %bb.23:
	v_mov_b32_e32 v6, 0
	s_clause 0x2
	global_load_b64 v[0:1], v6, s[2:3] offset:40
	global_load_b64 v[9:10], v6, s[2:3] offset:24 scope:SCOPE_SYS
	global_load_b64 v[2:3], v6, s[2:3]
	s_wait_loadcnt 0x2
	v_readfirstlane_b32 s8, v0
	v_readfirstlane_b32 s9, v1
	s_add_nc_u64 s[0:1], s[8:9], 1
	s_wait_alu 0xfffe
	s_add_nc_u64 s[4:5], s[0:1], s[4:5]
	s_wait_alu 0xfffe
	s_cmp_eq_u64 s[4:5], 0
	s_cselect_b32 s1, s1, s5
	s_cselect_b32 s0, s0, s4
	s_wait_alu 0xfffe
	v_mov_b32_e32 v8, s1
	s_and_b64 s[4:5], s[0:1], s[8:9]
	v_mov_b32_e32 v7, s0
	s_wait_alu 0xfffe
	s_mul_u64 s[4:5], s[4:5], 24
	s_wait_loadcnt 0x0
	s_wait_alu 0xfffe
	v_add_co_u32 v4, vcc_lo, v2, s4
	s_wait_alu 0xfffd
	v_add_co_ci_u32_e64 v5, null, s5, v3, vcc_lo
	global_store_b64 v[4:5], v[9:10], off
	global_wb scope:SCOPE_SYS
	s_wait_storecnt 0x0
	global_atomic_cmpswap_b64 v[2:3], v6, v[7:10], s[2:3] offset:24 th:TH_ATOMIC_RETURN scope:SCOPE_SYS
	s_wait_loadcnt 0x0
	v_cmp_ne_u64_e32 vcc_lo, v[2:3], v[9:10]
	s_and_b32 exec_lo, exec_lo, vcc_lo
	s_cbranch_execz .LBB1_26
; %bb.24:
	s_mov_b32 s4, 0
.LBB1_25:                               ; =>This Inner Loop Header: Depth=1
	v_dual_mov_b32 v0, s0 :: v_dual_mov_b32 v1, s1
	s_sleep 1
	global_store_b64 v[4:5], v[2:3], off
	global_wb scope:SCOPE_SYS
	s_wait_storecnt 0x0
	global_atomic_cmpswap_b64 v[0:1], v6, v[0:3], s[2:3] offset:24 th:TH_ATOMIC_RETURN scope:SCOPE_SYS
	s_wait_loadcnt 0x0
	v_cmp_eq_u64_e32 vcc_lo, v[0:1], v[2:3]
	v_dual_mov_b32 v3, v1 :: v_dual_mov_b32 v2, v0
	s_wait_alu 0xfffe
	s_or_b32 s4, vcc_lo, s4
	s_wait_alu 0xfffe
	s_and_not1_b32 exec_lo, exec_lo, s4
	s_cbranch_execnz .LBB1_25
.LBB1_26:
	s_wait_alu 0xfffe
	s_or_b32 exec_lo, exec_lo, s6
	s_wait_loadcnt 0x0
	s_wait_kmcnt 0x0
	s_setpc_b64 s[30:31]
.Lfunc_end1:
	.size	__ockl_printf_append_args, .Lfunc_end1-__ockl_printf_append_args
                                        ; -- End function
	.set .L__ockl_printf_append_args.num_vgpr, 18
	.set .L__ockl_printf_append_args.num_agpr, 0
	.set .L__ockl_printf_append_args.numbered_sgpr, 32
	.set .L__ockl_printf_append_args.num_named_barrier, 0
	.set .L__ockl_printf_append_args.private_seg_size, 0
	.set .L__ockl_printf_append_args.uses_vcc, 1
	.set .L__ockl_printf_append_args.uses_flat_scratch, 0
	.set .L__ockl_printf_append_args.has_dyn_sized_stack, 0
	.set .L__ockl_printf_append_args.has_recursion, 0
	.set .L__ockl_printf_append_args.has_indirect_call, 0
	.section	.AMDGPU.csdata,"",@progbits
; Function info:
; codeLenInByte = 1696
; TotalNumSgprs: 34
; NumVgprs: 18
; ScratchSize: 0
; MemoryBound: 0
	.text
	.p2align	2                               ; -- Begin function _ZL14no_device_codePKciS0_iS0_
	.type	_ZL14no_device_codePKciS0_iS0_,@function
_ZL14no_device_codePKciS0_iS0_:         ; @_ZL14no_device_codePKciS0_iS0_
; %bb.0:
	s_wait_loadcnt_dscnt 0x0
	s_wait_expcnt 0x0
	s_wait_samplecnt 0x0
	s_wait_bvhcnt 0x0
	s_wait_kmcnt 0x0
	s_mov_b32 s20, s33
	s_mov_b32 s33, s32
	s_xor_saveexec_b32 s0, -1
	scratch_store_b32 off, v37, s33         ; 4-byte Folded Spill
	s_wait_alu 0xfffe
	s_mov_b32 exec_lo, s0
	v_writelane_b32 v37, s30, 0
	s_add_co_i32 s32, s32, 16
	v_writelane_b32 v37, s31, 1
	s_load_b64 s[2:3], s[8:9], 0x50
	v_dual_mov_b32 v3, v2 :: v_dual_mov_b32 v2, v1
	v_mbcnt_lo_u32_b32 v1, -1, 0
	v_mov_b32_e32 v10, 0
	v_mov_b32_e32 v11, 0
	s_delay_alu instid0(VALU_DEP_3) | instskip(SKIP_1) | instid1(VALU_DEP_1)
	v_readfirstlane_b32 s0, v1
	s_wait_alu 0xf1ff
	v_cmp_eq_u32_e64 s0, s0, v1
	s_and_saveexec_b32 s1, s0
	s_cbranch_execz .LBB2_6
; %bb.1:
	v_mov_b32_e32 v4, 0
	s_mov_b32 s4, exec_lo
	s_wait_kmcnt 0x0
	global_load_b64 v[7:8], v4, s[2:3] offset:24 scope:SCOPE_SYS
	s_wait_loadcnt 0x0
	global_inv scope:SCOPE_SYS
	s_clause 0x1
	global_load_b64 v[5:6], v4, s[2:3] offset:40
	global_load_b64 v[9:10], v4, s[2:3]
	s_wait_loadcnt 0x1
	v_and_b32_e32 v6, v6, v8
	v_and_b32_e32 v5, v5, v7
	s_delay_alu instid0(VALU_DEP_2) | instskip(NEXT) | instid1(VALU_DEP_2)
	v_mul_lo_u32 v6, 24, v6
	v_mul_lo_u32 v11, 0, v5
	v_mul_hi_u32 v12, 24, v5
	v_mul_lo_u32 v5, 24, v5
	s_delay_alu instid0(VALU_DEP_3) | instskip(SKIP_1) | instid1(VALU_DEP_2)
	v_add_nc_u32_e32 v6, v6, v11
	s_wait_loadcnt 0x0
	v_add_co_u32 v5, vcc_lo, v9, v5
	s_delay_alu instid0(VALU_DEP_2) | instskip(SKIP_1) | instid1(VALU_DEP_1)
	v_add_nc_u32_e32 v6, v6, v12
	s_wait_alu 0xfffd
	v_add_co_ci_u32_e64 v6, null, v10, v6, vcc_lo
	global_load_b64 v[5:6], v[5:6], off scope:SCOPE_SYS
	s_wait_loadcnt 0x0
	global_atomic_cmpswap_b64 v[10:11], v4, v[5:8], s[2:3] offset:24 th:TH_ATOMIC_RETURN scope:SCOPE_SYS
	s_wait_loadcnt 0x0
	global_inv scope:SCOPE_SYS
	v_cmpx_ne_u64_e64 v[10:11], v[7:8]
	s_cbranch_execz .LBB2_5
; %bb.2:
	s_mov_b32 s5, 0
.LBB2_3:                                ; =>This Inner Loop Header: Depth=1
	s_sleep 1
	s_clause 0x1
	global_load_b64 v[5:6], v4, s[2:3] offset:40
	global_load_b64 v[12:13], v4, s[2:3]
	v_dual_mov_b32 v7, v10 :: v_dual_mov_b32 v8, v11
	s_wait_loadcnt 0x1
	s_delay_alu instid0(VALU_DEP_1) | instskip(NEXT) | instid1(VALU_DEP_2)
	v_and_b32_e32 v5, v5, v7
	v_and_b32_e32 v6, v6, v8
	s_wait_loadcnt 0x0
	s_delay_alu instid0(VALU_DEP_2) | instskip(NEXT) | instid1(VALU_DEP_1)
	v_mad_co_u64_u32 v[9:10], null, v5, 24, v[12:13]
	v_mov_b32_e32 v5, v10
	s_delay_alu instid0(VALU_DEP_1) | instskip(NEXT) | instid1(VALU_DEP_1)
	v_mad_co_u64_u32 v[5:6], null, v6, 24, v[5:6]
	v_mov_b32_e32 v10, v5
	global_load_b64 v[5:6], v[9:10], off scope:SCOPE_SYS
	s_wait_loadcnt 0x0
	global_atomic_cmpswap_b64 v[10:11], v4, v[5:8], s[2:3] offset:24 th:TH_ATOMIC_RETURN scope:SCOPE_SYS
	s_wait_loadcnt 0x0
	global_inv scope:SCOPE_SYS
	v_cmp_eq_u64_e32 vcc_lo, v[10:11], v[7:8]
	s_wait_alu 0xfffe
	s_or_b32 s5, vcc_lo, s5
	s_wait_alu 0xfffe
	s_and_not1_b32 exec_lo, exec_lo, s5
	s_cbranch_execnz .LBB2_3
; %bb.4:
	s_or_b32 exec_lo, exec_lo, s5
.LBB2_5:
	s_wait_alu 0xfffe
	s_or_b32 exec_lo, exec_lo, s4
.LBB2_6:
	s_wait_alu 0xfffe
	s_or_b32 exec_lo, exec_lo, s1
	v_readfirstlane_b32 s4, v10
	v_mov_b32_e32 v9, 0
	v_readfirstlane_b32 s5, v11
	s_mov_b32 s1, exec_lo
	s_wait_kmcnt 0x0
	s_clause 0x1
	global_load_b64 v[12:13], v9, s[2:3] offset:40
	global_load_b128 v[4:7], v9, s[2:3]
	s_wait_loadcnt 0x1
	s_wait_alu 0xf1ff
	v_and_b32_e32 v15, s5, v13
	v_and_b32_e32 v14, s4, v12
	s_delay_alu instid0(VALU_DEP_2) | instskip(NEXT) | instid1(VALU_DEP_2)
	v_mul_lo_u32 v8, 24, v15
	v_mul_lo_u32 v10, 0, v14
	v_mul_hi_u32 v11, 24, v14
	v_mul_lo_u32 v12, 24, v14
	s_delay_alu instid0(VALU_DEP_3) | instskip(SKIP_1) | instid1(VALU_DEP_2)
	v_add_nc_u32_e32 v8, v8, v10
	s_wait_loadcnt 0x0
	v_add_co_u32 v12, vcc_lo, v4, v12
	s_delay_alu instid0(VALU_DEP_2) | instskip(SKIP_1) | instid1(VALU_DEP_1)
	v_add_nc_u32_e32 v8, v8, v11
	s_wait_alu 0xfffd
	v_add_co_ci_u32_e64 v13, null, v5, v8, vcc_lo
	s_and_saveexec_b32 s6, s0
	s_cbranch_execz .LBB2_8
; %bb.7:
	s_wait_alu 0xfffe
	v_dual_mov_b32 v8, s1 :: v_dual_mov_b32 v11, 1
	v_mov_b32_e32 v10, 2
	global_store_b128 v[12:13], v[8:11], off offset:8
.LBB2_8:
	s_wait_alu 0xfffe
	s_or_b32 exec_lo, exec_lo, s6
	v_lshlrev_b64_e32 v[14:15], 12, v[14:15]
	v_dual_mov_b32 v11, v9 :: v_dual_lshlrev_b32 v34, 6, v1
	s_mov_b32 s12, 0
	s_wait_alu 0xfffe
	s_mov_b32 s15, s12
	s_delay_alu instid0(VALU_DEP_2)
	v_add_co_u32 v6, vcc_lo, v6, v14
	s_wait_alu 0xfffd
	v_add_co_ci_u32_e64 v7, null, v7, v15, vcc_lo
	s_mov_b32 s13, s12
	v_add_co_u32 v14, vcc_lo, v6, v34
	s_mov_b32 s14, s12
	s_wait_alu 0xfffe
	v_dual_mov_b32 v8, 33 :: v_dual_mov_b32 v19, s15
	v_dual_mov_b32 v10, v9 :: v_dual_mov_b32 v17, s13
	v_readfirstlane_b32 s6, v6
	v_readfirstlane_b32 s7, v7
	s_wait_alu 0xfffd
	v_add_co_ci_u32_e64 v15, null, 0, v7, vcc_lo
	v_mov_b32_e32 v18, s14
	v_mov_b32_e32 v16, s12
	s_clause 0x3
	global_store_b128 v34, v[8:11], s[6:7]
	global_store_b128 v34, v[16:19], s[6:7] offset:16
	global_store_b128 v34, v[16:19], s[6:7] offset:32
	global_store_b128 v34, v[16:19], s[6:7] offset:48
	s_and_saveexec_b32 s1, s0
	s_cbranch_execz .LBB2_16
; %bb.9:
	v_mov_b32_e32 v10, 0
	s_mov_b32 s6, exec_lo
	s_clause 0x1
	global_load_b64 v[18:19], v10, s[2:3] offset:32 scope:SCOPE_SYS
	global_load_b64 v[6:7], v10, s[2:3] offset:40
	v_dual_mov_b32 v17, s5 :: v_dual_mov_b32 v16, s4
	s_wait_loadcnt 0x0
	v_and_b32_e32 v7, s5, v7
	v_and_b32_e32 v6, s4, v6
	s_delay_alu instid0(VALU_DEP_2) | instskip(NEXT) | instid1(VALU_DEP_2)
	v_mul_lo_u32 v7, 24, v7
	v_mul_lo_u32 v8, 0, v6
	v_mul_hi_u32 v9, 24, v6
	v_mul_lo_u32 v6, 24, v6
	s_delay_alu instid0(VALU_DEP_3) | instskip(NEXT) | instid1(VALU_DEP_2)
	v_add_nc_u32_e32 v7, v7, v8
	v_add_co_u32 v8, vcc_lo, v4, v6
	s_delay_alu instid0(VALU_DEP_2) | instskip(SKIP_1) | instid1(VALU_DEP_1)
	v_add_nc_u32_e32 v7, v7, v9
	s_wait_alu 0xfffd
	v_add_co_ci_u32_e64 v9, null, v5, v7, vcc_lo
	global_store_b64 v[8:9], v[18:19], off
	global_wb scope:SCOPE_SYS
	s_wait_storecnt 0x0
	global_atomic_cmpswap_b64 v[6:7], v10, v[16:19], s[2:3] offset:32 th:TH_ATOMIC_RETURN scope:SCOPE_SYS
	s_wait_loadcnt 0x0
	v_cmpx_ne_u64_e64 v[6:7], v[18:19]
	s_cbranch_execz .LBB2_12
; %bb.10:
	s_mov_b32 s7, 0
.LBB2_11:                               ; =>This Inner Loop Header: Depth=1
	v_dual_mov_b32 v4, s4 :: v_dual_mov_b32 v5, s5
	s_sleep 1
	global_store_b64 v[8:9], v[6:7], off
	global_wb scope:SCOPE_SYS
	s_wait_storecnt 0x0
	global_atomic_cmpswap_b64 v[4:5], v10, v[4:7], s[2:3] offset:32 th:TH_ATOMIC_RETURN scope:SCOPE_SYS
	s_wait_loadcnt 0x0
	v_cmp_eq_u64_e32 vcc_lo, v[4:5], v[6:7]
	v_dual_mov_b32 v7, v5 :: v_dual_mov_b32 v6, v4
	s_wait_alu 0xfffe
	s_or_b32 s7, vcc_lo, s7
	s_wait_alu 0xfffe
	s_and_not1_b32 exec_lo, exec_lo, s7
	s_cbranch_execnz .LBB2_11
.LBB2_12:
	s_wait_alu 0xfffe
	s_or_b32 exec_lo, exec_lo, s6
	v_mov_b32_e32 v7, 0
	s_mov_b32 s7, exec_lo
	s_mov_b32 s6, exec_lo
	s_wait_alu 0xfffe
	v_mbcnt_lo_u32_b32 v6, s7, 0
	global_load_b64 v[4:5], v7, s[2:3] offset:16
	v_cmpx_eq_u32_e32 0, v6
	s_cbranch_execz .LBB2_14
; %bb.13:
	s_bcnt1_i32_b32 s7, s7
	s_wait_alu 0xfffe
	v_mov_b32_e32 v6, s7
	global_wb scope:SCOPE_SYS
	s_wait_loadcnt 0x0
	s_wait_storecnt 0x0
	global_atomic_add_u64 v[4:5], v[6:7], off offset:8 scope:SCOPE_SYS
.LBB2_14:
	s_or_b32 exec_lo, exec_lo, s6
	s_wait_loadcnt 0x0
	global_load_b64 v[6:7], v[4:5], off offset:16
	s_wait_loadcnt 0x0
	v_cmp_eq_u64_e32 vcc_lo, 0, v[6:7]
	s_cbranch_vccnz .LBB2_16
; %bb.15:
	global_load_b32 v4, v[4:5], off offset:24
	v_mov_b32_e32 v5, 0
	s_wait_loadcnt 0x0
	v_readfirstlane_b32 s6, v4
	global_wb scope:SCOPE_SYS
	s_wait_storecnt 0x0
	global_store_b64 v[6:7], v[4:5], off scope:SCOPE_SYS
	s_and_b32 m0, s6, 0xffffff
	s_sendmsg sendmsg(MSG_INTERRUPT)
.LBB2_16:
	s_wait_alu 0xfffe
	s_or_b32 exec_lo, exec_lo, s1
	s_branch .LBB2_20
.LBB2_17:                               ;   in Loop: Header=BB2_20 Depth=1
	s_wait_alu 0xfffe
	s_or_b32 exec_lo, exec_lo, s1
	s_delay_alu instid0(VALU_DEP_1)
	v_readfirstlane_b32 s1, v4
	s_cmp_eq_u32 s1, 0
	s_cbranch_scc1 .LBB2_19
; %bb.18:                               ;   in Loop: Header=BB2_20 Depth=1
	s_sleep 1
	s_cbranch_execnz .LBB2_20
	s_branch .LBB2_22
.LBB2_19:
	s_branch .LBB2_22
.LBB2_20:                               ; =>This Inner Loop Header: Depth=1
	v_mov_b32_e32 v4, 1
	s_and_saveexec_b32 s1, s0
	s_cbranch_execz .LBB2_17
; %bb.21:                               ;   in Loop: Header=BB2_20 Depth=1
	global_load_b32 v4, v[12:13], off offset:20 scope:SCOPE_SYS
	s_wait_loadcnt 0x0
	global_inv scope:SCOPE_SYS
	v_and_b32_e32 v4, 1, v4
	s_branch .LBB2_17
.LBB2_22:
	global_load_b64 v[8:9], v[14:15], off
	s_and_saveexec_b32 s6, s0
	s_cbranch_execz .LBB2_26
; %bb.23:
	v_mov_b32_e32 v12, 0
	s_clause 0x2
	global_load_b64 v[4:5], v12, s[2:3] offset:40
	global_load_b64 v[15:16], v12, s[2:3] offset:24 scope:SCOPE_SYS
	global_load_b64 v[6:7], v12, s[2:3]
	s_wait_loadcnt 0x2
	v_readfirstlane_b32 s10, v4
	v_readfirstlane_b32 s11, v5
	s_add_nc_u64 s[0:1], s[10:11], 1
	s_wait_alu 0xfffe
	s_add_nc_u64 s[4:5], s[0:1], s[4:5]
	s_wait_alu 0xfffe
	s_cmp_eq_u64 s[4:5], 0
	s_cselect_b32 s1, s1, s5
	s_cselect_b32 s0, s0, s4
	s_wait_alu 0xfffe
	v_mov_b32_e32 v14, s1
	s_and_b64 s[4:5], s[0:1], s[10:11]
	v_mov_b32_e32 v13, s0
	s_wait_alu 0xfffe
	s_mul_u64 s[4:5], s[4:5], 24
	s_wait_loadcnt 0x0
	s_wait_alu 0xfffe
	v_add_co_u32 v10, vcc_lo, v6, s4
	s_wait_alu 0xfffd
	v_add_co_ci_u32_e64 v11, null, s5, v7, vcc_lo
	global_store_b64 v[10:11], v[15:16], off
	global_wb scope:SCOPE_SYS
	s_wait_storecnt 0x0
	global_atomic_cmpswap_b64 v[6:7], v12, v[13:16], s[2:3] offset:24 th:TH_ATOMIC_RETURN scope:SCOPE_SYS
	s_wait_loadcnt 0x0
	v_cmp_ne_u64_e32 vcc_lo, v[6:7], v[15:16]
	s_and_b32 exec_lo, exec_lo, vcc_lo
	s_cbranch_execz .LBB2_26
; %bb.24:
	s_mov_b32 s4, 0
.LBB2_25:                               ; =>This Inner Loop Header: Depth=1
	v_dual_mov_b32 v4, s0 :: v_dual_mov_b32 v5, s1
	s_sleep 1
	global_store_b64 v[10:11], v[6:7], off
	global_wb scope:SCOPE_SYS
	s_wait_storecnt 0x0
	global_atomic_cmpswap_b64 v[4:5], v12, v[4:7], s[2:3] offset:24 th:TH_ATOMIC_RETURN scope:SCOPE_SYS
	s_wait_loadcnt 0x0
	v_cmp_eq_u64_e32 vcc_lo, v[4:5], v[6:7]
	v_dual_mov_b32 v7, v5 :: v_dual_mov_b32 v6, v4
	s_wait_alu 0xfffe
	s_or_b32 s4, vcc_lo, s4
	s_wait_alu 0xfffe
	s_and_not1_b32 exec_lo, exec_lo, s4
	s_cbranch_execnz .LBB2_25
.LBB2_26:
	s_wait_alu 0xfffe
	s_or_b32 exec_lo, exec_lo, s6
	s_getpc_b64 s[4:5]
	s_wait_alu 0xfffe
	s_sext_i32_i16 s5, s5
	s_add_co_u32 s4, s4, .str.2@rel32@lo+12
	s_wait_alu 0xfffe
	s_add_co_ci_u32 s5, s5, .str.2@rel32@hi+24
	s_wait_alu 0xfffe
	s_cmp_lg_u64 s[4:5], 0
	s_cbranch_scc0 .LBB2_104
; %bb.27:
	s_wait_loadcnt 0x0
	v_dual_mov_b32 v12, 2 :: v_dual_and_b32 v35, 2, v8
	v_dual_mov_b32 v11, 0 :: v_dual_and_b32 v4, -3, v8
	v_mov_b32_e32 v5, v9
	v_mov_b32_e32 v13, 1
	s_mov_b64 s[6:7], 0x4d
	s_branch .LBB2_29
.LBB2_28:                               ;   in Loop: Header=BB2_29 Depth=1
	s_wait_alu 0xfffe
	s_or_b32 exec_lo, exec_lo, s14
	s_sub_nc_u64 s[6:7], s[6:7], s[10:11]
	s_add_nc_u64 s[4:5], s[4:5], s[10:11]
	s_wait_alu 0xfffe
	s_cmp_lg_u64 s[6:7], 0
	s_cbranch_scc0 .LBB2_105
.LBB2_29:                               ; =>This Loop Header: Depth=1
                                        ;     Child Loop BB2_32 Depth 2
                                        ;     Child Loop BB2_39 Depth 2
	;; [unrolled: 1-line block ×11, first 2 shown]
	s_wait_alu 0xfffe
	v_cmp_lt_u64_e64 s0, s[6:7], 56
	v_cmp_gt_u64_e64 s1, s[6:7], 7
	s_and_b32 s0, s0, exec_lo
	s_cselect_b32 s11, s7, 0
	s_cselect_b32 s10, s6, 56
	s_and_b32 vcc_lo, exec_lo, s1
	s_wait_alu 0xfffe
	s_cbranch_vccnz .LBB2_34
; %bb.30:                               ;   in Loop: Header=BB2_29 Depth=1
	v_mov_b32_e32 v6, 0
	v_mov_b32_e32 v7, 0
	s_cmp_eq_u64 s[6:7], 0
	s_cbranch_scc1 .LBB2_33
; %bb.31:                               ;   in Loop: Header=BB2_29 Depth=1
	s_mov_b64 s[0:1], 0
	s_mov_b64 s[12:13], 0
.LBB2_32:                               ;   Parent Loop BB2_29 Depth=1
                                        ; =>  This Inner Loop Header: Depth=2
	s_wait_alu 0xfffe
	s_add_nc_u64 s[14:15], s[4:5], s[12:13]
	s_add_nc_u64 s[12:13], s[12:13], 1
	global_load_u8 v10, v11, s[14:15]
	s_wait_alu 0xfffe
	s_cmp_lg_u32 s10, s12
	s_wait_loadcnt 0x0
	v_and_b32_e32 v10, 0xffff, v10
	s_delay_alu instid0(VALU_DEP_1) | instskip(SKIP_1) | instid1(VALU_DEP_1)
	v_lshlrev_b64_e32 v[14:15], s0, v[10:11]
	s_add_nc_u64 s[0:1], s[0:1], 8
	v_or_b32_e32 v6, v14, v6
	s_delay_alu instid0(VALU_DEP_2)
	v_or_b32_e32 v7, v15, v7
	s_cbranch_scc1 .LBB2_32
.LBB2_33:                               ;   in Loop: Header=BB2_29 Depth=1
	s_mov_b64 s[12:13], s[4:5]
	s_mov_b32 s16, 0
	s_cbranch_execz .LBB2_35
	s_branch .LBB2_36
.LBB2_34:                               ;   in Loop: Header=BB2_29 Depth=1
	s_add_nc_u64 s[12:13], s[4:5], 8
	s_mov_b32 s16, 0
.LBB2_35:                               ;   in Loop: Header=BB2_29 Depth=1
	global_load_b64 v[6:7], v11, s[4:5]
	s_add_co_i32 s16, s10, -8
.LBB2_36:                               ;   in Loop: Header=BB2_29 Depth=1
	s_wait_alu 0xfffe
	s_cmp_gt_u32 s16, 7
	s_cbranch_scc1 .LBB2_41
; %bb.37:                               ;   in Loop: Header=BB2_29 Depth=1
	v_mov_b32_e32 v14, 0
	v_mov_b32_e32 v15, 0
	s_cmp_eq_u32 s16, 0
	s_cbranch_scc1 .LBB2_40
; %bb.38:                               ;   in Loop: Header=BB2_29 Depth=1
	s_mov_b64 s[0:1], 0
	s_mov_b64 s[14:15], 0
.LBB2_39:                               ;   Parent Loop BB2_29 Depth=1
                                        ; =>  This Inner Loop Header: Depth=2
	s_wait_alu 0xfffe
	s_add_nc_u64 s[18:19], s[12:13], s[14:15]
	s_add_nc_u64 s[14:15], s[14:15], 1
	global_load_u8 v10, v11, s[18:19]
	s_wait_alu 0xfffe
	s_cmp_lg_u32 s16, s14
	s_wait_loadcnt 0x0
	v_and_b32_e32 v10, 0xffff, v10
	s_delay_alu instid0(VALU_DEP_1) | instskip(SKIP_1) | instid1(VALU_DEP_1)
	v_lshlrev_b64_e32 v[16:17], s0, v[10:11]
	s_add_nc_u64 s[0:1], s[0:1], 8
	v_or_b32_e32 v14, v16, v14
	s_delay_alu instid0(VALU_DEP_2)
	v_or_b32_e32 v15, v17, v15
	s_cbranch_scc1 .LBB2_39
.LBB2_40:                               ;   in Loop: Header=BB2_29 Depth=1
	s_mov_b64 s[0:1], s[12:13]
	s_mov_b32 s17, 0
	s_cbranch_execz .LBB2_42
	s_branch .LBB2_43
.LBB2_41:                               ;   in Loop: Header=BB2_29 Depth=1
	s_add_nc_u64 s[0:1], s[12:13], 8
                                        ; implicit-def: $vgpr14_vgpr15
	s_mov_b32 s17, 0
.LBB2_42:                               ;   in Loop: Header=BB2_29 Depth=1
	global_load_b64 v[14:15], v11, s[12:13]
	s_add_co_i32 s17, s16, -8
.LBB2_43:                               ;   in Loop: Header=BB2_29 Depth=1
	s_wait_alu 0xfffe
	s_cmp_gt_u32 s17, 7
	s_cbranch_scc1 .LBB2_48
; %bb.44:                               ;   in Loop: Header=BB2_29 Depth=1
	v_mov_b32_e32 v16, 0
	v_mov_b32_e32 v17, 0
	s_cmp_eq_u32 s17, 0
	s_cbranch_scc1 .LBB2_47
; %bb.45:                               ;   in Loop: Header=BB2_29 Depth=1
	s_mov_b64 s[12:13], 0
	s_mov_b64 s[14:15], 0
.LBB2_46:                               ;   Parent Loop BB2_29 Depth=1
                                        ; =>  This Inner Loop Header: Depth=2
	s_wait_alu 0xfffe
	s_add_nc_u64 s[18:19], s[0:1], s[14:15]
	s_add_nc_u64 s[14:15], s[14:15], 1
	global_load_u8 v10, v11, s[18:19]
	s_wait_alu 0xfffe
	s_cmp_lg_u32 s17, s14
	s_wait_loadcnt 0x0
	v_and_b32_e32 v10, 0xffff, v10
	s_delay_alu instid0(VALU_DEP_1) | instskip(SKIP_1) | instid1(VALU_DEP_1)
	v_lshlrev_b64_e32 v[18:19], s12, v[10:11]
	s_add_nc_u64 s[12:13], s[12:13], 8
	v_or_b32_e32 v16, v18, v16
	s_delay_alu instid0(VALU_DEP_2)
	v_or_b32_e32 v17, v19, v17
	s_cbranch_scc1 .LBB2_46
.LBB2_47:                               ;   in Loop: Header=BB2_29 Depth=1
	s_mov_b64 s[12:13], s[0:1]
	s_mov_b32 s16, 0
	s_cbranch_execz .LBB2_49
	s_branch .LBB2_50
.LBB2_48:                               ;   in Loop: Header=BB2_29 Depth=1
	s_add_nc_u64 s[12:13], s[0:1], 8
	s_mov_b32 s16, 0
.LBB2_49:                               ;   in Loop: Header=BB2_29 Depth=1
	global_load_b64 v[16:17], v11, s[0:1]
	s_add_co_i32 s16, s17, -8
.LBB2_50:                               ;   in Loop: Header=BB2_29 Depth=1
	s_wait_alu 0xfffe
	s_cmp_gt_u32 s16, 7
	s_cbranch_scc1 .LBB2_55
; %bb.51:                               ;   in Loop: Header=BB2_29 Depth=1
	v_mov_b32_e32 v18, 0
	v_mov_b32_e32 v19, 0
	s_cmp_eq_u32 s16, 0
	s_cbranch_scc1 .LBB2_54
; %bb.52:                               ;   in Loop: Header=BB2_29 Depth=1
	s_mov_b64 s[0:1], 0
	s_mov_b64 s[14:15], 0
.LBB2_53:                               ;   Parent Loop BB2_29 Depth=1
                                        ; =>  This Inner Loop Header: Depth=2
	s_wait_alu 0xfffe
	s_add_nc_u64 s[18:19], s[12:13], s[14:15]
	s_add_nc_u64 s[14:15], s[14:15], 1
	global_load_u8 v10, v11, s[18:19]
	s_wait_alu 0xfffe
	s_cmp_lg_u32 s16, s14
	s_wait_loadcnt 0x0
	v_and_b32_e32 v10, 0xffff, v10
	s_delay_alu instid0(VALU_DEP_1) | instskip(SKIP_1) | instid1(VALU_DEP_1)
	v_lshlrev_b64_e32 v[20:21], s0, v[10:11]
	s_add_nc_u64 s[0:1], s[0:1], 8
	v_or_b32_e32 v18, v20, v18
	s_delay_alu instid0(VALU_DEP_2)
	v_or_b32_e32 v19, v21, v19
	s_cbranch_scc1 .LBB2_53
.LBB2_54:                               ;   in Loop: Header=BB2_29 Depth=1
	s_mov_b64 s[0:1], s[12:13]
	s_mov_b32 s17, 0
	s_cbranch_execz .LBB2_56
	s_branch .LBB2_57
.LBB2_55:                               ;   in Loop: Header=BB2_29 Depth=1
	s_add_nc_u64 s[0:1], s[12:13], 8
                                        ; implicit-def: $vgpr18_vgpr19
	s_mov_b32 s17, 0
.LBB2_56:                               ;   in Loop: Header=BB2_29 Depth=1
	global_load_b64 v[18:19], v11, s[12:13]
	s_add_co_i32 s17, s16, -8
.LBB2_57:                               ;   in Loop: Header=BB2_29 Depth=1
	s_wait_alu 0xfffe
	s_cmp_gt_u32 s17, 7
	s_cbranch_scc1 .LBB2_62
; %bb.58:                               ;   in Loop: Header=BB2_29 Depth=1
	v_mov_b32_e32 v20, 0
	v_mov_b32_e32 v21, 0
	s_cmp_eq_u32 s17, 0
	s_cbranch_scc1 .LBB2_61
; %bb.59:                               ;   in Loop: Header=BB2_29 Depth=1
	s_mov_b64 s[12:13], 0
	s_mov_b64 s[14:15], 0
.LBB2_60:                               ;   Parent Loop BB2_29 Depth=1
                                        ; =>  This Inner Loop Header: Depth=2
	s_wait_alu 0xfffe
	s_add_nc_u64 s[18:19], s[0:1], s[14:15]
	s_add_nc_u64 s[14:15], s[14:15], 1
	global_load_u8 v10, v11, s[18:19]
	s_wait_alu 0xfffe
	s_cmp_lg_u32 s17, s14
	s_wait_loadcnt 0x0
	v_and_b32_e32 v10, 0xffff, v10
	s_delay_alu instid0(VALU_DEP_1) | instskip(SKIP_1) | instid1(VALU_DEP_1)
	v_lshlrev_b64_e32 v[22:23], s12, v[10:11]
	s_add_nc_u64 s[12:13], s[12:13], 8
	v_or_b32_e32 v20, v22, v20
	s_delay_alu instid0(VALU_DEP_2)
	v_or_b32_e32 v21, v23, v21
	s_cbranch_scc1 .LBB2_60
.LBB2_61:                               ;   in Loop: Header=BB2_29 Depth=1
	s_mov_b64 s[12:13], s[0:1]
	s_mov_b32 s16, 0
	s_cbranch_execz .LBB2_63
	s_branch .LBB2_64
.LBB2_62:                               ;   in Loop: Header=BB2_29 Depth=1
	s_add_nc_u64 s[12:13], s[0:1], 8
	s_mov_b32 s16, 0
.LBB2_63:                               ;   in Loop: Header=BB2_29 Depth=1
	global_load_b64 v[20:21], v11, s[0:1]
	s_add_co_i32 s16, s17, -8
.LBB2_64:                               ;   in Loop: Header=BB2_29 Depth=1
	s_wait_alu 0xfffe
	s_cmp_gt_u32 s16, 7
	s_cbranch_scc1 .LBB2_69
; %bb.65:                               ;   in Loop: Header=BB2_29 Depth=1
	v_mov_b32_e32 v22, 0
	v_mov_b32_e32 v23, 0
	s_cmp_eq_u32 s16, 0
	s_cbranch_scc1 .LBB2_68
; %bb.66:                               ;   in Loop: Header=BB2_29 Depth=1
	s_mov_b64 s[0:1], 0
	s_mov_b64 s[14:15], 0
.LBB2_67:                               ;   Parent Loop BB2_29 Depth=1
                                        ; =>  This Inner Loop Header: Depth=2
	s_wait_alu 0xfffe
	s_add_nc_u64 s[18:19], s[12:13], s[14:15]
	s_add_nc_u64 s[14:15], s[14:15], 1
	global_load_u8 v10, v11, s[18:19]
	s_wait_alu 0xfffe
	s_cmp_lg_u32 s16, s14
	s_wait_loadcnt 0x0
	v_and_b32_e32 v10, 0xffff, v10
	s_delay_alu instid0(VALU_DEP_1) | instskip(SKIP_1) | instid1(VALU_DEP_1)
	v_lshlrev_b64_e32 v[24:25], s0, v[10:11]
	s_add_nc_u64 s[0:1], s[0:1], 8
	v_or_b32_e32 v22, v24, v22
	s_delay_alu instid0(VALU_DEP_2)
	v_or_b32_e32 v23, v25, v23
	s_cbranch_scc1 .LBB2_67
.LBB2_68:                               ;   in Loop: Header=BB2_29 Depth=1
	s_mov_b64 s[0:1], s[12:13]
	s_mov_b32 s17, 0
	s_cbranch_execz .LBB2_70
	s_branch .LBB2_71
.LBB2_69:                               ;   in Loop: Header=BB2_29 Depth=1
	s_add_nc_u64 s[0:1], s[12:13], 8
                                        ; implicit-def: $vgpr22_vgpr23
	s_mov_b32 s17, 0
.LBB2_70:                               ;   in Loop: Header=BB2_29 Depth=1
	global_load_b64 v[22:23], v11, s[12:13]
	s_add_co_i32 s17, s16, -8
.LBB2_71:                               ;   in Loop: Header=BB2_29 Depth=1
	s_wait_alu 0xfffe
	s_cmp_gt_u32 s17, 7
	s_cbranch_scc1 .LBB2_76
; %bb.72:                               ;   in Loop: Header=BB2_29 Depth=1
	v_mov_b32_e32 v24, 0
	v_mov_b32_e32 v25, 0
	s_cmp_eq_u32 s17, 0
	s_cbranch_scc1 .LBB2_75
; %bb.73:                               ;   in Loop: Header=BB2_29 Depth=1
	s_mov_b64 s[12:13], 0
	s_mov_b64 s[14:15], s[0:1]
.LBB2_74:                               ;   Parent Loop BB2_29 Depth=1
                                        ; =>  This Inner Loop Header: Depth=2
	global_load_u8 v10, v11, s[14:15]
	s_add_co_i32 s17, s17, -1
	s_wait_alu 0xfffe
	s_add_nc_u64 s[14:15], s[14:15], 1
	s_cmp_lg_u32 s17, 0
	s_wait_loadcnt 0x0
	v_and_b32_e32 v10, 0xffff, v10
	s_delay_alu instid0(VALU_DEP_1) | instskip(SKIP_1) | instid1(VALU_DEP_1)
	v_lshlrev_b64_e32 v[26:27], s12, v[10:11]
	s_add_nc_u64 s[12:13], s[12:13], 8
	v_or_b32_e32 v24, v26, v24
	s_delay_alu instid0(VALU_DEP_2)
	v_or_b32_e32 v25, v27, v25
	s_cbranch_scc1 .LBB2_74
.LBB2_75:                               ;   in Loop: Header=BB2_29 Depth=1
	s_cbranch_execz .LBB2_77
	s_branch .LBB2_78
.LBB2_76:                               ;   in Loop: Header=BB2_29 Depth=1
.LBB2_77:                               ;   in Loop: Header=BB2_29 Depth=1
	global_load_b64 v[24:25], v11, s[0:1]
.LBB2_78:                               ;   in Loop: Header=BB2_29 Depth=1
	v_readfirstlane_b32 s0, v1
	v_mov_b32_e32 v30, 0
	v_mov_b32_e32 v31, 0
	s_wait_alu 0xf1ff
	s_delay_alu instid0(VALU_DEP_3)
	v_cmp_eq_u32_e64 s0, s0, v1
	s_and_saveexec_b32 s1, s0
	s_cbranch_execz .LBB2_84
; %bb.79:                               ;   in Loop: Header=BB2_29 Depth=1
	global_load_b64 v[28:29], v11, s[2:3] offset:24 scope:SCOPE_SYS
	s_wait_loadcnt 0x0
	global_inv scope:SCOPE_SYS
	s_clause 0x1
	global_load_b64 v[26:27], v11, s[2:3] offset:40
	global_load_b64 v[30:31], v11, s[2:3]
	s_mov_b32 s12, exec_lo
	s_wait_loadcnt 0x1
	v_and_b32_e32 v10, v27, v29
	v_and_b32_e32 v26, v26, v28
	s_delay_alu instid0(VALU_DEP_2) | instskip(NEXT) | instid1(VALU_DEP_2)
	v_mul_lo_u32 v10, 24, v10
	v_mul_lo_u32 v27, 0, v26
	v_mul_hi_u32 v32, 24, v26
	v_mul_lo_u32 v26, 24, v26
	s_delay_alu instid0(VALU_DEP_3) | instskip(SKIP_1) | instid1(VALU_DEP_2)
	v_add_nc_u32_e32 v10, v10, v27
	s_wait_loadcnt 0x0
	v_add_co_u32 v26, vcc_lo, v30, v26
	s_delay_alu instid0(VALU_DEP_2) | instskip(SKIP_1) | instid1(VALU_DEP_1)
	v_add_nc_u32_e32 v10, v10, v32
	s_wait_alu 0xfffd
	v_add_co_ci_u32_e64 v27, null, v31, v10, vcc_lo
	global_load_b64 v[26:27], v[26:27], off scope:SCOPE_SYS
	s_wait_loadcnt 0x0
	global_atomic_cmpswap_b64 v[30:31], v11, v[26:29], s[2:3] offset:24 th:TH_ATOMIC_RETURN scope:SCOPE_SYS
	s_wait_loadcnt 0x0
	global_inv scope:SCOPE_SYS
	v_cmpx_ne_u64_e64 v[30:31], v[28:29]
	s_cbranch_execz .LBB2_83
; %bb.80:                               ;   in Loop: Header=BB2_29 Depth=1
	s_mov_b32 s13, 0
.LBB2_81:                               ;   Parent Loop BB2_29 Depth=1
                                        ; =>  This Inner Loop Header: Depth=2
	s_sleep 1
	s_clause 0x1
	global_load_b64 v[26:27], v11, s[2:3] offset:40
	global_load_b64 v[32:33], v11, s[2:3]
	v_dual_mov_b32 v28, v30 :: v_dual_mov_b32 v29, v31
	s_wait_loadcnt 0x1
	s_delay_alu instid0(VALU_DEP_1) | instskip(NEXT) | instid1(VALU_DEP_2)
	v_and_b32_e32 v10, v26, v28
	v_and_b32_e32 v26, v27, v29
	s_wait_loadcnt 0x0
	s_delay_alu instid0(VALU_DEP_2) | instskip(NEXT) | instid1(VALU_DEP_1)
	v_mad_co_u64_u32 v[30:31], null, v10, 24, v[32:33]
	v_mov_b32_e32 v10, v31
	s_delay_alu instid0(VALU_DEP_1) | instskip(NEXT) | instid1(VALU_DEP_1)
	v_mad_co_u64_u32 v[26:27], null, v26, 24, v[10:11]
	v_mov_b32_e32 v31, v26
	global_load_b64 v[26:27], v[30:31], off scope:SCOPE_SYS
	s_wait_loadcnt 0x0
	global_atomic_cmpswap_b64 v[30:31], v11, v[26:29], s[2:3] offset:24 th:TH_ATOMIC_RETURN scope:SCOPE_SYS
	s_wait_loadcnt 0x0
	global_inv scope:SCOPE_SYS
	v_cmp_eq_u64_e32 vcc_lo, v[30:31], v[28:29]
	s_wait_alu 0xfffe
	s_or_b32 s13, vcc_lo, s13
	s_wait_alu 0xfffe
	s_and_not1_b32 exec_lo, exec_lo, s13
	s_cbranch_execnz .LBB2_81
; %bb.82:                               ;   in Loop: Header=BB2_29 Depth=1
	s_or_b32 exec_lo, exec_lo, s13
.LBB2_83:                               ;   in Loop: Header=BB2_29 Depth=1
	s_wait_alu 0xfffe
	s_or_b32 exec_lo, exec_lo, s12
.LBB2_84:                               ;   in Loop: Header=BB2_29 Depth=1
	s_wait_alu 0xfffe
	s_or_b32 exec_lo, exec_lo, s1
	s_clause 0x1
	global_load_b64 v[32:33], v11, s[2:3] offset:40
	global_load_b128 v[26:29], v11, s[2:3]
	v_readfirstlane_b32 s13, v31
	v_readfirstlane_b32 s12, v30
	s_mov_b32 s1, exec_lo
	s_wait_loadcnt 0x1
	s_wait_alu 0xf1ff
	v_and_b32_e32 v33, s13, v33
	v_and_b32_e32 v32, s12, v32
	s_delay_alu instid0(VALU_DEP_2) | instskip(NEXT) | instid1(VALU_DEP_2)
	v_mul_lo_u32 v10, 24, v33
	v_mul_lo_u32 v30, 0, v32
	v_mul_hi_u32 v31, 24, v32
	v_mul_lo_u32 v36, 24, v32
	s_delay_alu instid0(VALU_DEP_3) | instskip(SKIP_1) | instid1(VALU_DEP_2)
	v_add_nc_u32_e32 v10, v10, v30
	s_wait_loadcnt 0x0
	v_add_co_u32 v30, vcc_lo, v26, v36
	s_delay_alu instid0(VALU_DEP_2) | instskip(SKIP_1) | instid1(VALU_DEP_1)
	v_add_nc_u32_e32 v10, v10, v31
	s_wait_alu 0xfffd
	v_add_co_ci_u32_e64 v31, null, v27, v10, vcc_lo
	s_and_saveexec_b32 s14, s0
	s_cbranch_execz .LBB2_86
; %bb.85:                               ;   in Loop: Header=BB2_29 Depth=1
	s_wait_alu 0xfffe
	v_mov_b32_e32 v10, s1
	global_store_b128 v[30:31], v[10:13], off offset:8
.LBB2_86:                               ;   in Loop: Header=BB2_29 Depth=1
	s_wait_alu 0xfffe
	s_or_b32 exec_lo, exec_lo, s14
	v_cmp_lt_u64_e64 vcc_lo, s[6:7], 57
	v_lshlrev_b64_e32 v[32:33], 12, v[32:33]
	v_and_b32_e32 v4, 0xffffff1f, v4
	s_lshl_b32 s1, s10, 2
	s_wait_alu 0xfffe
	s_add_co_i32 s1, s1, 28
	s_wait_alu 0xfffd
	v_cndmask_b32_e32 v10, 0, v35, vcc_lo
	v_add_co_u32 v28, vcc_lo, v28, v32
	s_wait_alu 0xfffd
	v_add_co_ci_u32_e64 v29, null, v29, v33, vcc_lo
	s_delay_alu instid0(VALU_DEP_3) | instskip(NEXT) | instid1(VALU_DEP_3)
	v_or_b32_e32 v4, v4, v10
	v_readfirstlane_b32 s14, v28
	s_delay_alu instid0(VALU_DEP_3) | instskip(SKIP_1) | instid1(VALU_DEP_3)
	v_readfirstlane_b32 s15, v29
	s_wait_alu 0xfffe
	v_and_or_b32 v4, 0x1e0, s1, v4
	s_clause 0x3
	global_store_b128 v34, v[4:7], s[14:15]
	global_store_b128 v34, v[14:17], s[14:15] offset:16
	global_store_b128 v34, v[18:21], s[14:15] offset:32
	;; [unrolled: 1-line block ×3, first 2 shown]
	s_and_saveexec_b32 s1, s0
	s_cbranch_execz .LBB2_94
; %bb.87:                               ;   in Loop: Header=BB2_29 Depth=1
	s_clause 0x1
	global_load_b64 v[18:19], v11, s[2:3] offset:32 scope:SCOPE_SYS
	global_load_b64 v[4:5], v11, s[2:3] offset:40
	s_mov_b32 s14, exec_lo
	v_dual_mov_b32 v16, s12 :: v_dual_mov_b32 v17, s13
	s_wait_loadcnt 0x0
	v_and_b32_e32 v4, s12, v4
	v_and_b32_e32 v5, s13, v5
	s_delay_alu instid0(VALU_DEP_2) | instskip(NEXT) | instid1(VALU_DEP_2)
	v_mul_lo_u32 v6, 0, v4
	v_mul_lo_u32 v5, 24, v5
	v_mul_hi_u32 v7, 24, v4
	v_mul_lo_u32 v4, 24, v4
	s_delay_alu instid0(VALU_DEP_3) | instskip(NEXT) | instid1(VALU_DEP_2)
	v_add_nc_u32_e32 v5, v5, v6
	v_add_co_u32 v14, vcc_lo, v26, v4
	s_delay_alu instid0(VALU_DEP_2) | instskip(SKIP_1) | instid1(VALU_DEP_1)
	v_add_nc_u32_e32 v5, v5, v7
	s_wait_alu 0xfffd
	v_add_co_ci_u32_e64 v15, null, v27, v5, vcc_lo
	global_store_b64 v[14:15], v[18:19], off
	global_wb scope:SCOPE_SYS
	s_wait_storecnt 0x0
	global_atomic_cmpswap_b64 v[6:7], v11, v[16:19], s[2:3] offset:32 th:TH_ATOMIC_RETURN scope:SCOPE_SYS
	s_wait_loadcnt 0x0
	v_cmpx_ne_u64_e64 v[6:7], v[18:19]
	s_cbranch_execz .LBB2_90
; %bb.88:                               ;   in Loop: Header=BB2_29 Depth=1
	s_mov_b32 s15, 0
.LBB2_89:                               ;   Parent Loop BB2_29 Depth=1
                                        ; =>  This Inner Loop Header: Depth=2
	v_dual_mov_b32 v4, s12 :: v_dual_mov_b32 v5, s13
	s_sleep 1
	global_store_b64 v[14:15], v[6:7], off
	global_wb scope:SCOPE_SYS
	s_wait_storecnt 0x0
	global_atomic_cmpswap_b64 v[4:5], v11, v[4:7], s[2:3] offset:32 th:TH_ATOMIC_RETURN scope:SCOPE_SYS
	s_wait_loadcnt 0x0
	v_cmp_eq_u64_e32 vcc_lo, v[4:5], v[6:7]
	v_dual_mov_b32 v7, v5 :: v_dual_mov_b32 v6, v4
	s_wait_alu 0xfffe
	s_or_b32 s15, vcc_lo, s15
	s_wait_alu 0xfffe
	s_and_not1_b32 exec_lo, exec_lo, s15
	s_cbranch_execnz .LBB2_89
.LBB2_90:                               ;   in Loop: Header=BB2_29 Depth=1
	s_wait_alu 0xfffe
	s_or_b32 exec_lo, exec_lo, s14
	global_load_b64 v[4:5], v11, s[2:3] offset:16
	s_mov_b32 s15, exec_lo
	s_mov_b32 s14, exec_lo
	s_wait_alu 0xfffe
	v_mbcnt_lo_u32_b32 v6, s15, 0
	s_delay_alu instid0(VALU_DEP_1)
	v_cmpx_eq_u32_e32 0, v6
	s_cbranch_execz .LBB2_92
; %bb.91:                               ;   in Loop: Header=BB2_29 Depth=1
	s_bcnt1_i32_b32 s15, s15
	s_wait_alu 0xfffe
	v_mov_b32_e32 v10, s15
	global_wb scope:SCOPE_SYS
	s_wait_loadcnt 0x0
	s_wait_storecnt 0x0
	global_atomic_add_u64 v[4:5], v[10:11], off offset:8 scope:SCOPE_SYS
.LBB2_92:                               ;   in Loop: Header=BB2_29 Depth=1
	s_or_b32 exec_lo, exec_lo, s14
	s_wait_loadcnt 0x0
	global_load_b64 v[6:7], v[4:5], off offset:16
	s_wait_loadcnt 0x0
	v_cmp_eq_u64_e32 vcc_lo, 0, v[6:7]
	s_cbranch_vccnz .LBB2_94
; %bb.93:                               ;   in Loop: Header=BB2_29 Depth=1
	global_load_b32 v10, v[4:5], off offset:24
	s_wait_loadcnt 0x0
	v_readfirstlane_b32 s14, v10
	global_wb scope:SCOPE_SYS
	s_wait_storecnt 0x0
	global_store_b64 v[6:7], v[10:11], off scope:SCOPE_SYS
	s_and_b32 m0, s14, 0xffffff
	s_sendmsg sendmsg(MSG_INTERRUPT)
.LBB2_94:                               ;   in Loop: Header=BB2_29 Depth=1
	s_wait_alu 0xfffe
	s_or_b32 exec_lo, exec_lo, s1
	v_add_co_u32 v4, vcc_lo, v28, v34
	s_wait_alu 0xfffd
	v_add_co_ci_u32_e64 v5, null, 0, v29, vcc_lo
	s_branch .LBB2_98
.LBB2_95:                               ;   in Loop: Header=BB2_98 Depth=2
	s_wait_alu 0xfffe
	s_or_b32 exec_lo, exec_lo, s1
	s_delay_alu instid0(VALU_DEP_1)
	v_readfirstlane_b32 s1, v6
	s_cmp_eq_u32 s1, 0
	s_cbranch_scc1 .LBB2_97
; %bb.96:                               ;   in Loop: Header=BB2_98 Depth=2
	s_sleep 1
	s_cbranch_execnz .LBB2_98
	s_branch .LBB2_100
.LBB2_97:                               ;   in Loop: Header=BB2_29 Depth=1
	s_branch .LBB2_100
.LBB2_98:                               ;   Parent Loop BB2_29 Depth=1
                                        ; =>  This Inner Loop Header: Depth=2
	v_mov_b32_e32 v6, 1
	s_and_saveexec_b32 s1, s0
	s_cbranch_execz .LBB2_95
; %bb.99:                               ;   in Loop: Header=BB2_98 Depth=2
	global_load_b32 v6, v[30:31], off offset:20 scope:SCOPE_SYS
	s_wait_loadcnt 0x0
	global_inv scope:SCOPE_SYS
	v_and_b32_e32 v6, 1, v6
	s_branch .LBB2_95
.LBB2_100:                              ;   in Loop: Header=BB2_29 Depth=1
	global_load_b64 v[4:5], v[4:5], off
	s_and_saveexec_b32 s14, s0
	s_cbranch_execz .LBB2_28
; %bb.101:                              ;   in Loop: Header=BB2_29 Depth=1
	s_clause 0x2
	global_load_b64 v[6:7], v11, s[2:3] offset:40
	global_load_b64 v[18:19], v11, s[2:3] offset:24 scope:SCOPE_SYS
	global_load_b64 v[14:15], v11, s[2:3]
	s_wait_loadcnt 0x2
	v_readfirstlane_b32 s16, v6
	v_readfirstlane_b32 s17, v7
	s_add_nc_u64 s[0:1], s[16:17], 1
	s_wait_alu 0xfffe
	s_add_nc_u64 s[12:13], s[0:1], s[12:13]
	s_wait_alu 0xfffe
	s_cmp_eq_u64 s[12:13], 0
	s_cselect_b32 s1, s1, s13
	s_cselect_b32 s0, s0, s12
	s_wait_alu 0xfffe
	v_dual_mov_b32 v17, s1 :: v_dual_mov_b32 v16, s0
	s_and_b64 s[12:13], s[0:1], s[16:17]
	s_wait_alu 0xfffe
	s_mul_u64 s[12:13], s[12:13], 24
	s_wait_loadcnt 0x0
	s_wait_alu 0xfffe
	v_add_co_u32 v6, vcc_lo, v14, s12
	s_wait_alu 0xfffd
	v_add_co_ci_u32_e64 v7, null, s13, v15, vcc_lo
	global_store_b64 v[6:7], v[18:19], off
	global_wb scope:SCOPE_SYS
	s_wait_storecnt 0x0
	global_atomic_cmpswap_b64 v[16:17], v11, v[16:19], s[2:3] offset:24 th:TH_ATOMIC_RETURN scope:SCOPE_SYS
	s_wait_loadcnt 0x0
	v_cmp_ne_u64_e32 vcc_lo, v[16:17], v[18:19]
	s_and_b32 exec_lo, exec_lo, vcc_lo
	s_cbranch_execz .LBB2_28
; %bb.102:                              ;   in Loop: Header=BB2_29 Depth=1
	s_mov_b32 s12, 0
.LBB2_103:                              ;   Parent Loop BB2_29 Depth=1
                                        ; =>  This Inner Loop Header: Depth=2
	v_dual_mov_b32 v14, s0 :: v_dual_mov_b32 v15, s1
	s_sleep 1
	global_store_b64 v[6:7], v[16:17], off
	global_wb scope:SCOPE_SYS
	s_wait_storecnt 0x0
	global_atomic_cmpswap_b64 v[14:15], v11, v[14:17], s[2:3] offset:24 th:TH_ATOMIC_RETURN scope:SCOPE_SYS
	s_wait_loadcnt 0x0
	v_cmp_eq_u64_e32 vcc_lo, v[14:15], v[16:17]
	v_dual_mov_b32 v17, v15 :: v_dual_mov_b32 v16, v14
	s_wait_alu 0xfffe
	s_or_b32 s12, vcc_lo, s12
	s_wait_alu 0xfffe
	s_and_not1_b32 exec_lo, exec_lo, s12
	s_cbranch_execnz .LBB2_103
	s_branch .LBB2_28
.LBB2_104:
                                        ; implicit-def: $vgpr4_vgpr5
	s_cbranch_execnz .LBB2_106
	s_branch .LBB2_133
.LBB2_105:
	s_branch .LBB2_133
.LBB2_106:
	v_readfirstlane_b32 s0, v1
	v_mov_b32_e32 v11, 0
	v_mov_b32_e32 v12, 0
	s_wait_alu 0xf1ff
	s_delay_alu instid0(VALU_DEP_3)
	v_cmp_eq_u32_e64 s0, s0, v1
	s_and_saveexec_b32 s1, s0
	s_cbranch_execz .LBB2_112
; %bb.107:
	s_wait_loadcnt 0x0
	v_mov_b32_e32 v4, 0
	s_mov_b32 s4, exec_lo
	global_load_b64 v[13:14], v4, s[2:3] offset:24 scope:SCOPE_SYS
	s_wait_loadcnt 0x0
	global_inv scope:SCOPE_SYS
	s_clause 0x1
	global_load_b64 v[5:6], v4, s[2:3] offset:40
	global_load_b64 v[10:11], v4, s[2:3]
	s_wait_loadcnt 0x1
	v_and_b32_e32 v6, v6, v14
	v_and_b32_e32 v5, v5, v13
	s_delay_alu instid0(VALU_DEP_2) | instskip(NEXT) | instid1(VALU_DEP_2)
	v_mul_lo_u32 v6, 24, v6
	v_mul_lo_u32 v7, 0, v5
	v_mul_hi_u32 v12, 24, v5
	v_mul_lo_u32 v5, 24, v5
	s_delay_alu instid0(VALU_DEP_3) | instskip(SKIP_1) | instid1(VALU_DEP_2)
	v_add_nc_u32_e32 v6, v6, v7
	s_wait_loadcnt 0x0
	v_add_co_u32 v5, vcc_lo, v10, v5
	s_delay_alu instid0(VALU_DEP_2) | instskip(SKIP_1) | instid1(VALU_DEP_1)
	v_add_nc_u32_e32 v6, v6, v12
	s_wait_alu 0xfffd
	v_add_co_ci_u32_e64 v6, null, v11, v6, vcc_lo
	global_load_b64 v[11:12], v[5:6], off scope:SCOPE_SYS
	s_wait_loadcnt 0x0
	global_atomic_cmpswap_b64 v[11:12], v4, v[11:14], s[2:3] offset:24 th:TH_ATOMIC_RETURN scope:SCOPE_SYS
	s_wait_loadcnt 0x0
	global_inv scope:SCOPE_SYS
	v_cmpx_ne_u64_e64 v[11:12], v[13:14]
	s_cbranch_execz .LBB2_111
; %bb.108:
	s_mov_b32 s5, 0
.LBB2_109:                              ; =>This Inner Loop Header: Depth=1
	s_sleep 1
	s_clause 0x1
	global_load_b64 v[5:6], v4, s[2:3] offset:40
	global_load_b64 v[15:16], v4, s[2:3]
	v_dual_mov_b32 v14, v12 :: v_dual_mov_b32 v13, v11
	s_wait_loadcnt 0x1
	s_delay_alu instid0(VALU_DEP_1) | instskip(SKIP_1) | instid1(VALU_DEP_1)
	v_and_b32_e32 v5, v5, v13
	s_wait_loadcnt 0x0
	v_mad_co_u64_u32 v[10:11], null, v5, 24, v[15:16]
	s_delay_alu instid0(VALU_DEP_1) | instskip(NEXT) | instid1(VALU_DEP_1)
	v_dual_mov_b32 v5, v11 :: v_dual_and_b32 v6, v6, v14
	v_mad_co_u64_u32 v[5:6], null, v6, 24, v[5:6]
	s_delay_alu instid0(VALU_DEP_1)
	v_mov_b32_e32 v11, v5
	global_load_b64 v[11:12], v[10:11], off scope:SCOPE_SYS
	s_wait_loadcnt 0x0
	global_atomic_cmpswap_b64 v[11:12], v4, v[11:14], s[2:3] offset:24 th:TH_ATOMIC_RETURN scope:SCOPE_SYS
	s_wait_loadcnt 0x0
	global_inv scope:SCOPE_SYS
	v_cmp_eq_u64_e32 vcc_lo, v[11:12], v[13:14]
	s_wait_alu 0xfffe
	s_or_b32 s5, vcc_lo, s5
	s_wait_alu 0xfffe
	s_and_not1_b32 exec_lo, exec_lo, s5
	s_cbranch_execnz .LBB2_109
; %bb.110:
	s_or_b32 exec_lo, exec_lo, s5
.LBB2_111:
	s_wait_alu 0xfffe
	s_or_b32 exec_lo, exec_lo, s4
.LBB2_112:
	s_wait_alu 0xfffe
	s_or_b32 exec_lo, exec_lo, s1
	v_readfirstlane_b32 s5, v12
	v_mov_b32_e32 v10, 0
	v_readfirstlane_b32 s4, v11
	s_mov_b32 s1, exec_lo
	global_load_b64 v[13:14], v10, s[2:3] offset:40
	s_wait_loadcnt 0x1
	global_load_b128 v[4:7], v10, s[2:3]
	s_wait_loadcnt 0x1
	s_wait_alu 0xf1ff
	v_and_b32_e32 v15, s5, v14
	v_and_b32_e32 v14, s4, v13
	s_delay_alu instid0(VALU_DEP_2) | instskip(NEXT) | instid1(VALU_DEP_2)
	v_mul_lo_u32 v11, 24, v15
	v_mul_lo_u32 v12, 0, v14
	v_mul_hi_u32 v13, 24, v14
	v_mul_lo_u32 v16, 24, v14
	s_delay_alu instid0(VALU_DEP_3) | instskip(SKIP_1) | instid1(VALU_DEP_2)
	v_add_nc_u32_e32 v11, v11, v12
	s_wait_loadcnt 0x0
	v_add_co_u32 v12, vcc_lo, v4, v16
	s_delay_alu instid0(VALU_DEP_2) | instskip(SKIP_1) | instid1(VALU_DEP_1)
	v_add_nc_u32_e32 v11, v11, v13
	s_wait_alu 0xfffd
	v_add_co_ci_u32_e64 v13, null, v5, v11, vcc_lo
	s_and_saveexec_b32 s6, s0
	s_cbranch_execz .LBB2_114
; %bb.113:
	s_wait_alu 0xfffe
	v_dual_mov_b32 v16, s1 :: v_dual_mov_b32 v17, v10
	v_dual_mov_b32 v18, 2 :: v_dual_mov_b32 v19, 1
	global_store_b128 v[12:13], v[16:19], off offset:8
.LBB2_114:
	s_wait_alu 0xfffe
	s_or_b32 exec_lo, exec_lo, s6
	v_lshlrev_b64_e32 v[14:15], 12, v[14:15]
	s_mov_b32 s12, 0
	v_and_or_b32 v8, 0xffffff1f, v8, 32
	s_wait_alu 0xfffe
	s_mov_b32 s15, s12
	s_mov_b32 s13, s12
	;; [unrolled: 1-line block ×3, first 2 shown]
	v_add_co_u32 v6, vcc_lo, v6, v14
	s_wait_alu 0xfffd
	v_add_co_ci_u32_e64 v7, null, v7, v15, vcc_lo
	v_mov_b32_e32 v11, v10
	s_delay_alu instid0(VALU_DEP_3) | instskip(SKIP_1) | instid1(VALU_DEP_4)
	v_add_co_u32 v14, vcc_lo, v6, v34
	v_readfirstlane_b32 s6, v6
	v_readfirstlane_b32 s7, v7
	s_wait_alu 0xfffe
	v_dual_mov_b32 v19, s15 :: v_dual_mov_b32 v16, s12
	s_wait_alu 0xfffd
	v_add_co_ci_u32_e64 v15, null, 0, v7, vcc_lo
	v_dual_mov_b32 v18, s14 :: v_dual_mov_b32 v17, s13
	s_clause 0x3
	global_store_b128 v34, v[8:11], s[6:7]
	global_store_b128 v34, v[16:19], s[6:7] offset:16
	global_store_b128 v34, v[16:19], s[6:7] offset:32
	;; [unrolled: 1-line block ×3, first 2 shown]
	s_and_saveexec_b32 s1, s0
	s_cbranch_execz .LBB2_122
; %bb.115:
	v_mov_b32_e32 v10, 0
	s_mov_b32 s6, exec_lo
	s_clause 0x1
	global_load_b64 v[18:19], v10, s[2:3] offset:32 scope:SCOPE_SYS
	global_load_b64 v[6:7], v10, s[2:3] offset:40
	v_dual_mov_b32 v17, s5 :: v_dual_mov_b32 v16, s4
	s_wait_loadcnt 0x0
	v_and_b32_e32 v7, s5, v7
	v_and_b32_e32 v6, s4, v6
	s_delay_alu instid0(VALU_DEP_2) | instskip(NEXT) | instid1(VALU_DEP_2)
	v_mul_lo_u32 v7, 24, v7
	v_mul_lo_u32 v8, 0, v6
	v_mul_hi_u32 v9, 24, v6
	v_mul_lo_u32 v6, 24, v6
	s_delay_alu instid0(VALU_DEP_3) | instskip(NEXT) | instid1(VALU_DEP_2)
	v_add_nc_u32_e32 v7, v7, v8
	v_add_co_u32 v8, vcc_lo, v4, v6
	s_delay_alu instid0(VALU_DEP_2) | instskip(SKIP_1) | instid1(VALU_DEP_1)
	v_add_nc_u32_e32 v7, v7, v9
	s_wait_alu 0xfffd
	v_add_co_ci_u32_e64 v9, null, v5, v7, vcc_lo
	global_store_b64 v[8:9], v[18:19], off
	global_wb scope:SCOPE_SYS
	s_wait_storecnt 0x0
	global_atomic_cmpswap_b64 v[6:7], v10, v[16:19], s[2:3] offset:32 th:TH_ATOMIC_RETURN scope:SCOPE_SYS
	s_wait_loadcnt 0x0
	v_cmpx_ne_u64_e64 v[6:7], v[18:19]
	s_cbranch_execz .LBB2_118
; %bb.116:
	s_mov_b32 s7, 0
.LBB2_117:                              ; =>This Inner Loop Header: Depth=1
	v_dual_mov_b32 v4, s4 :: v_dual_mov_b32 v5, s5
	s_sleep 1
	global_store_b64 v[8:9], v[6:7], off
	global_wb scope:SCOPE_SYS
	s_wait_storecnt 0x0
	global_atomic_cmpswap_b64 v[4:5], v10, v[4:7], s[2:3] offset:32 th:TH_ATOMIC_RETURN scope:SCOPE_SYS
	s_wait_loadcnt 0x0
	v_cmp_eq_u64_e32 vcc_lo, v[4:5], v[6:7]
	v_dual_mov_b32 v7, v5 :: v_dual_mov_b32 v6, v4
	s_wait_alu 0xfffe
	s_or_b32 s7, vcc_lo, s7
	s_wait_alu 0xfffe
	s_and_not1_b32 exec_lo, exec_lo, s7
	s_cbranch_execnz .LBB2_117
.LBB2_118:
	s_wait_alu 0xfffe
	s_or_b32 exec_lo, exec_lo, s6
	v_mov_b32_e32 v7, 0
	s_mov_b32 s7, exec_lo
	s_mov_b32 s6, exec_lo
	s_wait_alu 0xfffe
	v_mbcnt_lo_u32_b32 v6, s7, 0
	global_load_b64 v[4:5], v7, s[2:3] offset:16
	v_cmpx_eq_u32_e32 0, v6
	s_cbranch_execz .LBB2_120
; %bb.119:
	s_bcnt1_i32_b32 s7, s7
	s_wait_alu 0xfffe
	v_mov_b32_e32 v6, s7
	global_wb scope:SCOPE_SYS
	s_wait_loadcnt 0x0
	s_wait_storecnt 0x0
	global_atomic_add_u64 v[4:5], v[6:7], off offset:8 scope:SCOPE_SYS
.LBB2_120:
	s_or_b32 exec_lo, exec_lo, s6
	s_wait_loadcnt 0x0
	global_load_b64 v[6:7], v[4:5], off offset:16
	s_wait_loadcnt 0x0
	v_cmp_eq_u64_e32 vcc_lo, 0, v[6:7]
	s_cbranch_vccnz .LBB2_122
; %bb.121:
	global_load_b32 v4, v[4:5], off offset:24
	v_mov_b32_e32 v5, 0
	s_wait_loadcnt 0x0
	v_readfirstlane_b32 s6, v4
	global_wb scope:SCOPE_SYS
	s_wait_storecnt 0x0
	global_store_b64 v[6:7], v[4:5], off scope:SCOPE_SYS
	s_and_b32 m0, s6, 0xffffff
	s_sendmsg sendmsg(MSG_INTERRUPT)
.LBB2_122:
	s_wait_alu 0xfffe
	s_or_b32 exec_lo, exec_lo, s1
	s_branch .LBB2_126
.LBB2_123:                              ;   in Loop: Header=BB2_126 Depth=1
	s_wait_alu 0xfffe
	s_or_b32 exec_lo, exec_lo, s1
	s_delay_alu instid0(VALU_DEP_1)
	v_readfirstlane_b32 s1, v4
	s_cmp_eq_u32 s1, 0
	s_cbranch_scc1 .LBB2_125
; %bb.124:                              ;   in Loop: Header=BB2_126 Depth=1
	s_sleep 1
	s_cbranch_execnz .LBB2_126
	s_branch .LBB2_128
.LBB2_125:
	s_branch .LBB2_128
.LBB2_126:                              ; =>This Inner Loop Header: Depth=1
	v_mov_b32_e32 v4, 1
	s_and_saveexec_b32 s1, s0
	s_cbranch_execz .LBB2_123
; %bb.127:                              ;   in Loop: Header=BB2_126 Depth=1
	global_load_b32 v4, v[12:13], off offset:20 scope:SCOPE_SYS
	s_wait_loadcnt 0x0
	global_inv scope:SCOPE_SYS
	v_and_b32_e32 v4, 1, v4
	s_branch .LBB2_123
.LBB2_128:
	global_load_b64 v[4:5], v[14:15], off
	s_and_saveexec_b32 s6, s0
	s_cbranch_execz .LBB2_132
; %bb.129:
	v_mov_b32_e32 v12, 0
	s_clause 0x2
	global_load_b64 v[6:7], v12, s[2:3] offset:40
	global_load_b64 v[15:16], v12, s[2:3] offset:24 scope:SCOPE_SYS
	global_load_b64 v[8:9], v12, s[2:3]
	s_wait_loadcnt 0x2
	v_readfirstlane_b32 s10, v6
	v_readfirstlane_b32 s11, v7
	s_add_nc_u64 s[0:1], s[10:11], 1
	s_wait_alu 0xfffe
	s_add_nc_u64 s[4:5], s[0:1], s[4:5]
	s_wait_alu 0xfffe
	s_cmp_eq_u64 s[4:5], 0
	s_cselect_b32 s1, s1, s5
	s_cselect_b32 s0, s0, s4
	s_wait_alu 0xfffe
	v_mov_b32_e32 v14, s1
	s_and_b64 s[4:5], s[0:1], s[10:11]
	v_mov_b32_e32 v13, s0
	s_wait_alu 0xfffe
	s_mul_u64 s[4:5], s[4:5], 24
	s_wait_loadcnt 0x0
	s_wait_alu 0xfffe
	v_add_co_u32 v10, vcc_lo, v8, s4
	s_wait_alu 0xfffd
	v_add_co_ci_u32_e64 v11, null, s5, v9, vcc_lo
	global_store_b64 v[10:11], v[15:16], off
	global_wb scope:SCOPE_SYS
	s_wait_storecnt 0x0
	global_atomic_cmpswap_b64 v[8:9], v12, v[13:16], s[2:3] offset:24 th:TH_ATOMIC_RETURN scope:SCOPE_SYS
	s_wait_loadcnt 0x0
	v_cmp_ne_u64_e32 vcc_lo, v[8:9], v[15:16]
	s_and_b32 exec_lo, exec_lo, vcc_lo
	s_cbranch_execz .LBB2_132
; %bb.130:
	s_mov_b32 s4, 0
.LBB2_131:                              ; =>This Inner Loop Header: Depth=1
	v_dual_mov_b32 v6, s0 :: v_dual_mov_b32 v7, s1
	s_sleep 1
	global_store_b64 v[10:11], v[8:9], off
	global_wb scope:SCOPE_SYS
	s_wait_storecnt 0x0
	global_atomic_cmpswap_b64 v[6:7], v12, v[6:9], s[2:3] offset:24 th:TH_ATOMIC_RETURN scope:SCOPE_SYS
	s_wait_loadcnt 0x0
	v_cmp_eq_u64_e32 vcc_lo, v[6:7], v[8:9]
	v_dual_mov_b32 v9, v7 :: v_dual_mov_b32 v8, v6
	s_wait_alu 0xfffe
	s_or_b32 s4, vcc_lo, s4
	s_wait_alu 0xfffe
	s_and_not1_b32 exec_lo, exec_lo, s4
	s_cbranch_execnz .LBB2_131
.LBB2_132:
	s_wait_alu 0xfffe
	s_or_b32 exec_lo, exec_lo, s6
.LBB2_133:
	s_getpc_b64 s[0:1]
	s_wait_alu 0xfffe
	s_sext_i32_i16 s1, s1
	s_add_co_u32 s0, s0, .str@rel32@lo+12
	s_wait_alu 0xfffe
	s_add_co_ci_u32 s1, s1, .str@rel32@hi+24
	s_mov_b64 s[4:5], 0
	s_wait_alu 0xfffe
	s_cmp_lg_u64 s[0:1], 0
	s_cselect_b32 s6, -1, 0
	s_cmp_eq_u64 s[0:1], 0
	s_cbranch_scc1 .LBB2_137
; %bb.134:
	s_getpc_b64 s[0:1]
	s_wait_alu 0xfffe
	s_sext_i32_i16 s1, s1
	s_add_co_u32 s0, s0, .str@rel32@lo+11
	s_wait_alu 0xfffe
	s_add_co_ci_u32 s1, s1, .str@rel32@hi+23
.LBB2_135:                              ; =>This Inner Loop Header: Depth=1
	s_load_u8 s4, s[0:1], 0x1
	s_add_nc_u64 s[0:1], s[0:1], 1
	s_wait_kmcnt 0x0
	s_cmp_lg_u32 s4, 0
	s_cbranch_scc1 .LBB2_135
; %bb.136:
	s_getpc_b64 s[4:5]
	s_wait_alu 0xfffe
	s_sext_i32_i16 s5, s5
	s_add_co_u32 s4, s4, .str@rel32@lo+12
	s_wait_alu 0xfffe
	s_add_co_ci_u32 s5, s5, .str@rel32@hi+24
	s_wait_alu 0xfffe
	s_sub_nc_u64 s[0:1], s[0:1], s[4:5]
	s_wait_alu 0xfffe
	s_add_nc_u64 s[4:5], s[0:1], 1
.LBB2_137:
	s_wait_alu 0xfffe
	s_and_b32 vcc_lo, exec_lo, s6
	s_wait_alu 0xfffe
	s_cbranch_vccz .LBB2_215
; %bb.138:
	s_wait_loadcnt 0x0
	v_dual_mov_b32 v12, 2 :: v_dual_and_b32 v35, 2, v4
	v_dual_mov_b32 v11, 0 :: v_dual_and_b32 v6, -3, v4
	v_mov_b32_e32 v7, v5
	v_mov_b32_e32 v13, 1
	s_getpc_b64 s[6:7]
	s_wait_alu 0xfffe
	s_sext_i32_i16 s7, s7
	s_add_co_u32 s6, s6, .str@rel32@lo+12
	s_wait_alu 0xfffe
	s_add_co_ci_u32 s7, s7, .str@rel32@hi+24
	s_branch .LBB2_140
.LBB2_139:                              ;   in Loop: Header=BB2_140 Depth=1
	s_wait_alu 0xfffe
	s_or_b32 exec_lo, exec_lo, s14
	s_sub_nc_u64 s[4:5], s[4:5], s[10:11]
	s_add_nc_u64 s[6:7], s[6:7], s[10:11]
	s_wait_alu 0xfffe
	s_cmp_lg_u64 s[4:5], 0
	s_cbranch_scc0 .LBB2_216
.LBB2_140:                              ; =>This Loop Header: Depth=1
                                        ;     Child Loop BB2_143 Depth 2
                                        ;     Child Loop BB2_150 Depth 2
	;; [unrolled: 1-line block ×11, first 2 shown]
	v_cmp_lt_u64_e64 s0, s[4:5], 56
	v_cmp_gt_u64_e64 s1, s[4:5], 7
	s_and_b32 s0, s0, exec_lo
	s_cselect_b32 s11, s5, 0
	s_cselect_b32 s10, s4, 56
	s_and_b32 vcc_lo, exec_lo, s1
	s_wait_alu 0xfffe
	s_cbranch_vccnz .LBB2_145
; %bb.141:                              ;   in Loop: Header=BB2_140 Depth=1
	v_mov_b32_e32 v8, 0
	v_mov_b32_e32 v9, 0
	s_cmp_eq_u64 s[4:5], 0
	s_cbranch_scc1 .LBB2_144
; %bb.142:                              ;   in Loop: Header=BB2_140 Depth=1
	s_mov_b64 s[0:1], 0
	s_mov_b64 s[12:13], 0
.LBB2_143:                              ;   Parent Loop BB2_140 Depth=1
                                        ; =>  This Inner Loop Header: Depth=2
	s_wait_alu 0xfffe
	s_add_nc_u64 s[14:15], s[6:7], s[12:13]
	s_add_nc_u64 s[12:13], s[12:13], 1
	global_load_u8 v10, v11, s[14:15]
	s_wait_alu 0xfffe
	s_cmp_lg_u32 s10, s12
	s_wait_loadcnt 0x0
	v_and_b32_e32 v10, 0xffff, v10
	s_delay_alu instid0(VALU_DEP_1) | instskip(SKIP_1) | instid1(VALU_DEP_1)
	v_lshlrev_b64_e32 v[14:15], s0, v[10:11]
	s_add_nc_u64 s[0:1], s[0:1], 8
	v_or_b32_e32 v8, v14, v8
	s_delay_alu instid0(VALU_DEP_2)
	v_or_b32_e32 v9, v15, v9
	s_cbranch_scc1 .LBB2_143
.LBB2_144:                              ;   in Loop: Header=BB2_140 Depth=1
	s_mov_b64 s[12:13], s[6:7]
	s_mov_b32 s16, 0
	s_cbranch_execz .LBB2_146
	s_branch .LBB2_147
.LBB2_145:                              ;   in Loop: Header=BB2_140 Depth=1
	s_add_nc_u64 s[12:13], s[6:7], 8
	s_mov_b32 s16, 0
.LBB2_146:                              ;   in Loop: Header=BB2_140 Depth=1
	global_load_b64 v[8:9], v11, s[6:7]
	s_add_co_i32 s16, s10, -8
.LBB2_147:                              ;   in Loop: Header=BB2_140 Depth=1
	s_wait_alu 0xfffe
	s_cmp_gt_u32 s16, 7
	s_cbranch_scc1 .LBB2_152
; %bb.148:                              ;   in Loop: Header=BB2_140 Depth=1
	v_mov_b32_e32 v14, 0
	v_mov_b32_e32 v15, 0
	s_cmp_eq_u32 s16, 0
	s_cbranch_scc1 .LBB2_151
; %bb.149:                              ;   in Loop: Header=BB2_140 Depth=1
	s_mov_b64 s[0:1], 0
	s_mov_b64 s[14:15], 0
.LBB2_150:                              ;   Parent Loop BB2_140 Depth=1
                                        ; =>  This Inner Loop Header: Depth=2
	s_wait_alu 0xfffe
	s_add_nc_u64 s[18:19], s[12:13], s[14:15]
	s_add_nc_u64 s[14:15], s[14:15], 1
	global_load_u8 v10, v11, s[18:19]
	s_wait_alu 0xfffe
	s_cmp_lg_u32 s16, s14
	s_wait_loadcnt 0x0
	v_and_b32_e32 v10, 0xffff, v10
	s_delay_alu instid0(VALU_DEP_1) | instskip(SKIP_1) | instid1(VALU_DEP_1)
	v_lshlrev_b64_e32 v[16:17], s0, v[10:11]
	s_add_nc_u64 s[0:1], s[0:1], 8
	v_or_b32_e32 v14, v16, v14
	s_delay_alu instid0(VALU_DEP_2)
	v_or_b32_e32 v15, v17, v15
	s_cbranch_scc1 .LBB2_150
.LBB2_151:                              ;   in Loop: Header=BB2_140 Depth=1
	s_mov_b64 s[0:1], s[12:13]
	s_mov_b32 s17, 0
	s_cbranch_execz .LBB2_153
	s_branch .LBB2_154
.LBB2_152:                              ;   in Loop: Header=BB2_140 Depth=1
	s_add_nc_u64 s[0:1], s[12:13], 8
                                        ; implicit-def: $vgpr14_vgpr15
	s_mov_b32 s17, 0
.LBB2_153:                              ;   in Loop: Header=BB2_140 Depth=1
	global_load_b64 v[14:15], v11, s[12:13]
	s_add_co_i32 s17, s16, -8
.LBB2_154:                              ;   in Loop: Header=BB2_140 Depth=1
	s_wait_alu 0xfffe
	s_cmp_gt_u32 s17, 7
	s_cbranch_scc1 .LBB2_159
; %bb.155:                              ;   in Loop: Header=BB2_140 Depth=1
	v_mov_b32_e32 v16, 0
	v_mov_b32_e32 v17, 0
	s_cmp_eq_u32 s17, 0
	s_cbranch_scc1 .LBB2_158
; %bb.156:                              ;   in Loop: Header=BB2_140 Depth=1
	s_mov_b64 s[12:13], 0
	s_mov_b64 s[14:15], 0
.LBB2_157:                              ;   Parent Loop BB2_140 Depth=1
                                        ; =>  This Inner Loop Header: Depth=2
	s_wait_alu 0xfffe
	s_add_nc_u64 s[18:19], s[0:1], s[14:15]
	s_add_nc_u64 s[14:15], s[14:15], 1
	global_load_u8 v10, v11, s[18:19]
	s_wait_alu 0xfffe
	s_cmp_lg_u32 s17, s14
	s_wait_loadcnt 0x0
	v_and_b32_e32 v10, 0xffff, v10
	s_delay_alu instid0(VALU_DEP_1) | instskip(SKIP_1) | instid1(VALU_DEP_1)
	v_lshlrev_b64_e32 v[18:19], s12, v[10:11]
	s_add_nc_u64 s[12:13], s[12:13], 8
	v_or_b32_e32 v16, v18, v16
	s_delay_alu instid0(VALU_DEP_2)
	v_or_b32_e32 v17, v19, v17
	s_cbranch_scc1 .LBB2_157
.LBB2_158:                              ;   in Loop: Header=BB2_140 Depth=1
	s_mov_b64 s[12:13], s[0:1]
	s_mov_b32 s16, 0
	s_cbranch_execz .LBB2_160
	s_branch .LBB2_161
.LBB2_159:                              ;   in Loop: Header=BB2_140 Depth=1
	s_add_nc_u64 s[12:13], s[0:1], 8
	s_mov_b32 s16, 0
.LBB2_160:                              ;   in Loop: Header=BB2_140 Depth=1
	global_load_b64 v[16:17], v11, s[0:1]
	s_add_co_i32 s16, s17, -8
.LBB2_161:                              ;   in Loop: Header=BB2_140 Depth=1
	s_wait_alu 0xfffe
	s_cmp_gt_u32 s16, 7
	s_cbranch_scc1 .LBB2_166
; %bb.162:                              ;   in Loop: Header=BB2_140 Depth=1
	v_mov_b32_e32 v18, 0
	v_mov_b32_e32 v19, 0
	s_cmp_eq_u32 s16, 0
	s_cbranch_scc1 .LBB2_165
; %bb.163:                              ;   in Loop: Header=BB2_140 Depth=1
	s_mov_b64 s[0:1], 0
	s_mov_b64 s[14:15], 0
.LBB2_164:                              ;   Parent Loop BB2_140 Depth=1
                                        ; =>  This Inner Loop Header: Depth=2
	s_wait_alu 0xfffe
	s_add_nc_u64 s[18:19], s[12:13], s[14:15]
	s_add_nc_u64 s[14:15], s[14:15], 1
	global_load_u8 v10, v11, s[18:19]
	s_wait_alu 0xfffe
	s_cmp_lg_u32 s16, s14
	s_wait_loadcnt 0x0
	v_and_b32_e32 v10, 0xffff, v10
	s_delay_alu instid0(VALU_DEP_1) | instskip(SKIP_1) | instid1(VALU_DEP_1)
	v_lshlrev_b64_e32 v[20:21], s0, v[10:11]
	s_add_nc_u64 s[0:1], s[0:1], 8
	v_or_b32_e32 v18, v20, v18
	s_delay_alu instid0(VALU_DEP_2)
	v_or_b32_e32 v19, v21, v19
	s_cbranch_scc1 .LBB2_164
.LBB2_165:                              ;   in Loop: Header=BB2_140 Depth=1
	s_mov_b64 s[0:1], s[12:13]
	s_mov_b32 s17, 0
	s_cbranch_execz .LBB2_167
	s_branch .LBB2_168
.LBB2_166:                              ;   in Loop: Header=BB2_140 Depth=1
	s_add_nc_u64 s[0:1], s[12:13], 8
                                        ; implicit-def: $vgpr18_vgpr19
	s_mov_b32 s17, 0
.LBB2_167:                              ;   in Loop: Header=BB2_140 Depth=1
	global_load_b64 v[18:19], v11, s[12:13]
	s_add_co_i32 s17, s16, -8
.LBB2_168:                              ;   in Loop: Header=BB2_140 Depth=1
	s_wait_alu 0xfffe
	s_cmp_gt_u32 s17, 7
	s_cbranch_scc1 .LBB2_173
; %bb.169:                              ;   in Loop: Header=BB2_140 Depth=1
	v_mov_b32_e32 v20, 0
	v_mov_b32_e32 v21, 0
	s_cmp_eq_u32 s17, 0
	s_cbranch_scc1 .LBB2_172
; %bb.170:                              ;   in Loop: Header=BB2_140 Depth=1
	s_mov_b64 s[12:13], 0
	s_mov_b64 s[14:15], 0
.LBB2_171:                              ;   Parent Loop BB2_140 Depth=1
                                        ; =>  This Inner Loop Header: Depth=2
	s_wait_alu 0xfffe
	s_add_nc_u64 s[18:19], s[0:1], s[14:15]
	s_add_nc_u64 s[14:15], s[14:15], 1
	global_load_u8 v10, v11, s[18:19]
	s_wait_alu 0xfffe
	s_cmp_lg_u32 s17, s14
	s_wait_loadcnt 0x0
	v_and_b32_e32 v10, 0xffff, v10
	s_delay_alu instid0(VALU_DEP_1) | instskip(SKIP_1) | instid1(VALU_DEP_1)
	v_lshlrev_b64_e32 v[22:23], s12, v[10:11]
	s_add_nc_u64 s[12:13], s[12:13], 8
	v_or_b32_e32 v20, v22, v20
	s_delay_alu instid0(VALU_DEP_2)
	v_or_b32_e32 v21, v23, v21
	s_cbranch_scc1 .LBB2_171
.LBB2_172:                              ;   in Loop: Header=BB2_140 Depth=1
	s_mov_b64 s[12:13], s[0:1]
	s_mov_b32 s16, 0
	s_cbranch_execz .LBB2_174
	s_branch .LBB2_175
.LBB2_173:                              ;   in Loop: Header=BB2_140 Depth=1
	s_add_nc_u64 s[12:13], s[0:1], 8
	s_mov_b32 s16, 0
.LBB2_174:                              ;   in Loop: Header=BB2_140 Depth=1
	global_load_b64 v[20:21], v11, s[0:1]
	s_add_co_i32 s16, s17, -8
.LBB2_175:                              ;   in Loop: Header=BB2_140 Depth=1
	s_wait_alu 0xfffe
	s_cmp_gt_u32 s16, 7
	s_cbranch_scc1 .LBB2_180
; %bb.176:                              ;   in Loop: Header=BB2_140 Depth=1
	v_mov_b32_e32 v22, 0
	v_mov_b32_e32 v23, 0
	s_cmp_eq_u32 s16, 0
	s_cbranch_scc1 .LBB2_179
; %bb.177:                              ;   in Loop: Header=BB2_140 Depth=1
	s_mov_b64 s[0:1], 0
	s_mov_b64 s[14:15], 0
.LBB2_178:                              ;   Parent Loop BB2_140 Depth=1
                                        ; =>  This Inner Loop Header: Depth=2
	s_wait_alu 0xfffe
	s_add_nc_u64 s[18:19], s[12:13], s[14:15]
	s_add_nc_u64 s[14:15], s[14:15], 1
	global_load_u8 v10, v11, s[18:19]
	s_wait_alu 0xfffe
	s_cmp_lg_u32 s16, s14
	s_wait_loadcnt 0x0
	v_and_b32_e32 v10, 0xffff, v10
	s_delay_alu instid0(VALU_DEP_1) | instskip(SKIP_1) | instid1(VALU_DEP_1)
	v_lshlrev_b64_e32 v[24:25], s0, v[10:11]
	s_add_nc_u64 s[0:1], s[0:1], 8
	v_or_b32_e32 v22, v24, v22
	s_delay_alu instid0(VALU_DEP_2)
	v_or_b32_e32 v23, v25, v23
	s_cbranch_scc1 .LBB2_178
.LBB2_179:                              ;   in Loop: Header=BB2_140 Depth=1
	s_mov_b64 s[0:1], s[12:13]
	s_mov_b32 s17, 0
	s_cbranch_execz .LBB2_181
	s_branch .LBB2_182
.LBB2_180:                              ;   in Loop: Header=BB2_140 Depth=1
	s_add_nc_u64 s[0:1], s[12:13], 8
                                        ; implicit-def: $vgpr22_vgpr23
	s_mov_b32 s17, 0
.LBB2_181:                              ;   in Loop: Header=BB2_140 Depth=1
	global_load_b64 v[22:23], v11, s[12:13]
	s_add_co_i32 s17, s16, -8
.LBB2_182:                              ;   in Loop: Header=BB2_140 Depth=1
	s_wait_alu 0xfffe
	s_cmp_gt_u32 s17, 7
	s_cbranch_scc1 .LBB2_187
; %bb.183:                              ;   in Loop: Header=BB2_140 Depth=1
	v_mov_b32_e32 v24, 0
	v_mov_b32_e32 v25, 0
	s_cmp_eq_u32 s17, 0
	s_cbranch_scc1 .LBB2_186
; %bb.184:                              ;   in Loop: Header=BB2_140 Depth=1
	s_mov_b64 s[12:13], 0
	s_mov_b64 s[14:15], s[0:1]
.LBB2_185:                              ;   Parent Loop BB2_140 Depth=1
                                        ; =>  This Inner Loop Header: Depth=2
	global_load_u8 v10, v11, s[14:15]
	s_add_co_i32 s17, s17, -1
	s_wait_alu 0xfffe
	s_add_nc_u64 s[14:15], s[14:15], 1
	s_cmp_lg_u32 s17, 0
	s_wait_loadcnt 0x0
	v_and_b32_e32 v10, 0xffff, v10
	s_delay_alu instid0(VALU_DEP_1) | instskip(SKIP_1) | instid1(VALU_DEP_1)
	v_lshlrev_b64_e32 v[26:27], s12, v[10:11]
	s_add_nc_u64 s[12:13], s[12:13], 8
	v_or_b32_e32 v24, v26, v24
	s_delay_alu instid0(VALU_DEP_2)
	v_or_b32_e32 v25, v27, v25
	s_cbranch_scc1 .LBB2_185
.LBB2_186:                              ;   in Loop: Header=BB2_140 Depth=1
	s_cbranch_execz .LBB2_188
	s_branch .LBB2_189
.LBB2_187:                              ;   in Loop: Header=BB2_140 Depth=1
.LBB2_188:                              ;   in Loop: Header=BB2_140 Depth=1
	global_load_b64 v[24:25], v11, s[0:1]
.LBB2_189:                              ;   in Loop: Header=BB2_140 Depth=1
	v_readfirstlane_b32 s0, v1
	v_mov_b32_e32 v30, 0
	v_mov_b32_e32 v31, 0
	s_wait_alu 0xf1ff
	s_delay_alu instid0(VALU_DEP_3)
	v_cmp_eq_u32_e64 s0, s0, v1
	s_and_saveexec_b32 s1, s0
	s_cbranch_execz .LBB2_195
; %bb.190:                              ;   in Loop: Header=BB2_140 Depth=1
	global_load_b64 v[28:29], v11, s[2:3] offset:24 scope:SCOPE_SYS
	s_wait_loadcnt 0x0
	global_inv scope:SCOPE_SYS
	s_clause 0x1
	global_load_b64 v[26:27], v11, s[2:3] offset:40
	global_load_b64 v[30:31], v11, s[2:3]
	s_mov_b32 s12, exec_lo
	s_wait_loadcnt 0x1
	v_and_b32_e32 v10, v27, v29
	v_and_b32_e32 v26, v26, v28
	s_delay_alu instid0(VALU_DEP_2) | instskip(NEXT) | instid1(VALU_DEP_2)
	v_mul_lo_u32 v10, 24, v10
	v_mul_lo_u32 v27, 0, v26
	v_mul_hi_u32 v32, 24, v26
	v_mul_lo_u32 v26, 24, v26
	s_delay_alu instid0(VALU_DEP_3) | instskip(SKIP_1) | instid1(VALU_DEP_2)
	v_add_nc_u32_e32 v10, v10, v27
	s_wait_loadcnt 0x0
	v_add_co_u32 v26, vcc_lo, v30, v26
	s_delay_alu instid0(VALU_DEP_2) | instskip(SKIP_1) | instid1(VALU_DEP_1)
	v_add_nc_u32_e32 v10, v10, v32
	s_wait_alu 0xfffd
	v_add_co_ci_u32_e64 v27, null, v31, v10, vcc_lo
	global_load_b64 v[26:27], v[26:27], off scope:SCOPE_SYS
	s_wait_loadcnt 0x0
	global_atomic_cmpswap_b64 v[30:31], v11, v[26:29], s[2:3] offset:24 th:TH_ATOMIC_RETURN scope:SCOPE_SYS
	s_wait_loadcnt 0x0
	global_inv scope:SCOPE_SYS
	v_cmpx_ne_u64_e64 v[30:31], v[28:29]
	s_cbranch_execz .LBB2_194
; %bb.191:                              ;   in Loop: Header=BB2_140 Depth=1
	s_mov_b32 s13, 0
.LBB2_192:                              ;   Parent Loop BB2_140 Depth=1
                                        ; =>  This Inner Loop Header: Depth=2
	s_sleep 1
	s_clause 0x1
	global_load_b64 v[26:27], v11, s[2:3] offset:40
	global_load_b64 v[32:33], v11, s[2:3]
	v_dual_mov_b32 v28, v30 :: v_dual_mov_b32 v29, v31
	s_wait_loadcnt 0x1
	s_delay_alu instid0(VALU_DEP_1) | instskip(NEXT) | instid1(VALU_DEP_2)
	v_and_b32_e32 v10, v26, v28
	v_and_b32_e32 v26, v27, v29
	s_wait_loadcnt 0x0
	s_delay_alu instid0(VALU_DEP_2) | instskip(NEXT) | instid1(VALU_DEP_1)
	v_mad_co_u64_u32 v[30:31], null, v10, 24, v[32:33]
	v_mov_b32_e32 v10, v31
	s_delay_alu instid0(VALU_DEP_1) | instskip(NEXT) | instid1(VALU_DEP_1)
	v_mad_co_u64_u32 v[26:27], null, v26, 24, v[10:11]
	v_mov_b32_e32 v31, v26
	global_load_b64 v[26:27], v[30:31], off scope:SCOPE_SYS
	s_wait_loadcnt 0x0
	global_atomic_cmpswap_b64 v[30:31], v11, v[26:29], s[2:3] offset:24 th:TH_ATOMIC_RETURN scope:SCOPE_SYS
	s_wait_loadcnt 0x0
	global_inv scope:SCOPE_SYS
	v_cmp_eq_u64_e32 vcc_lo, v[30:31], v[28:29]
	s_wait_alu 0xfffe
	s_or_b32 s13, vcc_lo, s13
	s_wait_alu 0xfffe
	s_and_not1_b32 exec_lo, exec_lo, s13
	s_cbranch_execnz .LBB2_192
; %bb.193:                              ;   in Loop: Header=BB2_140 Depth=1
	s_or_b32 exec_lo, exec_lo, s13
.LBB2_194:                              ;   in Loop: Header=BB2_140 Depth=1
	s_wait_alu 0xfffe
	s_or_b32 exec_lo, exec_lo, s12
.LBB2_195:                              ;   in Loop: Header=BB2_140 Depth=1
	s_wait_alu 0xfffe
	s_or_b32 exec_lo, exec_lo, s1
	s_clause 0x1
	global_load_b64 v[32:33], v11, s[2:3] offset:40
	global_load_b128 v[26:29], v11, s[2:3]
	v_readfirstlane_b32 s13, v31
	v_readfirstlane_b32 s12, v30
	s_mov_b32 s1, exec_lo
	s_wait_loadcnt 0x1
	s_wait_alu 0xf1ff
	v_and_b32_e32 v33, s13, v33
	v_and_b32_e32 v32, s12, v32
	s_delay_alu instid0(VALU_DEP_2) | instskip(NEXT) | instid1(VALU_DEP_2)
	v_mul_lo_u32 v10, 24, v33
	v_mul_lo_u32 v30, 0, v32
	v_mul_hi_u32 v31, 24, v32
	v_mul_lo_u32 v36, 24, v32
	s_delay_alu instid0(VALU_DEP_3) | instskip(SKIP_1) | instid1(VALU_DEP_2)
	v_add_nc_u32_e32 v10, v10, v30
	s_wait_loadcnt 0x0
	v_add_co_u32 v30, vcc_lo, v26, v36
	s_delay_alu instid0(VALU_DEP_2) | instskip(SKIP_1) | instid1(VALU_DEP_1)
	v_add_nc_u32_e32 v10, v10, v31
	s_wait_alu 0xfffd
	v_add_co_ci_u32_e64 v31, null, v27, v10, vcc_lo
	s_and_saveexec_b32 s14, s0
	s_cbranch_execz .LBB2_197
; %bb.196:                              ;   in Loop: Header=BB2_140 Depth=1
	s_wait_alu 0xfffe
	v_mov_b32_e32 v10, s1
	global_store_b128 v[30:31], v[10:13], off offset:8
.LBB2_197:                              ;   in Loop: Header=BB2_140 Depth=1
	s_wait_alu 0xfffe
	s_or_b32 exec_lo, exec_lo, s14
	v_cmp_lt_u64_e64 vcc_lo, s[4:5], 57
	v_lshlrev_b64_e32 v[32:33], 12, v[32:33]
	v_and_b32_e32 v6, 0xffffff1f, v6
	s_lshl_b32 s1, s10, 2
	s_wait_alu 0xfffe
	s_add_co_i32 s1, s1, 28
	s_wait_alu 0xfffd
	v_cndmask_b32_e32 v10, 0, v35, vcc_lo
	v_add_co_u32 v28, vcc_lo, v28, v32
	s_wait_alu 0xfffd
	v_add_co_ci_u32_e64 v29, null, v29, v33, vcc_lo
	s_delay_alu instid0(VALU_DEP_3) | instskip(NEXT) | instid1(VALU_DEP_3)
	v_or_b32_e32 v6, v6, v10
	v_readfirstlane_b32 s14, v28
	s_delay_alu instid0(VALU_DEP_3) | instskip(SKIP_1) | instid1(VALU_DEP_3)
	v_readfirstlane_b32 s15, v29
	s_wait_alu 0xfffe
	v_and_or_b32 v6, 0x1e0, s1, v6
	s_clause 0x3
	global_store_b128 v34, v[6:9], s[14:15]
	global_store_b128 v34, v[14:17], s[14:15] offset:16
	global_store_b128 v34, v[18:21], s[14:15] offset:32
	;; [unrolled: 1-line block ×3, first 2 shown]
	s_and_saveexec_b32 s1, s0
	s_cbranch_execz .LBB2_205
; %bb.198:                              ;   in Loop: Header=BB2_140 Depth=1
	s_clause 0x1
	global_load_b64 v[18:19], v11, s[2:3] offset:32 scope:SCOPE_SYS
	global_load_b64 v[6:7], v11, s[2:3] offset:40
	s_mov_b32 s14, exec_lo
	v_dual_mov_b32 v16, s12 :: v_dual_mov_b32 v17, s13
	s_wait_loadcnt 0x0
	v_and_b32_e32 v6, s12, v6
	v_and_b32_e32 v7, s13, v7
	s_delay_alu instid0(VALU_DEP_2) | instskip(NEXT) | instid1(VALU_DEP_2)
	v_mul_lo_u32 v8, 0, v6
	v_mul_lo_u32 v7, 24, v7
	v_mul_hi_u32 v9, 24, v6
	v_mul_lo_u32 v6, 24, v6
	s_delay_alu instid0(VALU_DEP_3) | instskip(NEXT) | instid1(VALU_DEP_2)
	v_add_nc_u32_e32 v7, v7, v8
	v_add_co_u32 v14, vcc_lo, v26, v6
	s_delay_alu instid0(VALU_DEP_2) | instskip(SKIP_1) | instid1(VALU_DEP_1)
	v_add_nc_u32_e32 v7, v7, v9
	s_wait_alu 0xfffd
	v_add_co_ci_u32_e64 v15, null, v27, v7, vcc_lo
	global_store_b64 v[14:15], v[18:19], off
	global_wb scope:SCOPE_SYS
	s_wait_storecnt 0x0
	global_atomic_cmpswap_b64 v[8:9], v11, v[16:19], s[2:3] offset:32 th:TH_ATOMIC_RETURN scope:SCOPE_SYS
	s_wait_loadcnt 0x0
	v_cmpx_ne_u64_e64 v[8:9], v[18:19]
	s_cbranch_execz .LBB2_201
; %bb.199:                              ;   in Loop: Header=BB2_140 Depth=1
	s_mov_b32 s15, 0
.LBB2_200:                              ;   Parent Loop BB2_140 Depth=1
                                        ; =>  This Inner Loop Header: Depth=2
	v_dual_mov_b32 v6, s12 :: v_dual_mov_b32 v7, s13
	s_sleep 1
	global_store_b64 v[14:15], v[8:9], off
	global_wb scope:SCOPE_SYS
	s_wait_storecnt 0x0
	global_atomic_cmpswap_b64 v[6:7], v11, v[6:9], s[2:3] offset:32 th:TH_ATOMIC_RETURN scope:SCOPE_SYS
	s_wait_loadcnt 0x0
	v_cmp_eq_u64_e32 vcc_lo, v[6:7], v[8:9]
	v_dual_mov_b32 v9, v7 :: v_dual_mov_b32 v8, v6
	s_wait_alu 0xfffe
	s_or_b32 s15, vcc_lo, s15
	s_wait_alu 0xfffe
	s_and_not1_b32 exec_lo, exec_lo, s15
	s_cbranch_execnz .LBB2_200
.LBB2_201:                              ;   in Loop: Header=BB2_140 Depth=1
	s_wait_alu 0xfffe
	s_or_b32 exec_lo, exec_lo, s14
	global_load_b64 v[6:7], v11, s[2:3] offset:16
	s_mov_b32 s15, exec_lo
	s_mov_b32 s14, exec_lo
	s_wait_alu 0xfffe
	v_mbcnt_lo_u32_b32 v8, s15, 0
	s_delay_alu instid0(VALU_DEP_1)
	v_cmpx_eq_u32_e32 0, v8
	s_cbranch_execz .LBB2_203
; %bb.202:                              ;   in Loop: Header=BB2_140 Depth=1
	s_bcnt1_i32_b32 s15, s15
	s_wait_alu 0xfffe
	v_mov_b32_e32 v10, s15
	global_wb scope:SCOPE_SYS
	s_wait_loadcnt 0x0
	s_wait_storecnt 0x0
	global_atomic_add_u64 v[6:7], v[10:11], off offset:8 scope:SCOPE_SYS
.LBB2_203:                              ;   in Loop: Header=BB2_140 Depth=1
	s_or_b32 exec_lo, exec_lo, s14
	s_wait_loadcnt 0x0
	global_load_b64 v[8:9], v[6:7], off offset:16
	s_wait_loadcnt 0x0
	v_cmp_eq_u64_e32 vcc_lo, 0, v[8:9]
	s_cbranch_vccnz .LBB2_205
; %bb.204:                              ;   in Loop: Header=BB2_140 Depth=1
	global_load_b32 v10, v[6:7], off offset:24
	s_wait_loadcnt 0x0
	v_readfirstlane_b32 s14, v10
	global_wb scope:SCOPE_SYS
	s_wait_storecnt 0x0
	global_store_b64 v[8:9], v[10:11], off scope:SCOPE_SYS
	s_and_b32 m0, s14, 0xffffff
	s_sendmsg sendmsg(MSG_INTERRUPT)
.LBB2_205:                              ;   in Loop: Header=BB2_140 Depth=1
	s_wait_alu 0xfffe
	s_or_b32 exec_lo, exec_lo, s1
	v_add_co_u32 v6, vcc_lo, v28, v34
	s_wait_alu 0xfffd
	v_add_co_ci_u32_e64 v7, null, 0, v29, vcc_lo
	s_branch .LBB2_209
.LBB2_206:                              ;   in Loop: Header=BB2_209 Depth=2
	s_wait_alu 0xfffe
	s_or_b32 exec_lo, exec_lo, s1
	s_delay_alu instid0(VALU_DEP_1)
	v_readfirstlane_b32 s1, v8
	s_cmp_eq_u32 s1, 0
	s_cbranch_scc1 .LBB2_208
; %bb.207:                              ;   in Loop: Header=BB2_209 Depth=2
	s_sleep 1
	s_cbranch_execnz .LBB2_209
	s_branch .LBB2_211
.LBB2_208:                              ;   in Loop: Header=BB2_140 Depth=1
	s_branch .LBB2_211
.LBB2_209:                              ;   Parent Loop BB2_140 Depth=1
                                        ; =>  This Inner Loop Header: Depth=2
	v_mov_b32_e32 v8, 1
	s_and_saveexec_b32 s1, s0
	s_cbranch_execz .LBB2_206
; %bb.210:                              ;   in Loop: Header=BB2_209 Depth=2
	global_load_b32 v8, v[30:31], off offset:20 scope:SCOPE_SYS
	s_wait_loadcnt 0x0
	global_inv scope:SCOPE_SYS
	v_and_b32_e32 v8, 1, v8
	s_branch .LBB2_206
.LBB2_211:                              ;   in Loop: Header=BB2_140 Depth=1
	global_load_b64 v[6:7], v[6:7], off
	s_and_saveexec_b32 s14, s0
	s_cbranch_execz .LBB2_139
; %bb.212:                              ;   in Loop: Header=BB2_140 Depth=1
	s_clause 0x2
	global_load_b64 v[8:9], v11, s[2:3] offset:40
	global_load_b64 v[18:19], v11, s[2:3] offset:24 scope:SCOPE_SYS
	global_load_b64 v[14:15], v11, s[2:3]
	s_wait_loadcnt 0x2
	v_readfirstlane_b32 s16, v8
	v_readfirstlane_b32 s17, v9
	s_add_nc_u64 s[0:1], s[16:17], 1
	s_wait_alu 0xfffe
	s_add_nc_u64 s[12:13], s[0:1], s[12:13]
	s_wait_alu 0xfffe
	s_cmp_eq_u64 s[12:13], 0
	s_cselect_b32 s1, s1, s13
	s_cselect_b32 s0, s0, s12
	s_wait_alu 0xfffe
	v_dual_mov_b32 v17, s1 :: v_dual_mov_b32 v16, s0
	s_and_b64 s[12:13], s[0:1], s[16:17]
	s_wait_alu 0xfffe
	s_mul_u64 s[12:13], s[12:13], 24
	s_wait_loadcnt 0x0
	s_wait_alu 0xfffe
	v_add_co_u32 v8, vcc_lo, v14, s12
	s_wait_alu 0xfffd
	v_add_co_ci_u32_e64 v9, null, s13, v15, vcc_lo
	global_store_b64 v[8:9], v[18:19], off
	global_wb scope:SCOPE_SYS
	s_wait_storecnt 0x0
	global_atomic_cmpswap_b64 v[16:17], v11, v[16:19], s[2:3] offset:24 th:TH_ATOMIC_RETURN scope:SCOPE_SYS
	s_wait_loadcnt 0x0
	v_cmp_ne_u64_e32 vcc_lo, v[16:17], v[18:19]
	s_and_b32 exec_lo, exec_lo, vcc_lo
	s_cbranch_execz .LBB2_139
; %bb.213:                              ;   in Loop: Header=BB2_140 Depth=1
	s_mov_b32 s12, 0
.LBB2_214:                              ;   Parent Loop BB2_140 Depth=1
                                        ; =>  This Inner Loop Header: Depth=2
	v_dual_mov_b32 v14, s0 :: v_dual_mov_b32 v15, s1
	s_sleep 1
	global_store_b64 v[8:9], v[16:17], off
	global_wb scope:SCOPE_SYS
	s_wait_storecnt 0x0
	global_atomic_cmpswap_b64 v[14:15], v11, v[14:17], s[2:3] offset:24 th:TH_ATOMIC_RETURN scope:SCOPE_SYS
	s_wait_loadcnt 0x0
	v_cmp_eq_u64_e32 vcc_lo, v[14:15], v[16:17]
	v_dual_mov_b32 v17, v15 :: v_dual_mov_b32 v16, v14
	s_wait_alu 0xfffe
	s_or_b32 s12, vcc_lo, s12
	s_wait_alu 0xfffe
	s_and_not1_b32 exec_lo, exec_lo, s12
	s_cbranch_execnz .LBB2_214
	s_branch .LBB2_139
.LBB2_215:
                                        ; implicit-def: $vgpr6_vgpr7
	s_cbranch_execnz .LBB2_217
	s_branch .LBB2_244
.LBB2_216:
	s_branch .LBB2_244
.LBB2_217:
	v_readfirstlane_b32 s0, v1
	v_mov_b32_e32 v12, 0
	v_mov_b32_e32 v13, 0
	s_wait_alu 0xf1ff
	s_delay_alu instid0(VALU_DEP_3)
	v_cmp_eq_u32_e64 s0, s0, v1
	s_and_saveexec_b32 s1, s0
	s_cbranch_execz .LBB2_223
; %bb.218:
	s_wait_loadcnt 0x0
	v_mov_b32_e32 v6, 0
	s_mov_b32 s4, exec_lo
	global_load_b64 v[9:10], v6, s[2:3] offset:24 scope:SCOPE_SYS
	s_wait_loadcnt 0x0
	global_inv scope:SCOPE_SYS
	s_clause 0x1
	global_load_b64 v[7:8], v6, s[2:3] offset:40
	global_load_b64 v[11:12], v6, s[2:3]
	s_wait_loadcnt 0x1
	v_and_b32_e32 v8, v8, v10
	v_and_b32_e32 v7, v7, v9
	s_delay_alu instid0(VALU_DEP_2) | instskip(NEXT) | instid1(VALU_DEP_2)
	v_mul_lo_u32 v8, 24, v8
	v_mul_lo_u32 v13, 0, v7
	v_mul_hi_u32 v14, 24, v7
	v_mul_lo_u32 v7, 24, v7
	s_delay_alu instid0(VALU_DEP_3) | instskip(SKIP_1) | instid1(VALU_DEP_2)
	v_add_nc_u32_e32 v8, v8, v13
	s_wait_loadcnt 0x0
	v_add_co_u32 v7, vcc_lo, v11, v7
	s_delay_alu instid0(VALU_DEP_2) | instskip(SKIP_1) | instid1(VALU_DEP_1)
	v_add_nc_u32_e32 v8, v8, v14
	s_wait_alu 0xfffd
	v_add_co_ci_u32_e64 v8, null, v12, v8, vcc_lo
	global_load_b64 v[7:8], v[7:8], off scope:SCOPE_SYS
	s_wait_loadcnt 0x0
	global_atomic_cmpswap_b64 v[12:13], v6, v[7:10], s[2:3] offset:24 th:TH_ATOMIC_RETURN scope:SCOPE_SYS
	s_wait_loadcnt 0x0
	global_inv scope:SCOPE_SYS
	v_cmpx_ne_u64_e64 v[12:13], v[9:10]
	s_cbranch_execz .LBB2_222
; %bb.219:
	s_mov_b32 s5, 0
.LBB2_220:                              ; =>This Inner Loop Header: Depth=1
	s_sleep 1
	s_clause 0x1
	global_load_b64 v[7:8], v6, s[2:3] offset:40
	global_load_b64 v[14:15], v6, s[2:3]
	v_dual_mov_b32 v9, v12 :: v_dual_mov_b32 v10, v13
	s_wait_loadcnt 0x1
	s_delay_alu instid0(VALU_DEP_1) | instskip(NEXT) | instid1(VALU_DEP_2)
	v_and_b32_e32 v7, v7, v9
	v_and_b32_e32 v8, v8, v10
	s_wait_loadcnt 0x0
	s_delay_alu instid0(VALU_DEP_2) | instskip(NEXT) | instid1(VALU_DEP_1)
	v_mad_co_u64_u32 v[11:12], null, v7, 24, v[14:15]
	v_mov_b32_e32 v7, v12
	s_delay_alu instid0(VALU_DEP_1) | instskip(NEXT) | instid1(VALU_DEP_1)
	v_mad_co_u64_u32 v[7:8], null, v8, 24, v[7:8]
	v_mov_b32_e32 v12, v7
	global_load_b64 v[7:8], v[11:12], off scope:SCOPE_SYS
	s_wait_loadcnt 0x0
	global_atomic_cmpswap_b64 v[12:13], v6, v[7:10], s[2:3] offset:24 th:TH_ATOMIC_RETURN scope:SCOPE_SYS
	s_wait_loadcnt 0x0
	global_inv scope:SCOPE_SYS
	v_cmp_eq_u64_e32 vcc_lo, v[12:13], v[9:10]
	s_wait_alu 0xfffe
	s_or_b32 s5, vcc_lo, s5
	s_wait_alu 0xfffe
	s_and_not1_b32 exec_lo, exec_lo, s5
	s_cbranch_execnz .LBB2_220
; %bb.221:
	s_or_b32 exec_lo, exec_lo, s5
.LBB2_222:
	s_wait_alu 0xfffe
	s_or_b32 exec_lo, exec_lo, s4
.LBB2_223:
	s_wait_alu 0xfffe
	s_or_b32 exec_lo, exec_lo, s1
	v_readfirstlane_b32 s5, v13
	s_wait_loadcnt 0x0
	v_mov_b32_e32 v6, 0
	v_readfirstlane_b32 s4, v12
	s_mov_b32 s1, exec_lo
	s_clause 0x1
	global_load_b64 v[14:15], v6, s[2:3] offset:40
	global_load_b128 v[8:11], v6, s[2:3]
	s_wait_loadcnt 0x1
	s_wait_alu 0xf1ff
	v_and_b32_e32 v15, s5, v15
	v_and_b32_e32 v14, s4, v14
	s_delay_alu instid0(VALU_DEP_2) | instskip(NEXT) | instid1(VALU_DEP_2)
	v_mul_lo_u32 v7, 24, v15
	v_mul_lo_u32 v12, 0, v14
	v_mul_hi_u32 v13, 24, v14
	v_mul_lo_u32 v16, 24, v14
	s_delay_alu instid0(VALU_DEP_3) | instskip(SKIP_1) | instid1(VALU_DEP_2)
	v_add_nc_u32_e32 v7, v7, v12
	s_wait_loadcnt 0x0
	v_add_co_u32 v12, vcc_lo, v8, v16
	s_delay_alu instid0(VALU_DEP_2) | instskip(SKIP_1) | instid1(VALU_DEP_1)
	v_add_nc_u32_e32 v7, v7, v13
	s_wait_alu 0xfffd
	v_add_co_ci_u32_e64 v13, null, v9, v7, vcc_lo
	s_and_saveexec_b32 s6, s0
	s_cbranch_execz .LBB2_225
; %bb.224:
	s_wait_alu 0xfffe
	v_dual_mov_b32 v16, s1 :: v_dual_mov_b32 v17, v6
	v_dual_mov_b32 v18, 2 :: v_dual_mov_b32 v19, 1
	global_store_b128 v[12:13], v[16:19], off offset:8
.LBB2_225:
	s_wait_alu 0xfffe
	s_or_b32 exec_lo, exec_lo, s6
	v_lshlrev_b64_e32 v[14:15], 12, v[14:15]
	s_mov_b32 s12, 0
	v_and_or_b32 v4, 0xffffff1f, v4, 32
	s_wait_alu 0xfffe
	s_mov_b32 s15, s12
	s_mov_b32 s13, s12
	;; [unrolled: 1-line block ×3, first 2 shown]
	v_add_co_u32 v10, vcc_lo, v10, v14
	s_wait_alu 0xfffd
	v_add_co_ci_u32_e64 v11, null, v11, v15, vcc_lo
	v_mov_b32_e32 v7, v6
	s_delay_alu instid0(VALU_DEP_3) | instskip(SKIP_1) | instid1(VALU_DEP_4)
	v_readfirstlane_b32 s6, v10
	v_add_co_u32 v10, vcc_lo, v10, v34
	v_readfirstlane_b32 s7, v11
	s_wait_alu 0xfffe
	v_dual_mov_b32 v17, s15 :: v_dual_mov_b32 v14, s12
	s_wait_alu 0xfffd
	v_add_co_ci_u32_e64 v11, null, 0, v11, vcc_lo
	v_dual_mov_b32 v16, s14 :: v_dual_mov_b32 v15, s13
	s_clause 0x3
	global_store_b128 v34, v[4:7], s[6:7]
	global_store_b128 v34, v[14:17], s[6:7] offset:16
	global_store_b128 v34, v[14:17], s[6:7] offset:32
	;; [unrolled: 1-line block ×3, first 2 shown]
	s_and_saveexec_b32 s1, s0
	s_cbranch_execz .LBB2_233
; %bb.226:
	v_mov_b32_e32 v14, 0
	s_mov_b32 s6, exec_lo
	s_clause 0x1
	global_load_b64 v[17:18], v14, s[2:3] offset:32 scope:SCOPE_SYS
	global_load_b64 v[4:5], v14, s[2:3] offset:40
	v_dual_mov_b32 v15, s4 :: v_dual_mov_b32 v16, s5
	s_wait_loadcnt 0x0
	v_and_b32_e32 v5, s5, v5
	v_and_b32_e32 v4, s4, v4
	s_delay_alu instid0(VALU_DEP_2) | instskip(NEXT) | instid1(VALU_DEP_2)
	v_mul_lo_u32 v5, 24, v5
	v_mul_lo_u32 v6, 0, v4
	v_mul_hi_u32 v7, 24, v4
	v_mul_lo_u32 v4, 24, v4
	s_delay_alu instid0(VALU_DEP_3) | instskip(NEXT) | instid1(VALU_DEP_2)
	v_add_nc_u32_e32 v5, v5, v6
	v_add_co_u32 v8, vcc_lo, v8, v4
	s_delay_alu instid0(VALU_DEP_2) | instskip(SKIP_1) | instid1(VALU_DEP_1)
	v_add_nc_u32_e32 v5, v5, v7
	s_wait_alu 0xfffd
	v_add_co_ci_u32_e64 v9, null, v9, v5, vcc_lo
	global_store_b64 v[8:9], v[17:18], off
	global_wb scope:SCOPE_SYS
	s_wait_storecnt 0x0
	global_atomic_cmpswap_b64 v[6:7], v14, v[15:18], s[2:3] offset:32 th:TH_ATOMIC_RETURN scope:SCOPE_SYS
	s_wait_loadcnt 0x0
	v_cmpx_ne_u64_e64 v[6:7], v[17:18]
	s_cbranch_execz .LBB2_229
; %bb.227:
	s_mov_b32 s7, 0
.LBB2_228:                              ; =>This Inner Loop Header: Depth=1
	v_dual_mov_b32 v4, s4 :: v_dual_mov_b32 v5, s5
	s_sleep 1
	global_store_b64 v[8:9], v[6:7], off
	global_wb scope:SCOPE_SYS
	s_wait_storecnt 0x0
	global_atomic_cmpswap_b64 v[4:5], v14, v[4:7], s[2:3] offset:32 th:TH_ATOMIC_RETURN scope:SCOPE_SYS
	s_wait_loadcnt 0x0
	v_cmp_eq_u64_e32 vcc_lo, v[4:5], v[6:7]
	v_dual_mov_b32 v7, v5 :: v_dual_mov_b32 v6, v4
	s_wait_alu 0xfffe
	s_or_b32 s7, vcc_lo, s7
	s_wait_alu 0xfffe
	s_and_not1_b32 exec_lo, exec_lo, s7
	s_cbranch_execnz .LBB2_228
.LBB2_229:
	s_wait_alu 0xfffe
	s_or_b32 exec_lo, exec_lo, s6
	v_mov_b32_e32 v7, 0
	s_mov_b32 s7, exec_lo
	s_mov_b32 s6, exec_lo
	s_wait_alu 0xfffe
	v_mbcnt_lo_u32_b32 v6, s7, 0
	global_load_b64 v[4:5], v7, s[2:3] offset:16
	v_cmpx_eq_u32_e32 0, v6
	s_cbranch_execz .LBB2_231
; %bb.230:
	s_bcnt1_i32_b32 s7, s7
	s_wait_alu 0xfffe
	v_mov_b32_e32 v6, s7
	global_wb scope:SCOPE_SYS
	s_wait_loadcnt 0x0
	s_wait_storecnt 0x0
	global_atomic_add_u64 v[4:5], v[6:7], off offset:8 scope:SCOPE_SYS
.LBB2_231:
	s_or_b32 exec_lo, exec_lo, s6
	s_wait_loadcnt 0x0
	global_load_b64 v[6:7], v[4:5], off offset:16
	s_wait_loadcnt 0x0
	v_cmp_eq_u64_e32 vcc_lo, 0, v[6:7]
	s_cbranch_vccnz .LBB2_233
; %bb.232:
	global_load_b32 v4, v[4:5], off offset:24
	v_mov_b32_e32 v5, 0
	s_wait_loadcnt 0x0
	v_readfirstlane_b32 s6, v4
	global_wb scope:SCOPE_SYS
	s_wait_storecnt 0x0
	global_store_b64 v[6:7], v[4:5], off scope:SCOPE_SYS
	s_and_b32 m0, s6, 0xffffff
	s_sendmsg sendmsg(MSG_INTERRUPT)
.LBB2_233:
	s_wait_alu 0xfffe
	s_or_b32 exec_lo, exec_lo, s1
	s_branch .LBB2_237
.LBB2_234:                              ;   in Loop: Header=BB2_237 Depth=1
	s_wait_alu 0xfffe
	s_or_b32 exec_lo, exec_lo, s1
	s_delay_alu instid0(VALU_DEP_1)
	v_readfirstlane_b32 s1, v4
	s_cmp_eq_u32 s1, 0
	s_cbranch_scc1 .LBB2_236
; %bb.235:                              ;   in Loop: Header=BB2_237 Depth=1
	s_sleep 1
	s_cbranch_execnz .LBB2_237
	s_branch .LBB2_239
.LBB2_236:
	s_branch .LBB2_239
.LBB2_237:                              ; =>This Inner Loop Header: Depth=1
	v_mov_b32_e32 v4, 1
	s_and_saveexec_b32 s1, s0
	s_cbranch_execz .LBB2_234
; %bb.238:                              ;   in Loop: Header=BB2_237 Depth=1
	global_load_b32 v4, v[12:13], off offset:20 scope:SCOPE_SYS
	s_wait_loadcnt 0x0
	global_inv scope:SCOPE_SYS
	v_and_b32_e32 v4, 1, v4
	s_branch .LBB2_234
.LBB2_239:
	global_load_b64 v[6:7], v[10:11], off
	s_and_saveexec_b32 s6, s0
	s_cbranch_execz .LBB2_243
; %bb.240:
	v_mov_b32_e32 v12, 0
	s_clause 0x2
	global_load_b64 v[4:5], v12, s[2:3] offset:40
	global_load_b64 v[15:16], v12, s[2:3] offset:24 scope:SCOPE_SYS
	global_load_b64 v[8:9], v12, s[2:3]
	s_wait_loadcnt 0x2
	v_readfirstlane_b32 s10, v4
	v_readfirstlane_b32 s11, v5
	s_add_nc_u64 s[0:1], s[10:11], 1
	s_wait_alu 0xfffe
	s_add_nc_u64 s[4:5], s[0:1], s[4:5]
	s_wait_alu 0xfffe
	s_cmp_eq_u64 s[4:5], 0
	s_cselect_b32 s1, s1, s5
	s_cselect_b32 s0, s0, s4
	s_wait_alu 0xfffe
	v_mov_b32_e32 v14, s1
	s_and_b64 s[4:5], s[0:1], s[10:11]
	v_mov_b32_e32 v13, s0
	s_wait_alu 0xfffe
	s_mul_u64 s[4:5], s[4:5], 24
	s_wait_loadcnt 0x0
	s_wait_alu 0xfffe
	v_add_co_u32 v4, vcc_lo, v8, s4
	s_wait_alu 0xfffd
	v_add_co_ci_u32_e64 v5, null, s5, v9, vcc_lo
	global_store_b64 v[4:5], v[15:16], off
	global_wb scope:SCOPE_SYS
	s_wait_storecnt 0x0
	global_atomic_cmpswap_b64 v[10:11], v12, v[13:16], s[2:3] offset:24 th:TH_ATOMIC_RETURN scope:SCOPE_SYS
	s_wait_loadcnt 0x0
	v_cmp_ne_u64_e32 vcc_lo, v[10:11], v[15:16]
	s_and_b32 exec_lo, exec_lo, vcc_lo
	s_cbranch_execz .LBB2_243
; %bb.241:
	s_mov_b32 s4, 0
.LBB2_242:                              ; =>This Inner Loop Header: Depth=1
	v_dual_mov_b32 v8, s0 :: v_dual_mov_b32 v9, s1
	s_sleep 1
	global_store_b64 v[4:5], v[10:11], off
	global_wb scope:SCOPE_SYS
	s_wait_storecnt 0x0
	global_atomic_cmpswap_b64 v[8:9], v12, v[8:11], s[2:3] offset:24 th:TH_ATOMIC_RETURN scope:SCOPE_SYS
	s_wait_loadcnt 0x0
	v_cmp_eq_u64_e32 vcc_lo, v[8:9], v[10:11]
	v_dual_mov_b32 v11, v9 :: v_dual_mov_b32 v10, v8
	s_wait_alu 0xfffe
	s_or_b32 s4, vcc_lo, s4
	s_wait_alu 0xfffe
	s_and_not1_b32 exec_lo, exec_lo, s4
	s_cbranch_execnz .LBB2_242
.LBB2_243:
	s_wait_alu 0xfffe
	s_or_b32 exec_lo, exec_lo, s6
.LBB2_244:
	v_readfirstlane_b32 s0, v1
	s_wait_loadcnt 0x0
	v_mov_b32_e32 v4, 0
	v_mov_b32_e32 v5, 0
	s_wait_alu 0xf1ff
	v_cmp_eq_u32_e64 s0, s0, v1
	s_and_saveexec_b32 s1, s0
	s_cbranch_execz .LBB2_250
; %bb.245:
	v_mov_b32_e32 v1, 0
	s_mov_b32 s4, exec_lo
	global_load_b64 v[10:11], v1, s[2:3] offset:24 scope:SCOPE_SYS
	s_wait_loadcnt 0x0
	global_inv scope:SCOPE_SYS
	s_clause 0x1
	global_load_b64 v[4:5], v1, s[2:3] offset:40
	global_load_b64 v[8:9], v1, s[2:3]
	s_wait_loadcnt 0x1
	v_and_b32_e32 v5, v5, v11
	v_and_b32_e32 v4, v4, v10
	s_delay_alu instid0(VALU_DEP_2) | instskip(NEXT) | instid1(VALU_DEP_2)
	v_mul_lo_u32 v5, 24, v5
	v_mul_lo_u32 v12, 0, v4
	v_mul_hi_u32 v13, 24, v4
	v_mul_lo_u32 v4, 24, v4
	s_delay_alu instid0(VALU_DEP_3) | instskip(SKIP_1) | instid1(VALU_DEP_2)
	v_add_nc_u32_e32 v5, v5, v12
	s_wait_loadcnt 0x0
	v_add_co_u32 v4, vcc_lo, v8, v4
	s_delay_alu instid0(VALU_DEP_2) | instskip(SKIP_1) | instid1(VALU_DEP_1)
	v_add_nc_u32_e32 v5, v5, v13
	s_wait_alu 0xfffd
	v_add_co_ci_u32_e64 v5, null, v9, v5, vcc_lo
	global_load_b64 v[8:9], v[4:5], off scope:SCOPE_SYS
	s_wait_loadcnt 0x0
	global_atomic_cmpswap_b64 v[4:5], v1, v[8:11], s[2:3] offset:24 th:TH_ATOMIC_RETURN scope:SCOPE_SYS
	s_wait_loadcnt 0x0
	global_inv scope:SCOPE_SYS
	v_cmpx_ne_u64_e64 v[4:5], v[10:11]
	s_cbranch_execz .LBB2_249
; %bb.246:
	s_mov_b32 s5, 0
.LBB2_247:                              ; =>This Inner Loop Header: Depth=1
	s_sleep 1
	s_clause 0x1
	global_load_b64 v[8:9], v1, s[2:3] offset:40
	global_load_b64 v[12:13], v1, s[2:3]
	v_dual_mov_b32 v11, v5 :: v_dual_mov_b32 v10, v4
	s_wait_loadcnt 0x1
	s_delay_alu instid0(VALU_DEP_1) | instskip(NEXT) | instid1(VALU_DEP_2)
	v_and_b32_e32 v4, v8, v10
	v_and_b32_e32 v8, v9, v11
	s_wait_loadcnt 0x0
	s_delay_alu instid0(VALU_DEP_2) | instskip(NEXT) | instid1(VALU_DEP_1)
	v_mad_co_u64_u32 v[4:5], null, v4, 24, v[12:13]
	v_mad_co_u64_u32 v[8:9], null, v8, 24, v[5:6]
	s_delay_alu instid0(VALU_DEP_1)
	v_mov_b32_e32 v5, v8
	global_load_b64 v[8:9], v[4:5], off scope:SCOPE_SYS
	s_wait_loadcnt 0x0
	global_atomic_cmpswap_b64 v[4:5], v1, v[8:11], s[2:3] offset:24 th:TH_ATOMIC_RETURN scope:SCOPE_SYS
	s_wait_loadcnt 0x0
	global_inv scope:SCOPE_SYS
	v_cmp_eq_u64_e32 vcc_lo, v[4:5], v[10:11]
	s_wait_alu 0xfffe
	s_or_b32 s5, vcc_lo, s5
	s_wait_alu 0xfffe
	s_and_not1_b32 exec_lo, exec_lo, s5
	s_cbranch_execnz .LBB2_247
; %bb.248:
	s_or_b32 exec_lo, exec_lo, s5
.LBB2_249:
	s_wait_alu 0xfffe
	s_or_b32 exec_lo, exec_lo, s4
.LBB2_250:
	s_wait_alu 0xfffe
	s_or_b32 exec_lo, exec_lo, s1
	v_readfirstlane_b32 s4, v4
	v_mov_b32_e32 v9, 0
	v_readfirstlane_b32 s5, v5
	s_mov_b32 s1, exec_lo
	s_clause 0x1
	global_load_b64 v[14:15], v9, s[2:3] offset:40
	global_load_b128 v[10:13], v9, s[2:3]
	s_wait_loadcnt 0x1
	s_wait_alu 0xf1ff
	v_and_b32_e32 v5, s5, v15
	v_and_b32_e32 v4, s4, v14
	s_delay_alu instid0(VALU_DEP_2) | instskip(NEXT) | instid1(VALU_DEP_2)
	v_mul_lo_u32 v1, 24, v5
	v_mul_lo_u32 v8, 0, v4
	v_mul_hi_u32 v14, 24, v4
	v_mul_lo_u32 v15, 24, v4
	s_delay_alu instid0(VALU_DEP_3) | instskip(NEXT) | instid1(VALU_DEP_1)
	v_add_nc_u32_e32 v1, v1, v8
	v_add_nc_u32_e32 v1, v1, v14
	s_wait_loadcnt 0x0
	s_delay_alu instid0(VALU_DEP_3) | instskip(SKIP_1) | instid1(VALU_DEP_2)
	v_add_co_u32 v14, vcc_lo, v10, v15
	s_wait_alu 0xfffd
	v_add_co_ci_u32_e64 v15, null, v11, v1, vcc_lo
	s_and_saveexec_b32 s6, s0
	s_cbranch_execz .LBB2_252
; %bb.251:
	s_wait_alu 0xfffe
	v_dual_mov_b32 v8, s1 :: v_dual_mov_b32 v19, 1
	v_dual_mov_b32 v18, 2 :: v_dual_mov_b32 v17, v9
	s_delay_alu instid0(VALU_DEP_2)
	v_mov_b32_e32 v16, v8
	global_store_b128 v[14:15], v[16:19], off offset:8
.LBB2_252:
	s_wait_alu 0xfffe
	s_or_b32 exec_lo, exec_lo, s6
	v_lshlrev_b64_e32 v[4:5], 12, v[4:5]
	s_mov_b32 s12, 0
	v_and_or_b32 v6, 0xffffff1f, v6, 32
	s_wait_alu 0xfffe
	s_mov_b32 s13, s12
	s_mov_b32 s14, s12
	;; [unrolled: 1-line block ×3, first 2 shown]
	s_wait_alu 0xfffe
	v_dual_mov_b32 v8, v0 :: v_dual_mov_b32 v19, s15
	v_add_co_u32 v0, vcc_lo, v12, v4
	s_wait_alu 0xfffd
	v_add_co_ci_u32_e64 v1, null, v13, v5, vcc_lo
	v_dual_mov_b32 v18, s14 :: v_dual_mov_b32 v17, s13
	s_delay_alu instid0(VALU_DEP_3) | instskip(SKIP_1) | instid1(VALU_DEP_4)
	v_readfirstlane_b32 s6, v0
	v_add_co_u32 v0, vcc_lo, v0, v34
	v_readfirstlane_b32 s7, v1
	s_wait_alu 0xfffd
	v_add_co_ci_u32_e64 v1, null, 0, v1, vcc_lo
	v_mov_b32_e32 v16, s12
	s_clause 0x3
	global_store_b128 v34, v[6:9], s[6:7]
	global_store_b128 v34, v[16:19], s[6:7] offset:16
	global_store_b128 v34, v[16:19], s[6:7] offset:32
	;; [unrolled: 1-line block ×3, first 2 shown]
	s_and_saveexec_b32 s1, s0
	s_cbranch_execz .LBB2_260
; %bb.253:
	v_mov_b32_e32 v12, 0
	s_mov_b32 s6, exec_lo
	s_clause 0x1
	global_load_b64 v[18:19], v12, s[2:3] offset:32 scope:SCOPE_SYS
	global_load_b64 v[4:5], v12, s[2:3] offset:40
	v_dual_mov_b32 v17, s5 :: v_dual_mov_b32 v16, s4
	s_wait_loadcnt 0x0
	v_and_b32_e32 v5, s5, v5
	v_and_b32_e32 v4, s4, v4
	s_delay_alu instid0(VALU_DEP_2) | instskip(NEXT) | instid1(VALU_DEP_2)
	v_mul_lo_u32 v5, 24, v5
	v_mul_lo_u32 v6, 0, v4
	v_mul_hi_u32 v7, 24, v4
	v_mul_lo_u32 v4, 24, v4
	s_delay_alu instid0(VALU_DEP_3) | instskip(NEXT) | instid1(VALU_DEP_2)
	v_add_nc_u32_e32 v5, v5, v6
	v_add_co_u32 v8, vcc_lo, v10, v4
	s_delay_alu instid0(VALU_DEP_2) | instskip(SKIP_1) | instid1(VALU_DEP_1)
	v_add_nc_u32_e32 v5, v5, v7
	s_wait_alu 0xfffd
	v_add_co_ci_u32_e64 v9, null, v11, v5, vcc_lo
	global_store_b64 v[8:9], v[18:19], off
	global_wb scope:SCOPE_SYS
	s_wait_storecnt 0x0
	global_atomic_cmpswap_b64 v[6:7], v12, v[16:19], s[2:3] offset:32 th:TH_ATOMIC_RETURN scope:SCOPE_SYS
	s_wait_loadcnt 0x0
	v_cmpx_ne_u64_e64 v[6:7], v[18:19]
	s_cbranch_execz .LBB2_256
; %bb.254:
	s_mov_b32 s7, 0
.LBB2_255:                              ; =>This Inner Loop Header: Depth=1
	v_dual_mov_b32 v4, s4 :: v_dual_mov_b32 v5, s5
	s_sleep 1
	global_store_b64 v[8:9], v[6:7], off
	global_wb scope:SCOPE_SYS
	s_wait_storecnt 0x0
	global_atomic_cmpswap_b64 v[4:5], v12, v[4:7], s[2:3] offset:32 th:TH_ATOMIC_RETURN scope:SCOPE_SYS
	s_wait_loadcnt 0x0
	v_cmp_eq_u64_e32 vcc_lo, v[4:5], v[6:7]
	v_dual_mov_b32 v7, v5 :: v_dual_mov_b32 v6, v4
	s_wait_alu 0xfffe
	s_or_b32 s7, vcc_lo, s7
	s_wait_alu 0xfffe
	s_and_not1_b32 exec_lo, exec_lo, s7
	s_cbranch_execnz .LBB2_255
.LBB2_256:
	s_wait_alu 0xfffe
	s_or_b32 exec_lo, exec_lo, s6
	v_mov_b32_e32 v7, 0
	s_mov_b32 s7, exec_lo
	s_mov_b32 s6, exec_lo
	s_wait_alu 0xfffe
	v_mbcnt_lo_u32_b32 v6, s7, 0
	global_load_b64 v[4:5], v7, s[2:3] offset:16
	v_cmpx_eq_u32_e32 0, v6
	s_cbranch_execz .LBB2_258
; %bb.257:
	s_bcnt1_i32_b32 s7, s7
	s_wait_alu 0xfffe
	v_mov_b32_e32 v6, s7
	global_wb scope:SCOPE_SYS
	s_wait_loadcnt 0x0
	s_wait_storecnt 0x0
	global_atomic_add_u64 v[4:5], v[6:7], off offset:8 scope:SCOPE_SYS
.LBB2_258:
	s_or_b32 exec_lo, exec_lo, s6
	s_wait_loadcnt 0x0
	global_load_b64 v[6:7], v[4:5], off offset:16
	s_wait_loadcnt 0x0
	v_cmp_eq_u64_e32 vcc_lo, 0, v[6:7]
	s_cbranch_vccnz .LBB2_260
; %bb.259:
	global_load_b32 v4, v[4:5], off offset:24
	v_mov_b32_e32 v5, 0
	s_wait_loadcnt 0x0
	v_readfirstlane_b32 s6, v4
	global_wb scope:SCOPE_SYS
	s_wait_storecnt 0x0
	global_store_b64 v[6:7], v[4:5], off scope:SCOPE_SYS
	s_and_b32 m0, s6, 0xffffff
	s_sendmsg sendmsg(MSG_INTERRUPT)
.LBB2_260:
	s_wait_alu 0xfffe
	s_or_b32 exec_lo, exec_lo, s1
	s_branch .LBB2_264
.LBB2_261:                              ;   in Loop: Header=BB2_264 Depth=1
	s_wait_alu 0xfffe
	s_or_b32 exec_lo, exec_lo, s1
	s_delay_alu instid0(VALU_DEP_1)
	v_readfirstlane_b32 s1, v4
	s_cmp_eq_u32 s1, 0
	s_cbranch_scc1 .LBB2_263
; %bb.262:                              ;   in Loop: Header=BB2_264 Depth=1
	s_sleep 1
	s_cbranch_execnz .LBB2_264
	s_branch .LBB2_266
.LBB2_263:
	s_branch .LBB2_266
.LBB2_264:                              ; =>This Inner Loop Header: Depth=1
	v_mov_b32_e32 v4, 1
	s_and_saveexec_b32 s1, s0
	s_cbranch_execz .LBB2_261
; %bb.265:                              ;   in Loop: Header=BB2_264 Depth=1
	global_load_b32 v4, v[14:15], off offset:20 scope:SCOPE_SYS
	s_wait_loadcnt 0x0
	global_inv scope:SCOPE_SYS
	v_and_b32_e32 v4, 1, v4
	s_branch .LBB2_261
.LBB2_266:
	global_load_b64 v[0:1], v[0:1], off
	s_and_saveexec_b32 s6, s0
	s_cbranch_execz .LBB2_270
; %bb.267:
	v_mov_b32_e32 v10, 0
	s_clause 0x2
	global_load_b64 v[4:5], v10, s[2:3] offset:40
	global_load_b64 v[13:14], v10, s[2:3] offset:24 scope:SCOPE_SYS
	global_load_b64 v[6:7], v10, s[2:3]
	s_wait_loadcnt 0x2
	v_readfirstlane_b32 s10, v4
	v_readfirstlane_b32 s11, v5
	s_add_nc_u64 s[0:1], s[10:11], 1
	s_wait_alu 0xfffe
	s_add_nc_u64 s[4:5], s[0:1], s[4:5]
	s_wait_alu 0xfffe
	s_cmp_eq_u64 s[4:5], 0
	s_cselect_b32 s1, s1, s5
	s_cselect_b32 s0, s0, s4
	s_wait_alu 0xfffe
	v_mov_b32_e32 v12, s1
	s_and_b64 s[4:5], s[0:1], s[10:11]
	v_mov_b32_e32 v11, s0
	s_wait_alu 0xfffe
	s_mul_u64 s[4:5], s[4:5], 24
	s_wait_loadcnt 0x0
	s_wait_alu 0xfffe
	v_add_co_u32 v8, vcc_lo, v6, s4
	s_wait_alu 0xfffd
	v_add_co_ci_u32_e64 v9, null, s5, v7, vcc_lo
	global_store_b64 v[8:9], v[13:14], off
	global_wb scope:SCOPE_SYS
	s_wait_storecnt 0x0
	global_atomic_cmpswap_b64 v[6:7], v10, v[11:14], s[2:3] offset:24 th:TH_ATOMIC_RETURN scope:SCOPE_SYS
	s_wait_loadcnt 0x0
	v_cmp_ne_u64_e32 vcc_lo, v[6:7], v[13:14]
	s_and_b32 exec_lo, exec_lo, vcc_lo
	s_cbranch_execz .LBB2_270
; %bb.268:
	s_mov_b32 s4, 0
.LBB2_269:                              ; =>This Inner Loop Header: Depth=1
	v_dual_mov_b32 v4, s0 :: v_dual_mov_b32 v5, s1
	s_sleep 1
	global_store_b64 v[8:9], v[6:7], off
	global_wb scope:SCOPE_SYS
	s_wait_storecnt 0x0
	global_atomic_cmpswap_b64 v[4:5], v10, v[4:7], s[2:3] offset:24 th:TH_ATOMIC_RETURN scope:SCOPE_SYS
	s_wait_loadcnt 0x0
	v_cmp_eq_u64_e32 vcc_lo, v[4:5], v[6:7]
	v_dual_mov_b32 v7, v5 :: v_dual_mov_b32 v6, v4
	s_wait_alu 0xfffe
	s_or_b32 s4, vcc_lo, s4
	s_wait_alu 0xfffe
	s_and_not1_b32 exec_lo, exec_lo, s4
	s_cbranch_execnz .LBB2_269
.LBB2_270:
	s_wait_alu 0xfffe
	s_or_b32 exec_lo, exec_lo, s6
	v_mov_b32_e32 v4, 0
	v_mov_b32_e32 v5, 0
	s_mov_b32 s0, exec_lo
	v_cmpx_ne_u64_e32 0, v[2:3]
	s_cbranch_execz .LBB2_274
; %bb.271:
	v_dual_mov_b32 v5, v3 :: v_dual_mov_b32 v4, v2
	s_mov_b32 s1, 0
.LBB2_272:                              ; =>This Inner Loop Header: Depth=1
	global_load_u8 v8, v[4:5], off
	v_add_co_u32 v6, vcc_lo, v4, 1
	s_wait_alu 0xfffd
	v_add_co_ci_u32_e64 v7, null, 0, v5, vcc_lo
	s_delay_alu instid0(VALU_DEP_1)
	v_dual_mov_b32 v4, v6 :: v_dual_mov_b32 v5, v7
	s_wait_loadcnt 0x0
	v_cmp_eq_u16_e32 vcc_lo, 0, v8
	s_wait_alu 0xfffe
	s_or_b32 s1, vcc_lo, s1
	s_wait_alu 0xfffe
	s_and_not1_b32 exec_lo, exec_lo, s1
	s_cbranch_execnz .LBB2_272
; %bb.273:
	s_or_b32 exec_lo, exec_lo, s1
	v_add_co_u32 v4, vcc_lo, v6, -1
	s_wait_alu 0xfffd
	v_add_co_ci_u32_e64 v5, null, -1, v7, vcc_lo
	s_delay_alu instid0(VALU_DEP_2) | instskip(SKIP_1) | instid1(VALU_DEP_2)
	v_sub_co_u32 v4, vcc_lo, v4, v2
	s_wait_alu 0xfffd
	v_sub_co_ci_u32_e64 v5, null, v5, v3, vcc_lo
	s_delay_alu instid0(VALU_DEP_2) | instskip(SKIP_1) | instid1(VALU_DEP_2)
	v_add_co_u32 v4, vcc_lo, v4, 1
	s_wait_alu 0xfffd
	v_add_co_ci_u32_e64 v5, null, 0, v5, vcc_lo
.LBB2_274:
	s_wait_alu 0xfffe
	s_or_b32 exec_lo, exec_lo, s0
	s_getpc_b64 s[0:1]
	s_wait_alu 0xfffe
	s_sext_i32_i16 s1, s1
	s_add_co_u32 s0, s0, __ockl_printf_append_string_n@rel32@lo+12
	s_wait_alu 0xfffe
	s_add_co_ci_u32 s1, s1, __ockl_printf_append_string_n@rel32@hi+24
	s_mov_b64 s[14:15], s[8:9]
	s_wait_alu 0xfffe
	s_swappc_b64 s[30:31], s[0:1]
	v_dual_mov_b32 v2, 0x514 :: v_dual_mov_b32 v3, 0
	v_mov_b32_e32 v4, 1
	s_getpc_b64 s[0:1]
	s_wait_alu 0xfffe
	s_sext_i32_i16 s1, s1
	s_add_co_u32 s0, s0, __ockl_printf_append_args@rel32@lo+12
	s_wait_alu 0xfffe
	s_add_co_ci_u32 s1, s1, __ockl_printf_append_args@rel32@hi+24
	s_mov_b64 s[8:9], s[14:15]
	s_wait_alu 0xfffe
	s_swappc_b64 s[30:31], s[0:1]
	s_trap 2
.Lfunc_end2:
	.size	_ZL14no_device_codePKciS0_iS0_, .Lfunc_end2-_ZL14no_device_codePKciS0_iS0_
                                        ; -- End function
	.set .L_ZL14no_device_codePKciS0_iS0_.num_vgpr, max(38, .L__ockl_printf_append_string_n.num_vgpr, .L__ockl_printf_append_args.num_vgpr)
	.set .L_ZL14no_device_codePKciS0_iS0_.num_agpr, max(0, .L__ockl_printf_append_string_n.num_agpr, .L__ockl_printf_append_args.num_agpr)
	.set .L_ZL14no_device_codePKciS0_iS0_.numbered_sgpr, max(34, .L__ockl_printf_append_string_n.numbered_sgpr, .L__ockl_printf_append_args.numbered_sgpr)
	.set .L_ZL14no_device_codePKciS0_iS0_.num_named_barrier, max(0, .L__ockl_printf_append_string_n.num_named_barrier, .L__ockl_printf_append_args.num_named_barrier)
	.set .L_ZL14no_device_codePKciS0_iS0_.private_seg_size, 16+max(.L__ockl_printf_append_string_n.private_seg_size, .L__ockl_printf_append_args.private_seg_size)
	.set .L_ZL14no_device_codePKciS0_iS0_.uses_vcc, or(1, .L__ockl_printf_append_string_n.uses_vcc, .L__ockl_printf_append_args.uses_vcc)
	.set .L_ZL14no_device_codePKciS0_iS0_.uses_flat_scratch, or(0, .L__ockl_printf_append_string_n.uses_flat_scratch, .L__ockl_printf_append_args.uses_flat_scratch)
	.set .L_ZL14no_device_codePKciS0_iS0_.has_dyn_sized_stack, or(0, .L__ockl_printf_append_string_n.has_dyn_sized_stack, .L__ockl_printf_append_args.has_dyn_sized_stack)
	.set .L_ZL14no_device_codePKciS0_iS0_.has_recursion, or(0, .L__ockl_printf_append_string_n.has_recursion, .L__ockl_printf_append_args.has_recursion)
	.set .L_ZL14no_device_codePKciS0_iS0_.has_indirect_call, or(0, .L__ockl_printf_append_string_n.has_indirect_call, .L__ockl_printf_append_args.has_indirect_call)
	.section	.AMDGPU.csdata,"",@progbits
; Function info:
; codeLenInByte = 12816
; TotalNumSgprs: 36
; NumVgprs: 38
; ScratchSize: 16
; MemoryBound: 0
	.section	.text._ZL13mul_mat_f_idsIfLi32ELi4ELi1EEvPKT_PKfPKiS6_S6_Pfiiiiiiiiiiiiii15HIP_vector_typeIjLj3EES9_,"axG",@progbits,_ZL13mul_mat_f_idsIfLi32ELi4ELi1EEvPKT_PKfPKiS6_S6_Pfiiiiiiiiiiiiii15HIP_vector_typeIjLj3EES9_,comdat
	.globl	_ZL13mul_mat_f_idsIfLi32ELi4ELi1EEvPKT_PKfPKiS6_S6_Pfiiiiiiiiiiiiii15HIP_vector_typeIjLj3EES9_ ; -- Begin function _ZL13mul_mat_f_idsIfLi32ELi4ELi1EEvPKT_PKfPKiS6_S6_Pfiiiiiiiiiiiiii15HIP_vector_typeIjLj3EES9_
	.p2align	8
	.type	_ZL13mul_mat_f_idsIfLi32ELi4ELi1EEvPKT_PKfPKiS6_S6_Pfiiiiiiiiiiiiii15HIP_vector_typeIjLj3EES9_,@function
_ZL13mul_mat_f_idsIfLi32ELi4ELi1EEvPKT_PKfPKiS6_S6_Pfiiiiiiiiiiiiii15HIP_vector_typeIjLj3EES9_: ; @_ZL13mul_mat_f_idsIfLi32ELi4ELi1EEvPKT_PKfPKiS6_S6_Pfiiiiiiiiiiiiii15HIP_vector_typeIjLj3EES9_
; %bb.0:
	s_getpc_b64 s[2:3]
	s_sext_i32_i16 s3, s3
	s_add_co_u32 s2, s2, __FUNCTION__._ZL13mul_mat_f_idsIfLi32ELi4ELi1EEvPKT_PKfPKiS6_S6_Pfiiiiiiiiiiiiii15HIP_vector_typeIjLj3EES9_@rel32@lo+8
	s_add_co_ci_u32 s3, s3, __FUNCTION__._ZL13mul_mat_f_idsIfLi32ELi4ELi1EEvPKT_PKfPKiS6_S6_Pfiiiiiiiiiiiiii15HIP_vector_typeIjLj3EES9_@rel32@hi+16
	v_dual_mov_b32 v0, 0x136 :: v_dual_mov_b32 v1, s2
	v_mov_b32_e32 v2, s3
	s_add_nc_u64 s[8:9], s[0:1], 0x80
	s_getpc_b64 s[0:1]
	s_sext_i32_i16 s1, s1
	s_add_co_u32 s0, s0, _ZL14no_device_codePKciS0_iS0_@rel32@lo+8
	s_add_co_ci_u32 s1, s1, _ZL14no_device_codePKciS0_iS0_@rel32@hi+16
	s_mov_b32 s32, 0
	s_swappc_b64 s[30:31], s[0:1]
	.section	.rodata,"a",@progbits
	.p2align	6, 0x0
	.amdhsa_kernel _ZL13mul_mat_f_idsIfLi32ELi4ELi1EEvPKT_PKfPKiS6_S6_Pfiiiiiiiiiiiiii15HIP_vector_typeIjLj3EES9_
		.amdhsa_group_segment_fixed_size 0
		.amdhsa_private_segment_fixed_size 16
		.amdhsa_kernarg_size 384
		.amdhsa_user_sgpr_count 2
		.amdhsa_user_sgpr_dispatch_ptr 0
		.amdhsa_user_sgpr_queue_ptr 0
		.amdhsa_user_sgpr_kernarg_segment_ptr 1
		.amdhsa_user_sgpr_dispatch_id 0
		.amdhsa_user_sgpr_private_segment_size 0
		.amdhsa_wavefront_size32 1
		.amdhsa_uses_dynamic_stack 0
		.amdhsa_enable_private_segment 1
		.amdhsa_system_sgpr_workgroup_id_x 1
		.amdhsa_system_sgpr_workgroup_id_y 0
		.amdhsa_system_sgpr_workgroup_id_z 0
		.amdhsa_system_sgpr_workgroup_info 0
		.amdhsa_system_vgpr_workitem_id 0
		.amdhsa_next_free_vgpr 38
		.amdhsa_next_free_sgpr 34
		.amdhsa_reserve_vcc 1
		.amdhsa_float_round_mode_32 0
		.amdhsa_float_round_mode_16_64 0
		.amdhsa_float_denorm_mode_32 3
		.amdhsa_float_denorm_mode_16_64 3
		.amdhsa_fp16_overflow 0
		.amdhsa_workgroup_processor_mode 1
		.amdhsa_memory_ordered 1
		.amdhsa_forward_progress 1
		.amdhsa_inst_pref_size 1
		.amdhsa_round_robin_scheduling 0
		.amdhsa_exception_fp_ieee_invalid_op 0
		.amdhsa_exception_fp_denorm_src 0
		.amdhsa_exception_fp_ieee_div_zero 0
		.amdhsa_exception_fp_ieee_overflow 0
		.amdhsa_exception_fp_ieee_underflow 0
		.amdhsa_exception_fp_ieee_inexact 0
		.amdhsa_exception_int_div_zero 0
	.end_amdhsa_kernel
	.section	.text._ZL13mul_mat_f_idsIfLi32ELi4ELi1EEvPKT_PKfPKiS6_S6_Pfiiiiiiiiiiiiii15HIP_vector_typeIjLj3EES9_,"axG",@progbits,_ZL13mul_mat_f_idsIfLi32ELi4ELi1EEvPKT_PKfPKiS6_S6_Pfiiiiiiiiiiiiii15HIP_vector_typeIjLj3EES9_,comdat
.Lfunc_end3:
	.size	_ZL13mul_mat_f_idsIfLi32ELi4ELi1EEvPKT_PKfPKiS6_S6_Pfiiiiiiiiiiiiii15HIP_vector_typeIjLj3EES9_, .Lfunc_end3-_ZL13mul_mat_f_idsIfLi32ELi4ELi1EEvPKT_PKfPKiS6_S6_Pfiiiiiiiiiiiiii15HIP_vector_typeIjLj3EES9_
                                        ; -- End function
	.set _ZL13mul_mat_f_idsIfLi32ELi4ELi1EEvPKT_PKfPKiS6_S6_Pfiiiiiiiiiiiiii15HIP_vector_typeIjLj3EES9_.num_vgpr, max(3, .L_ZL14no_device_codePKciS0_iS0_.num_vgpr)
	.set _ZL13mul_mat_f_idsIfLi32ELi4ELi1EEvPKT_PKfPKiS6_S6_Pfiiiiiiiiiiiiii15HIP_vector_typeIjLj3EES9_.num_agpr, max(0, .L_ZL14no_device_codePKciS0_iS0_.num_agpr)
	.set _ZL13mul_mat_f_idsIfLi32ELi4ELi1EEvPKT_PKfPKiS6_S6_Pfiiiiiiiiiiiiii15HIP_vector_typeIjLj3EES9_.numbered_sgpr, max(33, .L_ZL14no_device_codePKciS0_iS0_.numbered_sgpr)
	.set _ZL13mul_mat_f_idsIfLi32ELi4ELi1EEvPKT_PKfPKiS6_S6_Pfiiiiiiiiiiiiii15HIP_vector_typeIjLj3EES9_.num_named_barrier, max(0, .L_ZL14no_device_codePKciS0_iS0_.num_named_barrier)
	.set _ZL13mul_mat_f_idsIfLi32ELi4ELi1EEvPKT_PKfPKiS6_S6_Pfiiiiiiiiiiiiii15HIP_vector_typeIjLj3EES9_.private_seg_size, 0+max(.L_ZL14no_device_codePKciS0_iS0_.private_seg_size)
	.set _ZL13mul_mat_f_idsIfLi32ELi4ELi1EEvPKT_PKfPKiS6_S6_Pfiiiiiiiiiiiiii15HIP_vector_typeIjLj3EES9_.uses_vcc, or(1, .L_ZL14no_device_codePKciS0_iS0_.uses_vcc)
	.set _ZL13mul_mat_f_idsIfLi32ELi4ELi1EEvPKT_PKfPKiS6_S6_Pfiiiiiiiiiiiiii15HIP_vector_typeIjLj3EES9_.uses_flat_scratch, or(0, .L_ZL14no_device_codePKciS0_iS0_.uses_flat_scratch)
	.set _ZL13mul_mat_f_idsIfLi32ELi4ELi1EEvPKT_PKfPKiS6_S6_Pfiiiiiiiiiiiiii15HIP_vector_typeIjLj3EES9_.has_dyn_sized_stack, or(0, .L_ZL14no_device_codePKciS0_iS0_.has_dyn_sized_stack)
	.set _ZL13mul_mat_f_idsIfLi32ELi4ELi1EEvPKT_PKfPKiS6_S6_Pfiiiiiiiiiiiiii15HIP_vector_typeIjLj3EES9_.has_recursion, or(0, .L_ZL14no_device_codePKciS0_iS0_.has_recursion)
	.set _ZL13mul_mat_f_idsIfLi32ELi4ELi1EEvPKT_PKfPKiS6_S6_Pfiiiiiiiiiiiiii15HIP_vector_typeIjLj3EES9_.has_indirect_call, or(0, .L_ZL14no_device_codePKciS0_iS0_.has_indirect_call)
	.section	.AMDGPU.csdata,"",@progbits
; Kernel info:
; codeLenInByte = 80
; TotalNumSgprs: 36
; NumVgprs: 38
; ScratchSize: 16
; MemoryBound: 0
; FloatMode: 240
; IeeeMode: 1
; LDSByteSize: 0 bytes/workgroup (compile time only)
; SGPRBlocks: 0
; VGPRBlocks: 4
; NumSGPRsForWavesPerEU: 36
; NumVGPRsForWavesPerEU: 38
; Occupancy: 16
; WaveLimiterHint : 1
; COMPUTE_PGM_RSRC2:SCRATCH_EN: 1
; COMPUTE_PGM_RSRC2:USER_SGPR: 2
; COMPUTE_PGM_RSRC2:TRAP_HANDLER: 0
; COMPUTE_PGM_RSRC2:TGID_X_EN: 1
; COMPUTE_PGM_RSRC2:TGID_Y_EN: 0
; COMPUTE_PGM_RSRC2:TGID_Z_EN: 0
; COMPUTE_PGM_RSRC2:TIDIG_COMP_CNT: 0
	.section	.text._ZL9mul_mat_fIfLi32ELi4ELi1ELb1EEvPKT_PKfPKiPfiiiiiiiiiiiiiiii,"axG",@progbits,_ZL9mul_mat_fIfLi32ELi4ELi1ELb1EEvPKT_PKfPKiPfiiiiiiiiiiiiiiii,comdat
	.globl	_ZL9mul_mat_fIfLi32ELi4ELi1ELb1EEvPKT_PKfPKiPfiiiiiiiiiiiiiiii ; -- Begin function _ZL9mul_mat_fIfLi32ELi4ELi1ELb1EEvPKT_PKfPKiPfiiiiiiiiiiiiiiii
	.p2align	8
	.type	_ZL9mul_mat_fIfLi32ELi4ELi1ELb1EEvPKT_PKfPKiPfiiiiiiiiiiiiiiii,@function
_ZL9mul_mat_fIfLi32ELi4ELi1ELb1EEvPKT_PKfPKiPfiiiiiiiiiiiiiiii: ; @_ZL9mul_mat_fIfLi32ELi4ELi1ELb1EEvPKT_PKfPKiPfiiiiiiiiiiiiiiii
; %bb.0:
	s_getpc_b64 s[2:3]
	s_sext_i32_i16 s3, s3
	s_add_co_u32 s2, s2, __FUNCTION__._ZL9mul_mat_fIfLi32ELi4ELi1ELb1EEvPKT_PKfPKiPfiiiiiiiiiiiiiiii@rel32@lo+8
	s_add_co_ci_u32 s3, s3, __FUNCTION__._ZL9mul_mat_fIfLi32ELi4ELi1ELb1EEvPKT_PKfPKiPfiiiiiiiiiiiiiiii@rel32@hi+16
	v_dual_mov_b32 v0, 59 :: v_dual_mov_b32 v1, s2
	v_mov_b32_e32 v2, s3
	s_add_nc_u64 s[8:9], s[0:1], 0x60
	s_getpc_b64 s[0:1]
	s_sext_i32_i16 s1, s1
	s_add_co_u32 s0, s0, _ZL14no_device_codePKciS0_iS0_@rel32@lo+8
	s_add_co_ci_u32 s1, s1, _ZL14no_device_codePKciS0_iS0_@rel32@hi+16
	s_mov_b32 s32, 0
	s_swappc_b64 s[30:31], s[0:1]
	.section	.rodata,"a",@progbits
	.p2align	6, 0x0
	.amdhsa_kernel _ZL9mul_mat_fIfLi32ELi4ELi1ELb1EEvPKT_PKfPKiPfiiiiiiiiiiiiiiii
		.amdhsa_group_segment_fixed_size 0
		.amdhsa_private_segment_fixed_size 16
		.amdhsa_kernarg_size 352
		.amdhsa_user_sgpr_count 2
		.amdhsa_user_sgpr_dispatch_ptr 0
		.amdhsa_user_sgpr_queue_ptr 0
		.amdhsa_user_sgpr_kernarg_segment_ptr 1
		.amdhsa_user_sgpr_dispatch_id 0
		.amdhsa_user_sgpr_private_segment_size 0
		.amdhsa_wavefront_size32 1
		.amdhsa_uses_dynamic_stack 0
		.amdhsa_enable_private_segment 1
		.amdhsa_system_sgpr_workgroup_id_x 1
		.amdhsa_system_sgpr_workgroup_id_y 0
		.amdhsa_system_sgpr_workgroup_id_z 0
		.amdhsa_system_sgpr_workgroup_info 0
		.amdhsa_system_vgpr_workitem_id 0
		.amdhsa_next_free_vgpr 38
		.amdhsa_next_free_sgpr 34
		.amdhsa_reserve_vcc 1
		.amdhsa_float_round_mode_32 0
		.amdhsa_float_round_mode_16_64 0
		.amdhsa_float_denorm_mode_32 3
		.amdhsa_float_denorm_mode_16_64 3
		.amdhsa_fp16_overflow 0
		.amdhsa_workgroup_processor_mode 1
		.amdhsa_memory_ordered 1
		.amdhsa_forward_progress 1
		.amdhsa_inst_pref_size 1
		.amdhsa_round_robin_scheduling 0
		.amdhsa_exception_fp_ieee_invalid_op 0
		.amdhsa_exception_fp_denorm_src 0
		.amdhsa_exception_fp_ieee_div_zero 0
		.amdhsa_exception_fp_ieee_overflow 0
		.amdhsa_exception_fp_ieee_underflow 0
		.amdhsa_exception_fp_ieee_inexact 0
		.amdhsa_exception_int_div_zero 0
	.end_amdhsa_kernel
	.section	.text._ZL9mul_mat_fIfLi32ELi4ELi1ELb1EEvPKT_PKfPKiPfiiiiiiiiiiiiiiii,"axG",@progbits,_ZL9mul_mat_fIfLi32ELi4ELi1ELb1EEvPKT_PKfPKiPfiiiiiiiiiiiiiiii,comdat
.Lfunc_end4:
	.size	_ZL9mul_mat_fIfLi32ELi4ELi1ELb1EEvPKT_PKfPKiPfiiiiiiiiiiiiiiii, .Lfunc_end4-_ZL9mul_mat_fIfLi32ELi4ELi1ELb1EEvPKT_PKfPKiPfiiiiiiiiiiiiiiii
                                        ; -- End function
	.set _ZL9mul_mat_fIfLi32ELi4ELi1ELb1EEvPKT_PKfPKiPfiiiiiiiiiiiiiiii.num_vgpr, max(3, .L_ZL14no_device_codePKciS0_iS0_.num_vgpr)
	.set _ZL9mul_mat_fIfLi32ELi4ELi1ELb1EEvPKT_PKfPKiPfiiiiiiiiiiiiiiii.num_agpr, max(0, .L_ZL14no_device_codePKciS0_iS0_.num_agpr)
	.set _ZL9mul_mat_fIfLi32ELi4ELi1ELb1EEvPKT_PKfPKiPfiiiiiiiiiiiiiiii.numbered_sgpr, max(33, .L_ZL14no_device_codePKciS0_iS0_.numbered_sgpr)
	.set _ZL9mul_mat_fIfLi32ELi4ELi1ELb1EEvPKT_PKfPKiPfiiiiiiiiiiiiiiii.num_named_barrier, max(0, .L_ZL14no_device_codePKciS0_iS0_.num_named_barrier)
	.set _ZL9mul_mat_fIfLi32ELi4ELi1ELb1EEvPKT_PKfPKiPfiiiiiiiiiiiiiiii.private_seg_size, 0+max(.L_ZL14no_device_codePKciS0_iS0_.private_seg_size)
	.set _ZL9mul_mat_fIfLi32ELi4ELi1ELb1EEvPKT_PKfPKiPfiiiiiiiiiiiiiiii.uses_vcc, or(1, .L_ZL14no_device_codePKciS0_iS0_.uses_vcc)
	.set _ZL9mul_mat_fIfLi32ELi4ELi1ELb1EEvPKT_PKfPKiPfiiiiiiiiiiiiiiii.uses_flat_scratch, or(0, .L_ZL14no_device_codePKciS0_iS0_.uses_flat_scratch)
	.set _ZL9mul_mat_fIfLi32ELi4ELi1ELb1EEvPKT_PKfPKiPfiiiiiiiiiiiiiiii.has_dyn_sized_stack, or(0, .L_ZL14no_device_codePKciS0_iS0_.has_dyn_sized_stack)
	.set _ZL9mul_mat_fIfLi32ELi4ELi1ELb1EEvPKT_PKfPKiPfiiiiiiiiiiiiiiii.has_recursion, or(0, .L_ZL14no_device_codePKciS0_iS0_.has_recursion)
	.set _ZL9mul_mat_fIfLi32ELi4ELi1ELb1EEvPKT_PKfPKiPfiiiiiiiiiiiiiiii.has_indirect_call, or(0, .L_ZL14no_device_codePKciS0_iS0_.has_indirect_call)
	.section	.AMDGPU.csdata,"",@progbits
; Kernel info:
; codeLenInByte = 76
; TotalNumSgprs: 36
; NumVgprs: 38
; ScratchSize: 16
; MemoryBound: 0
; FloatMode: 240
; IeeeMode: 1
; LDSByteSize: 0 bytes/workgroup (compile time only)
; SGPRBlocks: 0
; VGPRBlocks: 4
; NumSGPRsForWavesPerEU: 36
; NumVGPRsForWavesPerEU: 38
; Occupancy: 16
; WaveLimiterHint : 1
; COMPUTE_PGM_RSRC2:SCRATCH_EN: 1
; COMPUTE_PGM_RSRC2:USER_SGPR: 2
; COMPUTE_PGM_RSRC2:TRAP_HANDLER: 0
; COMPUTE_PGM_RSRC2:TGID_X_EN: 1
; COMPUTE_PGM_RSRC2:TGID_Y_EN: 0
; COMPUTE_PGM_RSRC2:TGID_Z_EN: 0
; COMPUTE_PGM_RSRC2:TIDIG_COMP_CNT: 0
	.section	.text._ZL9mul_mat_fIfLi32ELi4ELi1ELb0EEvPKT_PKfPKiPfiiiiiiiiiiiiiiii,"axG",@progbits,_ZL9mul_mat_fIfLi32ELi4ELi1ELb0EEvPKT_PKfPKiPfiiiiiiiiiiiiiiii,comdat
	.globl	_ZL9mul_mat_fIfLi32ELi4ELi1ELb0EEvPKT_PKfPKiPfiiiiiiiiiiiiiiii ; -- Begin function _ZL9mul_mat_fIfLi32ELi4ELi1ELb0EEvPKT_PKfPKiPfiiiiiiiiiiiiiiii
	.p2align	8
	.type	_ZL9mul_mat_fIfLi32ELi4ELi1ELb0EEvPKT_PKfPKiPfiiiiiiiiiiiiiiii,@function
_ZL9mul_mat_fIfLi32ELi4ELi1ELb0EEvPKT_PKfPKiPfiiiiiiiiiiiiiiii: ; @_ZL9mul_mat_fIfLi32ELi4ELi1ELb0EEvPKT_PKfPKiPfiiiiiiiiiiiiiiii
; %bb.0:
	s_getpc_b64 s[2:3]
	s_sext_i32_i16 s3, s3
	s_add_co_u32 s2, s2, __FUNCTION__._ZL9mul_mat_fIfLi32ELi4ELi1ELb1EEvPKT_PKfPKiPfiiiiiiiiiiiiiiii@rel32@lo+8
	s_add_co_ci_u32 s3, s3, __FUNCTION__._ZL9mul_mat_fIfLi32ELi4ELi1ELb1EEvPKT_PKfPKiPfiiiiiiiiiiiiiiii@rel32@hi+16
	v_dual_mov_b32 v0, 59 :: v_dual_mov_b32 v1, s2
	v_mov_b32_e32 v2, s3
	s_add_nc_u64 s[8:9], s[0:1], 0x60
	s_getpc_b64 s[0:1]
	s_sext_i32_i16 s1, s1
	s_add_co_u32 s0, s0, _ZL14no_device_codePKciS0_iS0_@rel32@lo+8
	s_add_co_ci_u32 s1, s1, _ZL14no_device_codePKciS0_iS0_@rel32@hi+16
	s_mov_b32 s32, 0
	s_swappc_b64 s[30:31], s[0:1]
	.section	.rodata,"a",@progbits
	.p2align	6, 0x0
	.amdhsa_kernel _ZL9mul_mat_fIfLi32ELi4ELi1ELb0EEvPKT_PKfPKiPfiiiiiiiiiiiiiiii
		.amdhsa_group_segment_fixed_size 0
		.amdhsa_private_segment_fixed_size 16
		.amdhsa_kernarg_size 352
		.amdhsa_user_sgpr_count 2
		.amdhsa_user_sgpr_dispatch_ptr 0
		.amdhsa_user_sgpr_queue_ptr 0
		.amdhsa_user_sgpr_kernarg_segment_ptr 1
		.amdhsa_user_sgpr_dispatch_id 0
		.amdhsa_user_sgpr_private_segment_size 0
		.amdhsa_wavefront_size32 1
		.amdhsa_uses_dynamic_stack 0
		.amdhsa_enable_private_segment 1
		.amdhsa_system_sgpr_workgroup_id_x 1
		.amdhsa_system_sgpr_workgroup_id_y 0
		.amdhsa_system_sgpr_workgroup_id_z 0
		.amdhsa_system_sgpr_workgroup_info 0
		.amdhsa_system_vgpr_workitem_id 0
		.amdhsa_next_free_vgpr 38
		.amdhsa_next_free_sgpr 34
		.amdhsa_reserve_vcc 1
		.amdhsa_float_round_mode_32 0
		.amdhsa_float_round_mode_16_64 0
		.amdhsa_float_denorm_mode_32 3
		.amdhsa_float_denorm_mode_16_64 3
		.amdhsa_fp16_overflow 0
		.amdhsa_workgroup_processor_mode 1
		.amdhsa_memory_ordered 1
		.amdhsa_forward_progress 1
		.amdhsa_inst_pref_size 1
		.amdhsa_round_robin_scheduling 0
		.amdhsa_exception_fp_ieee_invalid_op 0
		.amdhsa_exception_fp_denorm_src 0
		.amdhsa_exception_fp_ieee_div_zero 0
		.amdhsa_exception_fp_ieee_overflow 0
		.amdhsa_exception_fp_ieee_underflow 0
		.amdhsa_exception_fp_ieee_inexact 0
		.amdhsa_exception_int_div_zero 0
	.end_amdhsa_kernel
	.section	.text._ZL9mul_mat_fIfLi32ELi4ELi1ELb0EEvPKT_PKfPKiPfiiiiiiiiiiiiiiii,"axG",@progbits,_ZL9mul_mat_fIfLi32ELi4ELi1ELb0EEvPKT_PKfPKiPfiiiiiiiiiiiiiiii,comdat
.Lfunc_end5:
	.size	_ZL9mul_mat_fIfLi32ELi4ELi1ELb0EEvPKT_PKfPKiPfiiiiiiiiiiiiiiii, .Lfunc_end5-_ZL9mul_mat_fIfLi32ELi4ELi1ELb0EEvPKT_PKfPKiPfiiiiiiiiiiiiiiii
                                        ; -- End function
	.set _ZL9mul_mat_fIfLi32ELi4ELi1ELb0EEvPKT_PKfPKiPfiiiiiiiiiiiiiiii.num_vgpr, max(3, .L_ZL14no_device_codePKciS0_iS0_.num_vgpr)
	.set _ZL9mul_mat_fIfLi32ELi4ELi1ELb0EEvPKT_PKfPKiPfiiiiiiiiiiiiiiii.num_agpr, max(0, .L_ZL14no_device_codePKciS0_iS0_.num_agpr)
	.set _ZL9mul_mat_fIfLi32ELi4ELi1ELb0EEvPKT_PKfPKiPfiiiiiiiiiiiiiiii.numbered_sgpr, max(33, .L_ZL14no_device_codePKciS0_iS0_.numbered_sgpr)
	.set _ZL9mul_mat_fIfLi32ELi4ELi1ELb0EEvPKT_PKfPKiPfiiiiiiiiiiiiiiii.num_named_barrier, max(0, .L_ZL14no_device_codePKciS0_iS0_.num_named_barrier)
	.set _ZL9mul_mat_fIfLi32ELi4ELi1ELb0EEvPKT_PKfPKiPfiiiiiiiiiiiiiiii.private_seg_size, 0+max(.L_ZL14no_device_codePKciS0_iS0_.private_seg_size)
	.set _ZL9mul_mat_fIfLi32ELi4ELi1ELb0EEvPKT_PKfPKiPfiiiiiiiiiiiiiiii.uses_vcc, or(1, .L_ZL14no_device_codePKciS0_iS0_.uses_vcc)
	.set _ZL9mul_mat_fIfLi32ELi4ELi1ELb0EEvPKT_PKfPKiPfiiiiiiiiiiiiiiii.uses_flat_scratch, or(0, .L_ZL14no_device_codePKciS0_iS0_.uses_flat_scratch)
	.set _ZL9mul_mat_fIfLi32ELi4ELi1ELb0EEvPKT_PKfPKiPfiiiiiiiiiiiiiiii.has_dyn_sized_stack, or(0, .L_ZL14no_device_codePKciS0_iS0_.has_dyn_sized_stack)
	.set _ZL9mul_mat_fIfLi32ELi4ELi1ELb0EEvPKT_PKfPKiPfiiiiiiiiiiiiiiii.has_recursion, or(0, .L_ZL14no_device_codePKciS0_iS0_.has_recursion)
	.set _ZL9mul_mat_fIfLi32ELi4ELi1ELb0EEvPKT_PKfPKiPfiiiiiiiiiiiiiiii.has_indirect_call, or(0, .L_ZL14no_device_codePKciS0_iS0_.has_indirect_call)
	.section	.AMDGPU.csdata,"",@progbits
; Kernel info:
; codeLenInByte = 76
; TotalNumSgprs: 36
; NumVgprs: 38
; ScratchSize: 16
; MemoryBound: 0
; FloatMode: 240
; IeeeMode: 1
; LDSByteSize: 0 bytes/workgroup (compile time only)
; SGPRBlocks: 0
; VGPRBlocks: 4
; NumSGPRsForWavesPerEU: 36
; NumVGPRsForWavesPerEU: 38
; Occupancy: 16
; WaveLimiterHint : 1
; COMPUTE_PGM_RSRC2:SCRATCH_EN: 1
; COMPUTE_PGM_RSRC2:USER_SGPR: 2
; COMPUTE_PGM_RSRC2:TRAP_HANDLER: 0
; COMPUTE_PGM_RSRC2:TGID_X_EN: 1
; COMPUTE_PGM_RSRC2:TGID_Y_EN: 0
; COMPUTE_PGM_RSRC2:TGID_Z_EN: 0
; COMPUTE_PGM_RSRC2:TIDIG_COMP_CNT: 0
	.section	.text._ZL13mul_mat_f_idsIfLi32ELi4ELi2EEvPKT_PKfPKiS6_S6_Pfiiiiiiiiiiiiii15HIP_vector_typeIjLj3EES9_,"axG",@progbits,_ZL13mul_mat_f_idsIfLi32ELi4ELi2EEvPKT_PKfPKiS6_S6_Pfiiiiiiiiiiiiii15HIP_vector_typeIjLj3EES9_,comdat
	.globl	_ZL13mul_mat_f_idsIfLi32ELi4ELi2EEvPKT_PKfPKiS6_S6_Pfiiiiiiiiiiiiii15HIP_vector_typeIjLj3EES9_ ; -- Begin function _ZL13mul_mat_f_idsIfLi32ELi4ELi2EEvPKT_PKfPKiS6_S6_Pfiiiiiiiiiiiiii15HIP_vector_typeIjLj3EES9_
	.p2align	8
	.type	_ZL13mul_mat_f_idsIfLi32ELi4ELi2EEvPKT_PKfPKiS6_S6_Pfiiiiiiiiiiiiii15HIP_vector_typeIjLj3EES9_,@function
_ZL13mul_mat_f_idsIfLi32ELi4ELi2EEvPKT_PKfPKiS6_S6_Pfiiiiiiiiiiiiii15HIP_vector_typeIjLj3EES9_: ; @_ZL13mul_mat_f_idsIfLi32ELi4ELi2EEvPKT_PKfPKiS6_S6_Pfiiiiiiiiiiiiii15HIP_vector_typeIjLj3EES9_
; %bb.0:
	s_getpc_b64 s[2:3]
	s_sext_i32_i16 s3, s3
	s_add_co_u32 s2, s2, __FUNCTION__._ZL13mul_mat_f_idsIfLi32ELi4ELi1EEvPKT_PKfPKiS6_S6_Pfiiiiiiiiiiiiii15HIP_vector_typeIjLj3EES9_@rel32@lo+8
	s_add_co_ci_u32 s3, s3, __FUNCTION__._ZL13mul_mat_f_idsIfLi32ELi4ELi1EEvPKT_PKfPKiS6_S6_Pfiiiiiiiiiiiiii15HIP_vector_typeIjLj3EES9_@rel32@hi+16
	v_dual_mov_b32 v0, 0x136 :: v_dual_mov_b32 v1, s2
	v_mov_b32_e32 v2, s3
	s_add_nc_u64 s[8:9], s[0:1], 0x80
	s_getpc_b64 s[0:1]
	s_sext_i32_i16 s1, s1
	s_add_co_u32 s0, s0, _ZL14no_device_codePKciS0_iS0_@rel32@lo+8
	s_add_co_ci_u32 s1, s1, _ZL14no_device_codePKciS0_iS0_@rel32@hi+16
	s_mov_b32 s32, 0
	s_swappc_b64 s[30:31], s[0:1]
	.section	.rodata,"a",@progbits
	.p2align	6, 0x0
	.amdhsa_kernel _ZL13mul_mat_f_idsIfLi32ELi4ELi2EEvPKT_PKfPKiS6_S6_Pfiiiiiiiiiiiiii15HIP_vector_typeIjLj3EES9_
		.amdhsa_group_segment_fixed_size 0
		.amdhsa_private_segment_fixed_size 16
		.amdhsa_kernarg_size 384
		.amdhsa_user_sgpr_count 2
		.amdhsa_user_sgpr_dispatch_ptr 0
		.amdhsa_user_sgpr_queue_ptr 0
		.amdhsa_user_sgpr_kernarg_segment_ptr 1
		.amdhsa_user_sgpr_dispatch_id 0
		.amdhsa_user_sgpr_private_segment_size 0
		.amdhsa_wavefront_size32 1
		.amdhsa_uses_dynamic_stack 0
		.amdhsa_enable_private_segment 1
		.amdhsa_system_sgpr_workgroup_id_x 1
		.amdhsa_system_sgpr_workgroup_id_y 0
		.amdhsa_system_sgpr_workgroup_id_z 0
		.amdhsa_system_sgpr_workgroup_info 0
		.amdhsa_system_vgpr_workitem_id 0
		.amdhsa_next_free_vgpr 38
		.amdhsa_next_free_sgpr 34
		.amdhsa_reserve_vcc 1
		.amdhsa_float_round_mode_32 0
		.amdhsa_float_round_mode_16_64 0
		.amdhsa_float_denorm_mode_32 3
		.amdhsa_float_denorm_mode_16_64 3
		.amdhsa_fp16_overflow 0
		.amdhsa_workgroup_processor_mode 1
		.amdhsa_memory_ordered 1
		.amdhsa_forward_progress 1
		.amdhsa_inst_pref_size 1
		.amdhsa_round_robin_scheduling 0
		.amdhsa_exception_fp_ieee_invalid_op 0
		.amdhsa_exception_fp_denorm_src 0
		.amdhsa_exception_fp_ieee_div_zero 0
		.amdhsa_exception_fp_ieee_overflow 0
		.amdhsa_exception_fp_ieee_underflow 0
		.amdhsa_exception_fp_ieee_inexact 0
		.amdhsa_exception_int_div_zero 0
	.end_amdhsa_kernel
	.section	.text._ZL13mul_mat_f_idsIfLi32ELi4ELi2EEvPKT_PKfPKiS6_S6_Pfiiiiiiiiiiiiii15HIP_vector_typeIjLj3EES9_,"axG",@progbits,_ZL13mul_mat_f_idsIfLi32ELi4ELi2EEvPKT_PKfPKiS6_S6_Pfiiiiiiiiiiiiii15HIP_vector_typeIjLj3EES9_,comdat
.Lfunc_end6:
	.size	_ZL13mul_mat_f_idsIfLi32ELi4ELi2EEvPKT_PKfPKiS6_S6_Pfiiiiiiiiiiiiii15HIP_vector_typeIjLj3EES9_, .Lfunc_end6-_ZL13mul_mat_f_idsIfLi32ELi4ELi2EEvPKT_PKfPKiS6_S6_Pfiiiiiiiiiiiiii15HIP_vector_typeIjLj3EES9_
                                        ; -- End function
	.set _ZL13mul_mat_f_idsIfLi32ELi4ELi2EEvPKT_PKfPKiS6_S6_Pfiiiiiiiiiiiiii15HIP_vector_typeIjLj3EES9_.num_vgpr, max(3, .L_ZL14no_device_codePKciS0_iS0_.num_vgpr)
	.set _ZL13mul_mat_f_idsIfLi32ELi4ELi2EEvPKT_PKfPKiS6_S6_Pfiiiiiiiiiiiiii15HIP_vector_typeIjLj3EES9_.num_agpr, max(0, .L_ZL14no_device_codePKciS0_iS0_.num_agpr)
	.set _ZL13mul_mat_f_idsIfLi32ELi4ELi2EEvPKT_PKfPKiS6_S6_Pfiiiiiiiiiiiiii15HIP_vector_typeIjLj3EES9_.numbered_sgpr, max(33, .L_ZL14no_device_codePKciS0_iS0_.numbered_sgpr)
	.set _ZL13mul_mat_f_idsIfLi32ELi4ELi2EEvPKT_PKfPKiS6_S6_Pfiiiiiiiiiiiiii15HIP_vector_typeIjLj3EES9_.num_named_barrier, max(0, .L_ZL14no_device_codePKciS0_iS0_.num_named_barrier)
	.set _ZL13mul_mat_f_idsIfLi32ELi4ELi2EEvPKT_PKfPKiS6_S6_Pfiiiiiiiiiiiiii15HIP_vector_typeIjLj3EES9_.private_seg_size, 0+max(.L_ZL14no_device_codePKciS0_iS0_.private_seg_size)
	.set _ZL13mul_mat_f_idsIfLi32ELi4ELi2EEvPKT_PKfPKiS6_S6_Pfiiiiiiiiiiiiii15HIP_vector_typeIjLj3EES9_.uses_vcc, or(1, .L_ZL14no_device_codePKciS0_iS0_.uses_vcc)
	.set _ZL13mul_mat_f_idsIfLi32ELi4ELi2EEvPKT_PKfPKiS6_S6_Pfiiiiiiiiiiiiii15HIP_vector_typeIjLj3EES9_.uses_flat_scratch, or(0, .L_ZL14no_device_codePKciS0_iS0_.uses_flat_scratch)
	.set _ZL13mul_mat_f_idsIfLi32ELi4ELi2EEvPKT_PKfPKiS6_S6_Pfiiiiiiiiiiiiii15HIP_vector_typeIjLj3EES9_.has_dyn_sized_stack, or(0, .L_ZL14no_device_codePKciS0_iS0_.has_dyn_sized_stack)
	.set _ZL13mul_mat_f_idsIfLi32ELi4ELi2EEvPKT_PKfPKiS6_S6_Pfiiiiiiiiiiiiii15HIP_vector_typeIjLj3EES9_.has_recursion, or(0, .L_ZL14no_device_codePKciS0_iS0_.has_recursion)
	.set _ZL13mul_mat_f_idsIfLi32ELi4ELi2EEvPKT_PKfPKiS6_S6_Pfiiiiiiiiiiiiii15HIP_vector_typeIjLj3EES9_.has_indirect_call, or(0, .L_ZL14no_device_codePKciS0_iS0_.has_indirect_call)
	.section	.AMDGPU.csdata,"",@progbits
; Kernel info:
; codeLenInByte = 80
; TotalNumSgprs: 36
; NumVgprs: 38
; ScratchSize: 16
; MemoryBound: 0
; FloatMode: 240
; IeeeMode: 1
; LDSByteSize: 0 bytes/workgroup (compile time only)
; SGPRBlocks: 0
; VGPRBlocks: 4
; NumSGPRsForWavesPerEU: 36
; NumVGPRsForWavesPerEU: 38
; Occupancy: 16
; WaveLimiterHint : 1
; COMPUTE_PGM_RSRC2:SCRATCH_EN: 1
; COMPUTE_PGM_RSRC2:USER_SGPR: 2
; COMPUTE_PGM_RSRC2:TRAP_HANDLER: 0
; COMPUTE_PGM_RSRC2:TGID_X_EN: 1
; COMPUTE_PGM_RSRC2:TGID_Y_EN: 0
; COMPUTE_PGM_RSRC2:TGID_Z_EN: 0
; COMPUTE_PGM_RSRC2:TIDIG_COMP_CNT: 0
	.section	.text._ZL9mul_mat_fIfLi32ELi4ELi2ELb1EEvPKT_PKfPKiPfiiiiiiiiiiiiiiii,"axG",@progbits,_ZL9mul_mat_fIfLi32ELi4ELi2ELb1EEvPKT_PKfPKiPfiiiiiiiiiiiiiiii,comdat
	.globl	_ZL9mul_mat_fIfLi32ELi4ELi2ELb1EEvPKT_PKfPKiPfiiiiiiiiiiiiiiii ; -- Begin function _ZL9mul_mat_fIfLi32ELi4ELi2ELb1EEvPKT_PKfPKiPfiiiiiiiiiiiiiiii
	.p2align	8
	.type	_ZL9mul_mat_fIfLi32ELi4ELi2ELb1EEvPKT_PKfPKiPfiiiiiiiiiiiiiiii,@function
_ZL9mul_mat_fIfLi32ELi4ELi2ELb1EEvPKT_PKfPKiPfiiiiiiiiiiiiiiii: ; @_ZL9mul_mat_fIfLi32ELi4ELi2ELb1EEvPKT_PKfPKiPfiiiiiiiiiiiiiiii
; %bb.0:
	s_getpc_b64 s[2:3]
	s_sext_i32_i16 s3, s3
	s_add_co_u32 s2, s2, __FUNCTION__._ZL9mul_mat_fIfLi32ELi4ELi1ELb1EEvPKT_PKfPKiPfiiiiiiiiiiiiiiii@rel32@lo+8
	s_add_co_ci_u32 s3, s3, __FUNCTION__._ZL9mul_mat_fIfLi32ELi4ELi1ELb1EEvPKT_PKfPKiPfiiiiiiiiiiiiiiii@rel32@hi+16
	v_dual_mov_b32 v0, 59 :: v_dual_mov_b32 v1, s2
	v_mov_b32_e32 v2, s3
	s_add_nc_u64 s[8:9], s[0:1], 0x60
	s_getpc_b64 s[0:1]
	s_sext_i32_i16 s1, s1
	s_add_co_u32 s0, s0, _ZL14no_device_codePKciS0_iS0_@rel32@lo+8
	s_add_co_ci_u32 s1, s1, _ZL14no_device_codePKciS0_iS0_@rel32@hi+16
	s_mov_b32 s32, 0
	s_swappc_b64 s[30:31], s[0:1]
	.section	.rodata,"a",@progbits
	.p2align	6, 0x0
	.amdhsa_kernel _ZL9mul_mat_fIfLi32ELi4ELi2ELb1EEvPKT_PKfPKiPfiiiiiiiiiiiiiiii
		.amdhsa_group_segment_fixed_size 0
		.amdhsa_private_segment_fixed_size 16
		.amdhsa_kernarg_size 352
		.amdhsa_user_sgpr_count 2
		.amdhsa_user_sgpr_dispatch_ptr 0
		.amdhsa_user_sgpr_queue_ptr 0
		.amdhsa_user_sgpr_kernarg_segment_ptr 1
		.amdhsa_user_sgpr_dispatch_id 0
		.amdhsa_user_sgpr_private_segment_size 0
		.amdhsa_wavefront_size32 1
		.amdhsa_uses_dynamic_stack 0
		.amdhsa_enable_private_segment 1
		.amdhsa_system_sgpr_workgroup_id_x 1
		.amdhsa_system_sgpr_workgroup_id_y 0
		.amdhsa_system_sgpr_workgroup_id_z 0
		.amdhsa_system_sgpr_workgroup_info 0
		.amdhsa_system_vgpr_workitem_id 0
		.amdhsa_next_free_vgpr 38
		.amdhsa_next_free_sgpr 34
		.amdhsa_reserve_vcc 1
		.amdhsa_float_round_mode_32 0
		.amdhsa_float_round_mode_16_64 0
		.amdhsa_float_denorm_mode_32 3
		.amdhsa_float_denorm_mode_16_64 3
		.amdhsa_fp16_overflow 0
		.amdhsa_workgroup_processor_mode 1
		.amdhsa_memory_ordered 1
		.amdhsa_forward_progress 1
		.amdhsa_inst_pref_size 1
		.amdhsa_round_robin_scheduling 0
		.amdhsa_exception_fp_ieee_invalid_op 0
		.amdhsa_exception_fp_denorm_src 0
		.amdhsa_exception_fp_ieee_div_zero 0
		.amdhsa_exception_fp_ieee_overflow 0
		.amdhsa_exception_fp_ieee_underflow 0
		.amdhsa_exception_fp_ieee_inexact 0
		.amdhsa_exception_int_div_zero 0
	.end_amdhsa_kernel
	.section	.text._ZL9mul_mat_fIfLi32ELi4ELi2ELb1EEvPKT_PKfPKiPfiiiiiiiiiiiiiiii,"axG",@progbits,_ZL9mul_mat_fIfLi32ELi4ELi2ELb1EEvPKT_PKfPKiPfiiiiiiiiiiiiiiii,comdat
.Lfunc_end7:
	.size	_ZL9mul_mat_fIfLi32ELi4ELi2ELb1EEvPKT_PKfPKiPfiiiiiiiiiiiiiiii, .Lfunc_end7-_ZL9mul_mat_fIfLi32ELi4ELi2ELb1EEvPKT_PKfPKiPfiiiiiiiiiiiiiiii
                                        ; -- End function
	.set _ZL9mul_mat_fIfLi32ELi4ELi2ELb1EEvPKT_PKfPKiPfiiiiiiiiiiiiiiii.num_vgpr, max(3, .L_ZL14no_device_codePKciS0_iS0_.num_vgpr)
	.set _ZL9mul_mat_fIfLi32ELi4ELi2ELb1EEvPKT_PKfPKiPfiiiiiiiiiiiiiiii.num_agpr, max(0, .L_ZL14no_device_codePKciS0_iS0_.num_agpr)
	.set _ZL9mul_mat_fIfLi32ELi4ELi2ELb1EEvPKT_PKfPKiPfiiiiiiiiiiiiiiii.numbered_sgpr, max(33, .L_ZL14no_device_codePKciS0_iS0_.numbered_sgpr)
	.set _ZL9mul_mat_fIfLi32ELi4ELi2ELb1EEvPKT_PKfPKiPfiiiiiiiiiiiiiiii.num_named_barrier, max(0, .L_ZL14no_device_codePKciS0_iS0_.num_named_barrier)
	.set _ZL9mul_mat_fIfLi32ELi4ELi2ELb1EEvPKT_PKfPKiPfiiiiiiiiiiiiiiii.private_seg_size, 0+max(.L_ZL14no_device_codePKciS0_iS0_.private_seg_size)
	.set _ZL9mul_mat_fIfLi32ELi4ELi2ELb1EEvPKT_PKfPKiPfiiiiiiiiiiiiiiii.uses_vcc, or(1, .L_ZL14no_device_codePKciS0_iS0_.uses_vcc)
	.set _ZL9mul_mat_fIfLi32ELi4ELi2ELb1EEvPKT_PKfPKiPfiiiiiiiiiiiiiiii.uses_flat_scratch, or(0, .L_ZL14no_device_codePKciS0_iS0_.uses_flat_scratch)
	.set _ZL9mul_mat_fIfLi32ELi4ELi2ELb1EEvPKT_PKfPKiPfiiiiiiiiiiiiiiii.has_dyn_sized_stack, or(0, .L_ZL14no_device_codePKciS0_iS0_.has_dyn_sized_stack)
	.set _ZL9mul_mat_fIfLi32ELi4ELi2ELb1EEvPKT_PKfPKiPfiiiiiiiiiiiiiiii.has_recursion, or(0, .L_ZL14no_device_codePKciS0_iS0_.has_recursion)
	.set _ZL9mul_mat_fIfLi32ELi4ELi2ELb1EEvPKT_PKfPKiPfiiiiiiiiiiiiiiii.has_indirect_call, or(0, .L_ZL14no_device_codePKciS0_iS0_.has_indirect_call)
	.section	.AMDGPU.csdata,"",@progbits
; Kernel info:
; codeLenInByte = 76
; TotalNumSgprs: 36
; NumVgprs: 38
; ScratchSize: 16
; MemoryBound: 0
; FloatMode: 240
; IeeeMode: 1
; LDSByteSize: 0 bytes/workgroup (compile time only)
; SGPRBlocks: 0
; VGPRBlocks: 4
; NumSGPRsForWavesPerEU: 36
; NumVGPRsForWavesPerEU: 38
; Occupancy: 16
; WaveLimiterHint : 1
; COMPUTE_PGM_RSRC2:SCRATCH_EN: 1
; COMPUTE_PGM_RSRC2:USER_SGPR: 2
; COMPUTE_PGM_RSRC2:TRAP_HANDLER: 0
; COMPUTE_PGM_RSRC2:TGID_X_EN: 1
; COMPUTE_PGM_RSRC2:TGID_Y_EN: 0
; COMPUTE_PGM_RSRC2:TGID_Z_EN: 0
; COMPUTE_PGM_RSRC2:TIDIG_COMP_CNT: 0
	.section	.text._ZL9mul_mat_fIfLi32ELi4ELi2ELb0EEvPKT_PKfPKiPfiiiiiiiiiiiiiiii,"axG",@progbits,_ZL9mul_mat_fIfLi32ELi4ELi2ELb0EEvPKT_PKfPKiPfiiiiiiiiiiiiiiii,comdat
	.globl	_ZL9mul_mat_fIfLi32ELi4ELi2ELb0EEvPKT_PKfPKiPfiiiiiiiiiiiiiiii ; -- Begin function _ZL9mul_mat_fIfLi32ELi4ELi2ELb0EEvPKT_PKfPKiPfiiiiiiiiiiiiiiii
	.p2align	8
	.type	_ZL9mul_mat_fIfLi32ELi4ELi2ELb0EEvPKT_PKfPKiPfiiiiiiiiiiiiiiii,@function
_ZL9mul_mat_fIfLi32ELi4ELi2ELb0EEvPKT_PKfPKiPfiiiiiiiiiiiiiiii: ; @_ZL9mul_mat_fIfLi32ELi4ELi2ELb0EEvPKT_PKfPKiPfiiiiiiiiiiiiiiii
; %bb.0:
	s_getpc_b64 s[2:3]
	s_sext_i32_i16 s3, s3
	s_add_co_u32 s2, s2, __FUNCTION__._ZL9mul_mat_fIfLi32ELi4ELi1ELb1EEvPKT_PKfPKiPfiiiiiiiiiiiiiiii@rel32@lo+8
	s_add_co_ci_u32 s3, s3, __FUNCTION__._ZL9mul_mat_fIfLi32ELi4ELi1ELb1EEvPKT_PKfPKiPfiiiiiiiiiiiiiiii@rel32@hi+16
	v_dual_mov_b32 v0, 59 :: v_dual_mov_b32 v1, s2
	v_mov_b32_e32 v2, s3
	s_add_nc_u64 s[8:9], s[0:1], 0x60
	s_getpc_b64 s[0:1]
	s_sext_i32_i16 s1, s1
	s_add_co_u32 s0, s0, _ZL14no_device_codePKciS0_iS0_@rel32@lo+8
	s_add_co_ci_u32 s1, s1, _ZL14no_device_codePKciS0_iS0_@rel32@hi+16
	s_mov_b32 s32, 0
	s_swappc_b64 s[30:31], s[0:1]
	.section	.rodata,"a",@progbits
	.p2align	6, 0x0
	.amdhsa_kernel _ZL9mul_mat_fIfLi32ELi4ELi2ELb0EEvPKT_PKfPKiPfiiiiiiiiiiiiiiii
		.amdhsa_group_segment_fixed_size 0
		.amdhsa_private_segment_fixed_size 16
		.amdhsa_kernarg_size 352
		.amdhsa_user_sgpr_count 2
		.amdhsa_user_sgpr_dispatch_ptr 0
		.amdhsa_user_sgpr_queue_ptr 0
		.amdhsa_user_sgpr_kernarg_segment_ptr 1
		.amdhsa_user_sgpr_dispatch_id 0
		.amdhsa_user_sgpr_private_segment_size 0
		.amdhsa_wavefront_size32 1
		.amdhsa_uses_dynamic_stack 0
		.amdhsa_enable_private_segment 1
		.amdhsa_system_sgpr_workgroup_id_x 1
		.amdhsa_system_sgpr_workgroup_id_y 0
		.amdhsa_system_sgpr_workgroup_id_z 0
		.amdhsa_system_sgpr_workgroup_info 0
		.amdhsa_system_vgpr_workitem_id 0
		.amdhsa_next_free_vgpr 38
		.amdhsa_next_free_sgpr 34
		.amdhsa_reserve_vcc 1
		.amdhsa_float_round_mode_32 0
		.amdhsa_float_round_mode_16_64 0
		.amdhsa_float_denorm_mode_32 3
		.amdhsa_float_denorm_mode_16_64 3
		.amdhsa_fp16_overflow 0
		.amdhsa_workgroup_processor_mode 1
		.amdhsa_memory_ordered 1
		.amdhsa_forward_progress 1
		.amdhsa_inst_pref_size 1
		.amdhsa_round_robin_scheduling 0
		.amdhsa_exception_fp_ieee_invalid_op 0
		.amdhsa_exception_fp_denorm_src 0
		.amdhsa_exception_fp_ieee_div_zero 0
		.amdhsa_exception_fp_ieee_overflow 0
		.amdhsa_exception_fp_ieee_underflow 0
		.amdhsa_exception_fp_ieee_inexact 0
		.amdhsa_exception_int_div_zero 0
	.end_amdhsa_kernel
	.section	.text._ZL9mul_mat_fIfLi32ELi4ELi2ELb0EEvPKT_PKfPKiPfiiiiiiiiiiiiiiii,"axG",@progbits,_ZL9mul_mat_fIfLi32ELi4ELi2ELb0EEvPKT_PKfPKiPfiiiiiiiiiiiiiiii,comdat
.Lfunc_end8:
	.size	_ZL9mul_mat_fIfLi32ELi4ELi2ELb0EEvPKT_PKfPKiPfiiiiiiiiiiiiiiii, .Lfunc_end8-_ZL9mul_mat_fIfLi32ELi4ELi2ELb0EEvPKT_PKfPKiPfiiiiiiiiiiiiiiii
                                        ; -- End function
	.set _ZL9mul_mat_fIfLi32ELi4ELi2ELb0EEvPKT_PKfPKiPfiiiiiiiiiiiiiiii.num_vgpr, max(3, .L_ZL14no_device_codePKciS0_iS0_.num_vgpr)
	.set _ZL9mul_mat_fIfLi32ELi4ELi2ELb0EEvPKT_PKfPKiPfiiiiiiiiiiiiiiii.num_agpr, max(0, .L_ZL14no_device_codePKciS0_iS0_.num_agpr)
	.set _ZL9mul_mat_fIfLi32ELi4ELi2ELb0EEvPKT_PKfPKiPfiiiiiiiiiiiiiiii.numbered_sgpr, max(33, .L_ZL14no_device_codePKciS0_iS0_.numbered_sgpr)
	.set _ZL9mul_mat_fIfLi32ELi4ELi2ELb0EEvPKT_PKfPKiPfiiiiiiiiiiiiiiii.num_named_barrier, max(0, .L_ZL14no_device_codePKciS0_iS0_.num_named_barrier)
	.set _ZL9mul_mat_fIfLi32ELi4ELi2ELb0EEvPKT_PKfPKiPfiiiiiiiiiiiiiiii.private_seg_size, 0+max(.L_ZL14no_device_codePKciS0_iS0_.private_seg_size)
	.set _ZL9mul_mat_fIfLi32ELi4ELi2ELb0EEvPKT_PKfPKiPfiiiiiiiiiiiiiiii.uses_vcc, or(1, .L_ZL14no_device_codePKciS0_iS0_.uses_vcc)
	.set _ZL9mul_mat_fIfLi32ELi4ELi2ELb0EEvPKT_PKfPKiPfiiiiiiiiiiiiiiii.uses_flat_scratch, or(0, .L_ZL14no_device_codePKciS0_iS0_.uses_flat_scratch)
	.set _ZL9mul_mat_fIfLi32ELi4ELi2ELb0EEvPKT_PKfPKiPfiiiiiiiiiiiiiiii.has_dyn_sized_stack, or(0, .L_ZL14no_device_codePKciS0_iS0_.has_dyn_sized_stack)
	.set _ZL9mul_mat_fIfLi32ELi4ELi2ELb0EEvPKT_PKfPKiPfiiiiiiiiiiiiiiii.has_recursion, or(0, .L_ZL14no_device_codePKciS0_iS0_.has_recursion)
	.set _ZL9mul_mat_fIfLi32ELi4ELi2ELb0EEvPKT_PKfPKiPfiiiiiiiiiiiiiiii.has_indirect_call, or(0, .L_ZL14no_device_codePKciS0_iS0_.has_indirect_call)
	.section	.AMDGPU.csdata,"",@progbits
; Kernel info:
; codeLenInByte = 76
; TotalNumSgprs: 36
; NumVgprs: 38
; ScratchSize: 16
; MemoryBound: 0
; FloatMode: 240
; IeeeMode: 1
; LDSByteSize: 0 bytes/workgroup (compile time only)
; SGPRBlocks: 0
; VGPRBlocks: 4
; NumSGPRsForWavesPerEU: 36
; NumVGPRsForWavesPerEU: 38
; Occupancy: 16
; WaveLimiterHint : 1
; COMPUTE_PGM_RSRC2:SCRATCH_EN: 1
; COMPUTE_PGM_RSRC2:USER_SGPR: 2
; COMPUTE_PGM_RSRC2:TRAP_HANDLER: 0
; COMPUTE_PGM_RSRC2:TGID_X_EN: 1
; COMPUTE_PGM_RSRC2:TGID_Y_EN: 0
; COMPUTE_PGM_RSRC2:TGID_Z_EN: 0
; COMPUTE_PGM_RSRC2:TIDIG_COMP_CNT: 0
	.section	.text._ZL13mul_mat_f_idsIfLi32ELi4ELi3EEvPKT_PKfPKiS6_S6_Pfiiiiiiiiiiiiii15HIP_vector_typeIjLj3EES9_,"axG",@progbits,_ZL13mul_mat_f_idsIfLi32ELi4ELi3EEvPKT_PKfPKiS6_S6_Pfiiiiiiiiiiiiii15HIP_vector_typeIjLj3EES9_,comdat
	.globl	_ZL13mul_mat_f_idsIfLi32ELi4ELi3EEvPKT_PKfPKiS6_S6_Pfiiiiiiiiiiiiii15HIP_vector_typeIjLj3EES9_ ; -- Begin function _ZL13mul_mat_f_idsIfLi32ELi4ELi3EEvPKT_PKfPKiS6_S6_Pfiiiiiiiiiiiiii15HIP_vector_typeIjLj3EES9_
	.p2align	8
	.type	_ZL13mul_mat_f_idsIfLi32ELi4ELi3EEvPKT_PKfPKiS6_S6_Pfiiiiiiiiiiiiii15HIP_vector_typeIjLj3EES9_,@function
_ZL13mul_mat_f_idsIfLi32ELi4ELi3EEvPKT_PKfPKiS6_S6_Pfiiiiiiiiiiiiii15HIP_vector_typeIjLj3EES9_: ; @_ZL13mul_mat_f_idsIfLi32ELi4ELi3EEvPKT_PKfPKiS6_S6_Pfiiiiiiiiiiiiii15HIP_vector_typeIjLj3EES9_
; %bb.0:
	s_getpc_b64 s[2:3]
	s_sext_i32_i16 s3, s3
	s_add_co_u32 s2, s2, __FUNCTION__._ZL13mul_mat_f_idsIfLi32ELi4ELi1EEvPKT_PKfPKiS6_S6_Pfiiiiiiiiiiiiii15HIP_vector_typeIjLj3EES9_@rel32@lo+8
	s_add_co_ci_u32 s3, s3, __FUNCTION__._ZL13mul_mat_f_idsIfLi32ELi4ELi1EEvPKT_PKfPKiS6_S6_Pfiiiiiiiiiiiiii15HIP_vector_typeIjLj3EES9_@rel32@hi+16
	v_dual_mov_b32 v0, 0x136 :: v_dual_mov_b32 v1, s2
	v_mov_b32_e32 v2, s3
	s_add_nc_u64 s[8:9], s[0:1], 0x80
	s_getpc_b64 s[0:1]
	s_sext_i32_i16 s1, s1
	s_add_co_u32 s0, s0, _ZL14no_device_codePKciS0_iS0_@rel32@lo+8
	s_add_co_ci_u32 s1, s1, _ZL14no_device_codePKciS0_iS0_@rel32@hi+16
	s_mov_b32 s32, 0
	s_swappc_b64 s[30:31], s[0:1]
	.section	.rodata,"a",@progbits
	.p2align	6, 0x0
	.amdhsa_kernel _ZL13mul_mat_f_idsIfLi32ELi4ELi3EEvPKT_PKfPKiS6_S6_Pfiiiiiiiiiiiiii15HIP_vector_typeIjLj3EES9_
		.amdhsa_group_segment_fixed_size 0
		.amdhsa_private_segment_fixed_size 16
		.amdhsa_kernarg_size 384
		.amdhsa_user_sgpr_count 2
		.amdhsa_user_sgpr_dispatch_ptr 0
		.amdhsa_user_sgpr_queue_ptr 0
		.amdhsa_user_sgpr_kernarg_segment_ptr 1
		.amdhsa_user_sgpr_dispatch_id 0
		.amdhsa_user_sgpr_private_segment_size 0
		.amdhsa_wavefront_size32 1
		.amdhsa_uses_dynamic_stack 0
		.amdhsa_enable_private_segment 1
		.amdhsa_system_sgpr_workgroup_id_x 1
		.amdhsa_system_sgpr_workgroup_id_y 0
		.amdhsa_system_sgpr_workgroup_id_z 0
		.amdhsa_system_sgpr_workgroup_info 0
		.amdhsa_system_vgpr_workitem_id 0
		.amdhsa_next_free_vgpr 38
		.amdhsa_next_free_sgpr 34
		.amdhsa_reserve_vcc 1
		.amdhsa_float_round_mode_32 0
		.amdhsa_float_round_mode_16_64 0
		.amdhsa_float_denorm_mode_32 3
		.amdhsa_float_denorm_mode_16_64 3
		.amdhsa_fp16_overflow 0
		.amdhsa_workgroup_processor_mode 1
		.amdhsa_memory_ordered 1
		.amdhsa_forward_progress 1
		.amdhsa_inst_pref_size 1
		.amdhsa_round_robin_scheduling 0
		.amdhsa_exception_fp_ieee_invalid_op 0
		.amdhsa_exception_fp_denorm_src 0
		.amdhsa_exception_fp_ieee_div_zero 0
		.amdhsa_exception_fp_ieee_overflow 0
		.amdhsa_exception_fp_ieee_underflow 0
		.amdhsa_exception_fp_ieee_inexact 0
		.amdhsa_exception_int_div_zero 0
	.end_amdhsa_kernel
	.section	.text._ZL13mul_mat_f_idsIfLi32ELi4ELi3EEvPKT_PKfPKiS6_S6_Pfiiiiiiiiiiiiii15HIP_vector_typeIjLj3EES9_,"axG",@progbits,_ZL13mul_mat_f_idsIfLi32ELi4ELi3EEvPKT_PKfPKiS6_S6_Pfiiiiiiiiiiiiii15HIP_vector_typeIjLj3EES9_,comdat
.Lfunc_end9:
	.size	_ZL13mul_mat_f_idsIfLi32ELi4ELi3EEvPKT_PKfPKiS6_S6_Pfiiiiiiiiiiiiii15HIP_vector_typeIjLj3EES9_, .Lfunc_end9-_ZL13mul_mat_f_idsIfLi32ELi4ELi3EEvPKT_PKfPKiS6_S6_Pfiiiiiiiiiiiiii15HIP_vector_typeIjLj3EES9_
                                        ; -- End function
	.set _ZL13mul_mat_f_idsIfLi32ELi4ELi3EEvPKT_PKfPKiS6_S6_Pfiiiiiiiiiiiiii15HIP_vector_typeIjLj3EES9_.num_vgpr, max(3, .L_ZL14no_device_codePKciS0_iS0_.num_vgpr)
	.set _ZL13mul_mat_f_idsIfLi32ELi4ELi3EEvPKT_PKfPKiS6_S6_Pfiiiiiiiiiiiiii15HIP_vector_typeIjLj3EES9_.num_agpr, max(0, .L_ZL14no_device_codePKciS0_iS0_.num_agpr)
	.set _ZL13mul_mat_f_idsIfLi32ELi4ELi3EEvPKT_PKfPKiS6_S6_Pfiiiiiiiiiiiiii15HIP_vector_typeIjLj3EES9_.numbered_sgpr, max(33, .L_ZL14no_device_codePKciS0_iS0_.numbered_sgpr)
	.set _ZL13mul_mat_f_idsIfLi32ELi4ELi3EEvPKT_PKfPKiS6_S6_Pfiiiiiiiiiiiiii15HIP_vector_typeIjLj3EES9_.num_named_barrier, max(0, .L_ZL14no_device_codePKciS0_iS0_.num_named_barrier)
	.set _ZL13mul_mat_f_idsIfLi32ELi4ELi3EEvPKT_PKfPKiS6_S6_Pfiiiiiiiiiiiiii15HIP_vector_typeIjLj3EES9_.private_seg_size, 0+max(.L_ZL14no_device_codePKciS0_iS0_.private_seg_size)
	.set _ZL13mul_mat_f_idsIfLi32ELi4ELi3EEvPKT_PKfPKiS6_S6_Pfiiiiiiiiiiiiii15HIP_vector_typeIjLj3EES9_.uses_vcc, or(1, .L_ZL14no_device_codePKciS0_iS0_.uses_vcc)
	.set _ZL13mul_mat_f_idsIfLi32ELi4ELi3EEvPKT_PKfPKiS6_S6_Pfiiiiiiiiiiiiii15HIP_vector_typeIjLj3EES9_.uses_flat_scratch, or(0, .L_ZL14no_device_codePKciS0_iS0_.uses_flat_scratch)
	.set _ZL13mul_mat_f_idsIfLi32ELi4ELi3EEvPKT_PKfPKiS6_S6_Pfiiiiiiiiiiiiii15HIP_vector_typeIjLj3EES9_.has_dyn_sized_stack, or(0, .L_ZL14no_device_codePKciS0_iS0_.has_dyn_sized_stack)
	.set _ZL13mul_mat_f_idsIfLi32ELi4ELi3EEvPKT_PKfPKiS6_S6_Pfiiiiiiiiiiiiii15HIP_vector_typeIjLj3EES9_.has_recursion, or(0, .L_ZL14no_device_codePKciS0_iS0_.has_recursion)
	.set _ZL13mul_mat_f_idsIfLi32ELi4ELi3EEvPKT_PKfPKiS6_S6_Pfiiiiiiiiiiiiii15HIP_vector_typeIjLj3EES9_.has_indirect_call, or(0, .L_ZL14no_device_codePKciS0_iS0_.has_indirect_call)
	.section	.AMDGPU.csdata,"",@progbits
; Kernel info:
; codeLenInByte = 80
; TotalNumSgprs: 36
; NumVgprs: 38
; ScratchSize: 16
; MemoryBound: 0
; FloatMode: 240
; IeeeMode: 1
; LDSByteSize: 0 bytes/workgroup (compile time only)
; SGPRBlocks: 0
; VGPRBlocks: 4
; NumSGPRsForWavesPerEU: 36
; NumVGPRsForWavesPerEU: 38
; Occupancy: 16
; WaveLimiterHint : 1
; COMPUTE_PGM_RSRC2:SCRATCH_EN: 1
; COMPUTE_PGM_RSRC2:USER_SGPR: 2
; COMPUTE_PGM_RSRC2:TRAP_HANDLER: 0
; COMPUTE_PGM_RSRC2:TGID_X_EN: 1
; COMPUTE_PGM_RSRC2:TGID_Y_EN: 0
; COMPUTE_PGM_RSRC2:TGID_Z_EN: 0
; COMPUTE_PGM_RSRC2:TIDIG_COMP_CNT: 0
	.section	.text._ZL9mul_mat_fIfLi32ELi4ELi3ELb1EEvPKT_PKfPKiPfiiiiiiiiiiiiiiii,"axG",@progbits,_ZL9mul_mat_fIfLi32ELi4ELi3ELb1EEvPKT_PKfPKiPfiiiiiiiiiiiiiiii,comdat
	.globl	_ZL9mul_mat_fIfLi32ELi4ELi3ELb1EEvPKT_PKfPKiPfiiiiiiiiiiiiiiii ; -- Begin function _ZL9mul_mat_fIfLi32ELi4ELi3ELb1EEvPKT_PKfPKiPfiiiiiiiiiiiiiiii
	.p2align	8
	.type	_ZL9mul_mat_fIfLi32ELi4ELi3ELb1EEvPKT_PKfPKiPfiiiiiiiiiiiiiiii,@function
_ZL9mul_mat_fIfLi32ELi4ELi3ELb1EEvPKT_PKfPKiPfiiiiiiiiiiiiiiii: ; @_ZL9mul_mat_fIfLi32ELi4ELi3ELb1EEvPKT_PKfPKiPfiiiiiiiiiiiiiiii
; %bb.0:
	s_getpc_b64 s[2:3]
	s_sext_i32_i16 s3, s3
	s_add_co_u32 s2, s2, __FUNCTION__._ZL9mul_mat_fIfLi32ELi4ELi1ELb1EEvPKT_PKfPKiPfiiiiiiiiiiiiiiii@rel32@lo+8
	s_add_co_ci_u32 s3, s3, __FUNCTION__._ZL9mul_mat_fIfLi32ELi4ELi1ELb1EEvPKT_PKfPKiPfiiiiiiiiiiiiiiii@rel32@hi+16
	v_dual_mov_b32 v0, 59 :: v_dual_mov_b32 v1, s2
	v_mov_b32_e32 v2, s3
	s_add_nc_u64 s[8:9], s[0:1], 0x60
	s_getpc_b64 s[0:1]
	s_sext_i32_i16 s1, s1
	s_add_co_u32 s0, s0, _ZL14no_device_codePKciS0_iS0_@rel32@lo+8
	s_add_co_ci_u32 s1, s1, _ZL14no_device_codePKciS0_iS0_@rel32@hi+16
	s_mov_b32 s32, 0
	s_swappc_b64 s[30:31], s[0:1]
	.section	.rodata,"a",@progbits
	.p2align	6, 0x0
	.amdhsa_kernel _ZL9mul_mat_fIfLi32ELi4ELi3ELb1EEvPKT_PKfPKiPfiiiiiiiiiiiiiiii
		.amdhsa_group_segment_fixed_size 0
		.amdhsa_private_segment_fixed_size 16
		.amdhsa_kernarg_size 352
		.amdhsa_user_sgpr_count 2
		.amdhsa_user_sgpr_dispatch_ptr 0
		.amdhsa_user_sgpr_queue_ptr 0
		.amdhsa_user_sgpr_kernarg_segment_ptr 1
		.amdhsa_user_sgpr_dispatch_id 0
		.amdhsa_user_sgpr_private_segment_size 0
		.amdhsa_wavefront_size32 1
		.amdhsa_uses_dynamic_stack 0
		.amdhsa_enable_private_segment 1
		.amdhsa_system_sgpr_workgroup_id_x 1
		.amdhsa_system_sgpr_workgroup_id_y 0
		.amdhsa_system_sgpr_workgroup_id_z 0
		.amdhsa_system_sgpr_workgroup_info 0
		.amdhsa_system_vgpr_workitem_id 0
		.amdhsa_next_free_vgpr 38
		.amdhsa_next_free_sgpr 34
		.amdhsa_reserve_vcc 1
		.amdhsa_float_round_mode_32 0
		.amdhsa_float_round_mode_16_64 0
		.amdhsa_float_denorm_mode_32 3
		.amdhsa_float_denorm_mode_16_64 3
		.amdhsa_fp16_overflow 0
		.amdhsa_workgroup_processor_mode 1
		.amdhsa_memory_ordered 1
		.amdhsa_forward_progress 1
		.amdhsa_inst_pref_size 1
		.amdhsa_round_robin_scheduling 0
		.amdhsa_exception_fp_ieee_invalid_op 0
		.amdhsa_exception_fp_denorm_src 0
		.amdhsa_exception_fp_ieee_div_zero 0
		.amdhsa_exception_fp_ieee_overflow 0
		.amdhsa_exception_fp_ieee_underflow 0
		.amdhsa_exception_fp_ieee_inexact 0
		.amdhsa_exception_int_div_zero 0
	.end_amdhsa_kernel
	.section	.text._ZL9mul_mat_fIfLi32ELi4ELi3ELb1EEvPKT_PKfPKiPfiiiiiiiiiiiiiiii,"axG",@progbits,_ZL9mul_mat_fIfLi32ELi4ELi3ELb1EEvPKT_PKfPKiPfiiiiiiiiiiiiiiii,comdat
.Lfunc_end10:
	.size	_ZL9mul_mat_fIfLi32ELi4ELi3ELb1EEvPKT_PKfPKiPfiiiiiiiiiiiiiiii, .Lfunc_end10-_ZL9mul_mat_fIfLi32ELi4ELi3ELb1EEvPKT_PKfPKiPfiiiiiiiiiiiiiiii
                                        ; -- End function
	.set _ZL9mul_mat_fIfLi32ELi4ELi3ELb1EEvPKT_PKfPKiPfiiiiiiiiiiiiiiii.num_vgpr, max(3, .L_ZL14no_device_codePKciS0_iS0_.num_vgpr)
	.set _ZL9mul_mat_fIfLi32ELi4ELi3ELb1EEvPKT_PKfPKiPfiiiiiiiiiiiiiiii.num_agpr, max(0, .L_ZL14no_device_codePKciS0_iS0_.num_agpr)
	.set _ZL9mul_mat_fIfLi32ELi4ELi3ELb1EEvPKT_PKfPKiPfiiiiiiiiiiiiiiii.numbered_sgpr, max(33, .L_ZL14no_device_codePKciS0_iS0_.numbered_sgpr)
	.set _ZL9mul_mat_fIfLi32ELi4ELi3ELb1EEvPKT_PKfPKiPfiiiiiiiiiiiiiiii.num_named_barrier, max(0, .L_ZL14no_device_codePKciS0_iS0_.num_named_barrier)
	.set _ZL9mul_mat_fIfLi32ELi4ELi3ELb1EEvPKT_PKfPKiPfiiiiiiiiiiiiiiii.private_seg_size, 0+max(.L_ZL14no_device_codePKciS0_iS0_.private_seg_size)
	.set _ZL9mul_mat_fIfLi32ELi4ELi3ELb1EEvPKT_PKfPKiPfiiiiiiiiiiiiiiii.uses_vcc, or(1, .L_ZL14no_device_codePKciS0_iS0_.uses_vcc)
	.set _ZL9mul_mat_fIfLi32ELi4ELi3ELb1EEvPKT_PKfPKiPfiiiiiiiiiiiiiiii.uses_flat_scratch, or(0, .L_ZL14no_device_codePKciS0_iS0_.uses_flat_scratch)
	.set _ZL9mul_mat_fIfLi32ELi4ELi3ELb1EEvPKT_PKfPKiPfiiiiiiiiiiiiiiii.has_dyn_sized_stack, or(0, .L_ZL14no_device_codePKciS0_iS0_.has_dyn_sized_stack)
	.set _ZL9mul_mat_fIfLi32ELi4ELi3ELb1EEvPKT_PKfPKiPfiiiiiiiiiiiiiiii.has_recursion, or(0, .L_ZL14no_device_codePKciS0_iS0_.has_recursion)
	.set _ZL9mul_mat_fIfLi32ELi4ELi3ELb1EEvPKT_PKfPKiPfiiiiiiiiiiiiiiii.has_indirect_call, or(0, .L_ZL14no_device_codePKciS0_iS0_.has_indirect_call)
	.section	.AMDGPU.csdata,"",@progbits
; Kernel info:
; codeLenInByte = 76
; TotalNumSgprs: 36
; NumVgprs: 38
; ScratchSize: 16
; MemoryBound: 0
; FloatMode: 240
; IeeeMode: 1
; LDSByteSize: 0 bytes/workgroup (compile time only)
; SGPRBlocks: 0
; VGPRBlocks: 4
; NumSGPRsForWavesPerEU: 36
; NumVGPRsForWavesPerEU: 38
; Occupancy: 16
; WaveLimiterHint : 1
; COMPUTE_PGM_RSRC2:SCRATCH_EN: 1
; COMPUTE_PGM_RSRC2:USER_SGPR: 2
; COMPUTE_PGM_RSRC2:TRAP_HANDLER: 0
; COMPUTE_PGM_RSRC2:TGID_X_EN: 1
; COMPUTE_PGM_RSRC2:TGID_Y_EN: 0
; COMPUTE_PGM_RSRC2:TGID_Z_EN: 0
; COMPUTE_PGM_RSRC2:TIDIG_COMP_CNT: 0
	.section	.text._ZL9mul_mat_fIfLi32ELi4ELi3ELb0EEvPKT_PKfPKiPfiiiiiiiiiiiiiiii,"axG",@progbits,_ZL9mul_mat_fIfLi32ELi4ELi3ELb0EEvPKT_PKfPKiPfiiiiiiiiiiiiiiii,comdat
	.globl	_ZL9mul_mat_fIfLi32ELi4ELi3ELb0EEvPKT_PKfPKiPfiiiiiiiiiiiiiiii ; -- Begin function _ZL9mul_mat_fIfLi32ELi4ELi3ELb0EEvPKT_PKfPKiPfiiiiiiiiiiiiiiii
	.p2align	8
	.type	_ZL9mul_mat_fIfLi32ELi4ELi3ELb0EEvPKT_PKfPKiPfiiiiiiiiiiiiiiii,@function
_ZL9mul_mat_fIfLi32ELi4ELi3ELb0EEvPKT_PKfPKiPfiiiiiiiiiiiiiiii: ; @_ZL9mul_mat_fIfLi32ELi4ELi3ELb0EEvPKT_PKfPKiPfiiiiiiiiiiiiiiii
; %bb.0:
	s_getpc_b64 s[2:3]
	s_sext_i32_i16 s3, s3
	s_add_co_u32 s2, s2, __FUNCTION__._ZL9mul_mat_fIfLi32ELi4ELi1ELb1EEvPKT_PKfPKiPfiiiiiiiiiiiiiiii@rel32@lo+8
	s_add_co_ci_u32 s3, s3, __FUNCTION__._ZL9mul_mat_fIfLi32ELi4ELi1ELb1EEvPKT_PKfPKiPfiiiiiiiiiiiiiiii@rel32@hi+16
	v_dual_mov_b32 v0, 59 :: v_dual_mov_b32 v1, s2
	v_mov_b32_e32 v2, s3
	s_add_nc_u64 s[8:9], s[0:1], 0x60
	s_getpc_b64 s[0:1]
	s_sext_i32_i16 s1, s1
	s_add_co_u32 s0, s0, _ZL14no_device_codePKciS0_iS0_@rel32@lo+8
	s_add_co_ci_u32 s1, s1, _ZL14no_device_codePKciS0_iS0_@rel32@hi+16
	s_mov_b32 s32, 0
	s_swappc_b64 s[30:31], s[0:1]
	.section	.rodata,"a",@progbits
	.p2align	6, 0x0
	.amdhsa_kernel _ZL9mul_mat_fIfLi32ELi4ELi3ELb0EEvPKT_PKfPKiPfiiiiiiiiiiiiiiii
		.amdhsa_group_segment_fixed_size 0
		.amdhsa_private_segment_fixed_size 16
		.amdhsa_kernarg_size 352
		.amdhsa_user_sgpr_count 2
		.amdhsa_user_sgpr_dispatch_ptr 0
		.amdhsa_user_sgpr_queue_ptr 0
		.amdhsa_user_sgpr_kernarg_segment_ptr 1
		.amdhsa_user_sgpr_dispatch_id 0
		.amdhsa_user_sgpr_private_segment_size 0
		.amdhsa_wavefront_size32 1
		.amdhsa_uses_dynamic_stack 0
		.amdhsa_enable_private_segment 1
		.amdhsa_system_sgpr_workgroup_id_x 1
		.amdhsa_system_sgpr_workgroup_id_y 0
		.amdhsa_system_sgpr_workgroup_id_z 0
		.amdhsa_system_sgpr_workgroup_info 0
		.amdhsa_system_vgpr_workitem_id 0
		.amdhsa_next_free_vgpr 38
		.amdhsa_next_free_sgpr 34
		.amdhsa_reserve_vcc 1
		.amdhsa_float_round_mode_32 0
		.amdhsa_float_round_mode_16_64 0
		.amdhsa_float_denorm_mode_32 3
		.amdhsa_float_denorm_mode_16_64 3
		.amdhsa_fp16_overflow 0
		.amdhsa_workgroup_processor_mode 1
		.amdhsa_memory_ordered 1
		.amdhsa_forward_progress 1
		.amdhsa_inst_pref_size 1
		.amdhsa_round_robin_scheduling 0
		.amdhsa_exception_fp_ieee_invalid_op 0
		.amdhsa_exception_fp_denorm_src 0
		.amdhsa_exception_fp_ieee_div_zero 0
		.amdhsa_exception_fp_ieee_overflow 0
		.amdhsa_exception_fp_ieee_underflow 0
		.amdhsa_exception_fp_ieee_inexact 0
		.amdhsa_exception_int_div_zero 0
	.end_amdhsa_kernel
	.section	.text._ZL9mul_mat_fIfLi32ELi4ELi3ELb0EEvPKT_PKfPKiPfiiiiiiiiiiiiiiii,"axG",@progbits,_ZL9mul_mat_fIfLi32ELi4ELi3ELb0EEvPKT_PKfPKiPfiiiiiiiiiiiiiiii,comdat
.Lfunc_end11:
	.size	_ZL9mul_mat_fIfLi32ELi4ELi3ELb0EEvPKT_PKfPKiPfiiiiiiiiiiiiiiii, .Lfunc_end11-_ZL9mul_mat_fIfLi32ELi4ELi3ELb0EEvPKT_PKfPKiPfiiiiiiiiiiiiiiii
                                        ; -- End function
	.set _ZL9mul_mat_fIfLi32ELi4ELi3ELb0EEvPKT_PKfPKiPfiiiiiiiiiiiiiiii.num_vgpr, max(3, .L_ZL14no_device_codePKciS0_iS0_.num_vgpr)
	.set _ZL9mul_mat_fIfLi32ELi4ELi3ELb0EEvPKT_PKfPKiPfiiiiiiiiiiiiiiii.num_agpr, max(0, .L_ZL14no_device_codePKciS0_iS0_.num_agpr)
	.set _ZL9mul_mat_fIfLi32ELi4ELi3ELb0EEvPKT_PKfPKiPfiiiiiiiiiiiiiiii.numbered_sgpr, max(33, .L_ZL14no_device_codePKciS0_iS0_.numbered_sgpr)
	.set _ZL9mul_mat_fIfLi32ELi4ELi3ELb0EEvPKT_PKfPKiPfiiiiiiiiiiiiiiii.num_named_barrier, max(0, .L_ZL14no_device_codePKciS0_iS0_.num_named_barrier)
	.set _ZL9mul_mat_fIfLi32ELi4ELi3ELb0EEvPKT_PKfPKiPfiiiiiiiiiiiiiiii.private_seg_size, 0+max(.L_ZL14no_device_codePKciS0_iS0_.private_seg_size)
	.set _ZL9mul_mat_fIfLi32ELi4ELi3ELb0EEvPKT_PKfPKiPfiiiiiiiiiiiiiiii.uses_vcc, or(1, .L_ZL14no_device_codePKciS0_iS0_.uses_vcc)
	.set _ZL9mul_mat_fIfLi32ELi4ELi3ELb0EEvPKT_PKfPKiPfiiiiiiiiiiiiiiii.uses_flat_scratch, or(0, .L_ZL14no_device_codePKciS0_iS0_.uses_flat_scratch)
	.set _ZL9mul_mat_fIfLi32ELi4ELi3ELb0EEvPKT_PKfPKiPfiiiiiiiiiiiiiiii.has_dyn_sized_stack, or(0, .L_ZL14no_device_codePKciS0_iS0_.has_dyn_sized_stack)
	.set _ZL9mul_mat_fIfLi32ELi4ELi3ELb0EEvPKT_PKfPKiPfiiiiiiiiiiiiiiii.has_recursion, or(0, .L_ZL14no_device_codePKciS0_iS0_.has_recursion)
	.set _ZL9mul_mat_fIfLi32ELi4ELi3ELb0EEvPKT_PKfPKiPfiiiiiiiiiiiiiiii.has_indirect_call, or(0, .L_ZL14no_device_codePKciS0_iS0_.has_indirect_call)
	.section	.AMDGPU.csdata,"",@progbits
; Kernel info:
; codeLenInByte = 76
; TotalNumSgprs: 36
; NumVgprs: 38
; ScratchSize: 16
; MemoryBound: 0
; FloatMode: 240
; IeeeMode: 1
; LDSByteSize: 0 bytes/workgroup (compile time only)
; SGPRBlocks: 0
; VGPRBlocks: 4
; NumSGPRsForWavesPerEU: 36
; NumVGPRsForWavesPerEU: 38
; Occupancy: 16
; WaveLimiterHint : 1
; COMPUTE_PGM_RSRC2:SCRATCH_EN: 1
; COMPUTE_PGM_RSRC2:USER_SGPR: 2
; COMPUTE_PGM_RSRC2:TRAP_HANDLER: 0
; COMPUTE_PGM_RSRC2:TGID_X_EN: 1
; COMPUTE_PGM_RSRC2:TGID_Y_EN: 0
; COMPUTE_PGM_RSRC2:TGID_Z_EN: 0
; COMPUTE_PGM_RSRC2:TIDIG_COMP_CNT: 0
	.section	.text._ZL13mul_mat_f_idsIfLi32ELi4ELi4EEvPKT_PKfPKiS6_S6_Pfiiiiiiiiiiiiii15HIP_vector_typeIjLj3EES9_,"axG",@progbits,_ZL13mul_mat_f_idsIfLi32ELi4ELi4EEvPKT_PKfPKiS6_S6_Pfiiiiiiiiiiiiii15HIP_vector_typeIjLj3EES9_,comdat
	.globl	_ZL13mul_mat_f_idsIfLi32ELi4ELi4EEvPKT_PKfPKiS6_S6_Pfiiiiiiiiiiiiii15HIP_vector_typeIjLj3EES9_ ; -- Begin function _ZL13mul_mat_f_idsIfLi32ELi4ELi4EEvPKT_PKfPKiS6_S6_Pfiiiiiiiiiiiiii15HIP_vector_typeIjLj3EES9_
	.p2align	8
	.type	_ZL13mul_mat_f_idsIfLi32ELi4ELi4EEvPKT_PKfPKiS6_S6_Pfiiiiiiiiiiiiii15HIP_vector_typeIjLj3EES9_,@function
_ZL13mul_mat_f_idsIfLi32ELi4ELi4EEvPKT_PKfPKiS6_S6_Pfiiiiiiiiiiiiii15HIP_vector_typeIjLj3EES9_: ; @_ZL13mul_mat_f_idsIfLi32ELi4ELi4EEvPKT_PKfPKiS6_S6_Pfiiiiiiiiiiiiii15HIP_vector_typeIjLj3EES9_
; %bb.0:
	s_getpc_b64 s[2:3]
	s_sext_i32_i16 s3, s3
	s_add_co_u32 s2, s2, __FUNCTION__._ZL13mul_mat_f_idsIfLi32ELi4ELi1EEvPKT_PKfPKiS6_S6_Pfiiiiiiiiiiiiii15HIP_vector_typeIjLj3EES9_@rel32@lo+8
	s_add_co_ci_u32 s3, s3, __FUNCTION__._ZL13mul_mat_f_idsIfLi32ELi4ELi1EEvPKT_PKfPKiS6_S6_Pfiiiiiiiiiiiiii15HIP_vector_typeIjLj3EES9_@rel32@hi+16
	v_dual_mov_b32 v0, 0x136 :: v_dual_mov_b32 v1, s2
	v_mov_b32_e32 v2, s3
	s_add_nc_u64 s[8:9], s[0:1], 0x80
	s_getpc_b64 s[0:1]
	s_sext_i32_i16 s1, s1
	s_add_co_u32 s0, s0, _ZL14no_device_codePKciS0_iS0_@rel32@lo+8
	s_add_co_ci_u32 s1, s1, _ZL14no_device_codePKciS0_iS0_@rel32@hi+16
	s_mov_b32 s32, 0
	s_swappc_b64 s[30:31], s[0:1]
	.section	.rodata,"a",@progbits
	.p2align	6, 0x0
	.amdhsa_kernel _ZL13mul_mat_f_idsIfLi32ELi4ELi4EEvPKT_PKfPKiS6_S6_Pfiiiiiiiiiiiiii15HIP_vector_typeIjLj3EES9_
		.amdhsa_group_segment_fixed_size 0
		.amdhsa_private_segment_fixed_size 16
		.amdhsa_kernarg_size 384
		.amdhsa_user_sgpr_count 2
		.amdhsa_user_sgpr_dispatch_ptr 0
		.amdhsa_user_sgpr_queue_ptr 0
		.amdhsa_user_sgpr_kernarg_segment_ptr 1
		.amdhsa_user_sgpr_dispatch_id 0
		.amdhsa_user_sgpr_private_segment_size 0
		.amdhsa_wavefront_size32 1
		.amdhsa_uses_dynamic_stack 0
		.amdhsa_enable_private_segment 1
		.amdhsa_system_sgpr_workgroup_id_x 1
		.amdhsa_system_sgpr_workgroup_id_y 0
		.amdhsa_system_sgpr_workgroup_id_z 0
		.amdhsa_system_sgpr_workgroup_info 0
		.amdhsa_system_vgpr_workitem_id 0
		.amdhsa_next_free_vgpr 38
		.amdhsa_next_free_sgpr 34
		.amdhsa_reserve_vcc 1
		.amdhsa_float_round_mode_32 0
		.amdhsa_float_round_mode_16_64 0
		.amdhsa_float_denorm_mode_32 3
		.amdhsa_float_denorm_mode_16_64 3
		.amdhsa_fp16_overflow 0
		.amdhsa_workgroup_processor_mode 1
		.amdhsa_memory_ordered 1
		.amdhsa_forward_progress 1
		.amdhsa_inst_pref_size 1
		.amdhsa_round_robin_scheduling 0
		.amdhsa_exception_fp_ieee_invalid_op 0
		.amdhsa_exception_fp_denorm_src 0
		.amdhsa_exception_fp_ieee_div_zero 0
		.amdhsa_exception_fp_ieee_overflow 0
		.amdhsa_exception_fp_ieee_underflow 0
		.amdhsa_exception_fp_ieee_inexact 0
		.amdhsa_exception_int_div_zero 0
	.end_amdhsa_kernel
	.section	.text._ZL13mul_mat_f_idsIfLi32ELi4ELi4EEvPKT_PKfPKiS6_S6_Pfiiiiiiiiiiiiii15HIP_vector_typeIjLj3EES9_,"axG",@progbits,_ZL13mul_mat_f_idsIfLi32ELi4ELi4EEvPKT_PKfPKiS6_S6_Pfiiiiiiiiiiiiii15HIP_vector_typeIjLj3EES9_,comdat
.Lfunc_end12:
	.size	_ZL13mul_mat_f_idsIfLi32ELi4ELi4EEvPKT_PKfPKiS6_S6_Pfiiiiiiiiiiiiii15HIP_vector_typeIjLj3EES9_, .Lfunc_end12-_ZL13mul_mat_f_idsIfLi32ELi4ELi4EEvPKT_PKfPKiS6_S6_Pfiiiiiiiiiiiiii15HIP_vector_typeIjLj3EES9_
                                        ; -- End function
	.set _ZL13mul_mat_f_idsIfLi32ELi4ELi4EEvPKT_PKfPKiS6_S6_Pfiiiiiiiiiiiiii15HIP_vector_typeIjLj3EES9_.num_vgpr, max(3, .L_ZL14no_device_codePKciS0_iS0_.num_vgpr)
	.set _ZL13mul_mat_f_idsIfLi32ELi4ELi4EEvPKT_PKfPKiS6_S6_Pfiiiiiiiiiiiiii15HIP_vector_typeIjLj3EES9_.num_agpr, max(0, .L_ZL14no_device_codePKciS0_iS0_.num_agpr)
	.set _ZL13mul_mat_f_idsIfLi32ELi4ELi4EEvPKT_PKfPKiS6_S6_Pfiiiiiiiiiiiiii15HIP_vector_typeIjLj3EES9_.numbered_sgpr, max(33, .L_ZL14no_device_codePKciS0_iS0_.numbered_sgpr)
	.set _ZL13mul_mat_f_idsIfLi32ELi4ELi4EEvPKT_PKfPKiS6_S6_Pfiiiiiiiiiiiiii15HIP_vector_typeIjLj3EES9_.num_named_barrier, max(0, .L_ZL14no_device_codePKciS0_iS0_.num_named_barrier)
	.set _ZL13mul_mat_f_idsIfLi32ELi4ELi4EEvPKT_PKfPKiS6_S6_Pfiiiiiiiiiiiiii15HIP_vector_typeIjLj3EES9_.private_seg_size, 0+max(.L_ZL14no_device_codePKciS0_iS0_.private_seg_size)
	.set _ZL13mul_mat_f_idsIfLi32ELi4ELi4EEvPKT_PKfPKiS6_S6_Pfiiiiiiiiiiiiii15HIP_vector_typeIjLj3EES9_.uses_vcc, or(1, .L_ZL14no_device_codePKciS0_iS0_.uses_vcc)
	.set _ZL13mul_mat_f_idsIfLi32ELi4ELi4EEvPKT_PKfPKiS6_S6_Pfiiiiiiiiiiiiii15HIP_vector_typeIjLj3EES9_.uses_flat_scratch, or(0, .L_ZL14no_device_codePKciS0_iS0_.uses_flat_scratch)
	.set _ZL13mul_mat_f_idsIfLi32ELi4ELi4EEvPKT_PKfPKiS6_S6_Pfiiiiiiiiiiiiii15HIP_vector_typeIjLj3EES9_.has_dyn_sized_stack, or(0, .L_ZL14no_device_codePKciS0_iS0_.has_dyn_sized_stack)
	.set _ZL13mul_mat_f_idsIfLi32ELi4ELi4EEvPKT_PKfPKiS6_S6_Pfiiiiiiiiiiiiii15HIP_vector_typeIjLj3EES9_.has_recursion, or(0, .L_ZL14no_device_codePKciS0_iS0_.has_recursion)
	.set _ZL13mul_mat_f_idsIfLi32ELi4ELi4EEvPKT_PKfPKiS6_S6_Pfiiiiiiiiiiiiii15HIP_vector_typeIjLj3EES9_.has_indirect_call, or(0, .L_ZL14no_device_codePKciS0_iS0_.has_indirect_call)
	.section	.AMDGPU.csdata,"",@progbits
; Kernel info:
; codeLenInByte = 80
; TotalNumSgprs: 36
; NumVgprs: 38
; ScratchSize: 16
; MemoryBound: 0
; FloatMode: 240
; IeeeMode: 1
; LDSByteSize: 0 bytes/workgroup (compile time only)
; SGPRBlocks: 0
; VGPRBlocks: 4
; NumSGPRsForWavesPerEU: 36
; NumVGPRsForWavesPerEU: 38
; Occupancy: 16
; WaveLimiterHint : 1
; COMPUTE_PGM_RSRC2:SCRATCH_EN: 1
; COMPUTE_PGM_RSRC2:USER_SGPR: 2
; COMPUTE_PGM_RSRC2:TRAP_HANDLER: 0
; COMPUTE_PGM_RSRC2:TGID_X_EN: 1
; COMPUTE_PGM_RSRC2:TGID_Y_EN: 0
; COMPUTE_PGM_RSRC2:TGID_Z_EN: 0
; COMPUTE_PGM_RSRC2:TIDIG_COMP_CNT: 0
	.section	.text._ZL9mul_mat_fIfLi32ELi4ELi4ELb1EEvPKT_PKfPKiPfiiiiiiiiiiiiiiii,"axG",@progbits,_ZL9mul_mat_fIfLi32ELi4ELi4ELb1EEvPKT_PKfPKiPfiiiiiiiiiiiiiiii,comdat
	.globl	_ZL9mul_mat_fIfLi32ELi4ELi4ELb1EEvPKT_PKfPKiPfiiiiiiiiiiiiiiii ; -- Begin function _ZL9mul_mat_fIfLi32ELi4ELi4ELb1EEvPKT_PKfPKiPfiiiiiiiiiiiiiiii
	.p2align	8
	.type	_ZL9mul_mat_fIfLi32ELi4ELi4ELb1EEvPKT_PKfPKiPfiiiiiiiiiiiiiiii,@function
_ZL9mul_mat_fIfLi32ELi4ELi4ELb1EEvPKT_PKfPKiPfiiiiiiiiiiiiiiii: ; @_ZL9mul_mat_fIfLi32ELi4ELi4ELb1EEvPKT_PKfPKiPfiiiiiiiiiiiiiiii
; %bb.0:
	s_getpc_b64 s[2:3]
	s_sext_i32_i16 s3, s3
	s_add_co_u32 s2, s2, __FUNCTION__._ZL9mul_mat_fIfLi32ELi4ELi1ELb1EEvPKT_PKfPKiPfiiiiiiiiiiiiiiii@rel32@lo+8
	s_add_co_ci_u32 s3, s3, __FUNCTION__._ZL9mul_mat_fIfLi32ELi4ELi1ELb1EEvPKT_PKfPKiPfiiiiiiiiiiiiiiii@rel32@hi+16
	v_dual_mov_b32 v0, 59 :: v_dual_mov_b32 v1, s2
	v_mov_b32_e32 v2, s3
	s_add_nc_u64 s[8:9], s[0:1], 0x60
	s_getpc_b64 s[0:1]
	s_sext_i32_i16 s1, s1
	s_add_co_u32 s0, s0, _ZL14no_device_codePKciS0_iS0_@rel32@lo+8
	s_add_co_ci_u32 s1, s1, _ZL14no_device_codePKciS0_iS0_@rel32@hi+16
	s_mov_b32 s32, 0
	s_swappc_b64 s[30:31], s[0:1]
	.section	.rodata,"a",@progbits
	.p2align	6, 0x0
	.amdhsa_kernel _ZL9mul_mat_fIfLi32ELi4ELi4ELb1EEvPKT_PKfPKiPfiiiiiiiiiiiiiiii
		.amdhsa_group_segment_fixed_size 0
		.amdhsa_private_segment_fixed_size 16
		.amdhsa_kernarg_size 352
		.amdhsa_user_sgpr_count 2
		.amdhsa_user_sgpr_dispatch_ptr 0
		.amdhsa_user_sgpr_queue_ptr 0
		.amdhsa_user_sgpr_kernarg_segment_ptr 1
		.amdhsa_user_sgpr_dispatch_id 0
		.amdhsa_user_sgpr_private_segment_size 0
		.amdhsa_wavefront_size32 1
		.amdhsa_uses_dynamic_stack 0
		.amdhsa_enable_private_segment 1
		.amdhsa_system_sgpr_workgroup_id_x 1
		.amdhsa_system_sgpr_workgroup_id_y 0
		.amdhsa_system_sgpr_workgroup_id_z 0
		.amdhsa_system_sgpr_workgroup_info 0
		.amdhsa_system_vgpr_workitem_id 0
		.amdhsa_next_free_vgpr 38
		.amdhsa_next_free_sgpr 34
		.amdhsa_reserve_vcc 1
		.amdhsa_float_round_mode_32 0
		.amdhsa_float_round_mode_16_64 0
		.amdhsa_float_denorm_mode_32 3
		.amdhsa_float_denorm_mode_16_64 3
		.amdhsa_fp16_overflow 0
		.amdhsa_workgroup_processor_mode 1
		.amdhsa_memory_ordered 1
		.amdhsa_forward_progress 1
		.amdhsa_inst_pref_size 1
		.amdhsa_round_robin_scheduling 0
		.amdhsa_exception_fp_ieee_invalid_op 0
		.amdhsa_exception_fp_denorm_src 0
		.amdhsa_exception_fp_ieee_div_zero 0
		.amdhsa_exception_fp_ieee_overflow 0
		.amdhsa_exception_fp_ieee_underflow 0
		.amdhsa_exception_fp_ieee_inexact 0
		.amdhsa_exception_int_div_zero 0
	.end_amdhsa_kernel
	.section	.text._ZL9mul_mat_fIfLi32ELi4ELi4ELb1EEvPKT_PKfPKiPfiiiiiiiiiiiiiiii,"axG",@progbits,_ZL9mul_mat_fIfLi32ELi4ELi4ELb1EEvPKT_PKfPKiPfiiiiiiiiiiiiiiii,comdat
.Lfunc_end13:
	.size	_ZL9mul_mat_fIfLi32ELi4ELi4ELb1EEvPKT_PKfPKiPfiiiiiiiiiiiiiiii, .Lfunc_end13-_ZL9mul_mat_fIfLi32ELi4ELi4ELb1EEvPKT_PKfPKiPfiiiiiiiiiiiiiiii
                                        ; -- End function
	.set _ZL9mul_mat_fIfLi32ELi4ELi4ELb1EEvPKT_PKfPKiPfiiiiiiiiiiiiiiii.num_vgpr, max(3, .L_ZL14no_device_codePKciS0_iS0_.num_vgpr)
	.set _ZL9mul_mat_fIfLi32ELi4ELi4ELb1EEvPKT_PKfPKiPfiiiiiiiiiiiiiiii.num_agpr, max(0, .L_ZL14no_device_codePKciS0_iS0_.num_agpr)
	.set _ZL9mul_mat_fIfLi32ELi4ELi4ELb1EEvPKT_PKfPKiPfiiiiiiiiiiiiiiii.numbered_sgpr, max(33, .L_ZL14no_device_codePKciS0_iS0_.numbered_sgpr)
	.set _ZL9mul_mat_fIfLi32ELi4ELi4ELb1EEvPKT_PKfPKiPfiiiiiiiiiiiiiiii.num_named_barrier, max(0, .L_ZL14no_device_codePKciS0_iS0_.num_named_barrier)
	.set _ZL9mul_mat_fIfLi32ELi4ELi4ELb1EEvPKT_PKfPKiPfiiiiiiiiiiiiiiii.private_seg_size, 0+max(.L_ZL14no_device_codePKciS0_iS0_.private_seg_size)
	.set _ZL9mul_mat_fIfLi32ELi4ELi4ELb1EEvPKT_PKfPKiPfiiiiiiiiiiiiiiii.uses_vcc, or(1, .L_ZL14no_device_codePKciS0_iS0_.uses_vcc)
	.set _ZL9mul_mat_fIfLi32ELi4ELi4ELb1EEvPKT_PKfPKiPfiiiiiiiiiiiiiiii.uses_flat_scratch, or(0, .L_ZL14no_device_codePKciS0_iS0_.uses_flat_scratch)
	.set _ZL9mul_mat_fIfLi32ELi4ELi4ELb1EEvPKT_PKfPKiPfiiiiiiiiiiiiiiii.has_dyn_sized_stack, or(0, .L_ZL14no_device_codePKciS0_iS0_.has_dyn_sized_stack)
	.set _ZL9mul_mat_fIfLi32ELi4ELi4ELb1EEvPKT_PKfPKiPfiiiiiiiiiiiiiiii.has_recursion, or(0, .L_ZL14no_device_codePKciS0_iS0_.has_recursion)
	.set _ZL9mul_mat_fIfLi32ELi4ELi4ELb1EEvPKT_PKfPKiPfiiiiiiiiiiiiiiii.has_indirect_call, or(0, .L_ZL14no_device_codePKciS0_iS0_.has_indirect_call)
	.section	.AMDGPU.csdata,"",@progbits
; Kernel info:
; codeLenInByte = 76
; TotalNumSgprs: 36
; NumVgprs: 38
; ScratchSize: 16
; MemoryBound: 0
; FloatMode: 240
; IeeeMode: 1
; LDSByteSize: 0 bytes/workgroup (compile time only)
; SGPRBlocks: 0
; VGPRBlocks: 4
; NumSGPRsForWavesPerEU: 36
; NumVGPRsForWavesPerEU: 38
; Occupancy: 16
; WaveLimiterHint : 1
; COMPUTE_PGM_RSRC2:SCRATCH_EN: 1
; COMPUTE_PGM_RSRC2:USER_SGPR: 2
; COMPUTE_PGM_RSRC2:TRAP_HANDLER: 0
; COMPUTE_PGM_RSRC2:TGID_X_EN: 1
; COMPUTE_PGM_RSRC2:TGID_Y_EN: 0
; COMPUTE_PGM_RSRC2:TGID_Z_EN: 0
; COMPUTE_PGM_RSRC2:TIDIG_COMP_CNT: 0
	.section	.text._ZL9mul_mat_fIfLi32ELi4ELi4ELb0EEvPKT_PKfPKiPfiiiiiiiiiiiiiiii,"axG",@progbits,_ZL9mul_mat_fIfLi32ELi4ELi4ELb0EEvPKT_PKfPKiPfiiiiiiiiiiiiiiii,comdat
	.globl	_ZL9mul_mat_fIfLi32ELi4ELi4ELb0EEvPKT_PKfPKiPfiiiiiiiiiiiiiiii ; -- Begin function _ZL9mul_mat_fIfLi32ELi4ELi4ELb0EEvPKT_PKfPKiPfiiiiiiiiiiiiiiii
	.p2align	8
	.type	_ZL9mul_mat_fIfLi32ELi4ELi4ELb0EEvPKT_PKfPKiPfiiiiiiiiiiiiiiii,@function
_ZL9mul_mat_fIfLi32ELi4ELi4ELb0EEvPKT_PKfPKiPfiiiiiiiiiiiiiiii: ; @_ZL9mul_mat_fIfLi32ELi4ELi4ELb0EEvPKT_PKfPKiPfiiiiiiiiiiiiiiii
; %bb.0:
	s_getpc_b64 s[2:3]
	s_sext_i32_i16 s3, s3
	s_add_co_u32 s2, s2, __FUNCTION__._ZL9mul_mat_fIfLi32ELi4ELi1ELb1EEvPKT_PKfPKiPfiiiiiiiiiiiiiiii@rel32@lo+8
	s_add_co_ci_u32 s3, s3, __FUNCTION__._ZL9mul_mat_fIfLi32ELi4ELi1ELb1EEvPKT_PKfPKiPfiiiiiiiiiiiiiiii@rel32@hi+16
	v_dual_mov_b32 v0, 59 :: v_dual_mov_b32 v1, s2
	v_mov_b32_e32 v2, s3
	s_add_nc_u64 s[8:9], s[0:1], 0x60
	s_getpc_b64 s[0:1]
	s_sext_i32_i16 s1, s1
	s_add_co_u32 s0, s0, _ZL14no_device_codePKciS0_iS0_@rel32@lo+8
	s_add_co_ci_u32 s1, s1, _ZL14no_device_codePKciS0_iS0_@rel32@hi+16
	s_mov_b32 s32, 0
	s_swappc_b64 s[30:31], s[0:1]
	.section	.rodata,"a",@progbits
	.p2align	6, 0x0
	.amdhsa_kernel _ZL9mul_mat_fIfLi32ELi4ELi4ELb0EEvPKT_PKfPKiPfiiiiiiiiiiiiiiii
		.amdhsa_group_segment_fixed_size 0
		.amdhsa_private_segment_fixed_size 16
		.amdhsa_kernarg_size 352
		.amdhsa_user_sgpr_count 2
		.amdhsa_user_sgpr_dispatch_ptr 0
		.amdhsa_user_sgpr_queue_ptr 0
		.amdhsa_user_sgpr_kernarg_segment_ptr 1
		.amdhsa_user_sgpr_dispatch_id 0
		.amdhsa_user_sgpr_private_segment_size 0
		.amdhsa_wavefront_size32 1
		.amdhsa_uses_dynamic_stack 0
		.amdhsa_enable_private_segment 1
		.amdhsa_system_sgpr_workgroup_id_x 1
		.amdhsa_system_sgpr_workgroup_id_y 0
		.amdhsa_system_sgpr_workgroup_id_z 0
		.amdhsa_system_sgpr_workgroup_info 0
		.amdhsa_system_vgpr_workitem_id 0
		.amdhsa_next_free_vgpr 38
		.amdhsa_next_free_sgpr 34
		.amdhsa_reserve_vcc 1
		.amdhsa_float_round_mode_32 0
		.amdhsa_float_round_mode_16_64 0
		.amdhsa_float_denorm_mode_32 3
		.amdhsa_float_denorm_mode_16_64 3
		.amdhsa_fp16_overflow 0
		.amdhsa_workgroup_processor_mode 1
		.amdhsa_memory_ordered 1
		.amdhsa_forward_progress 1
		.amdhsa_inst_pref_size 1
		.amdhsa_round_robin_scheduling 0
		.amdhsa_exception_fp_ieee_invalid_op 0
		.amdhsa_exception_fp_denorm_src 0
		.amdhsa_exception_fp_ieee_div_zero 0
		.amdhsa_exception_fp_ieee_overflow 0
		.amdhsa_exception_fp_ieee_underflow 0
		.amdhsa_exception_fp_ieee_inexact 0
		.amdhsa_exception_int_div_zero 0
	.end_amdhsa_kernel
	.section	.text._ZL9mul_mat_fIfLi32ELi4ELi4ELb0EEvPKT_PKfPKiPfiiiiiiiiiiiiiiii,"axG",@progbits,_ZL9mul_mat_fIfLi32ELi4ELi4ELb0EEvPKT_PKfPKiPfiiiiiiiiiiiiiiii,comdat
.Lfunc_end14:
	.size	_ZL9mul_mat_fIfLi32ELi4ELi4ELb0EEvPKT_PKfPKiPfiiiiiiiiiiiiiiii, .Lfunc_end14-_ZL9mul_mat_fIfLi32ELi4ELi4ELb0EEvPKT_PKfPKiPfiiiiiiiiiiiiiiii
                                        ; -- End function
	.set _ZL9mul_mat_fIfLi32ELi4ELi4ELb0EEvPKT_PKfPKiPfiiiiiiiiiiiiiiii.num_vgpr, max(3, .L_ZL14no_device_codePKciS0_iS0_.num_vgpr)
	.set _ZL9mul_mat_fIfLi32ELi4ELi4ELb0EEvPKT_PKfPKiPfiiiiiiiiiiiiiiii.num_agpr, max(0, .L_ZL14no_device_codePKciS0_iS0_.num_agpr)
	.set _ZL9mul_mat_fIfLi32ELi4ELi4ELb0EEvPKT_PKfPKiPfiiiiiiiiiiiiiiii.numbered_sgpr, max(33, .L_ZL14no_device_codePKciS0_iS0_.numbered_sgpr)
	.set _ZL9mul_mat_fIfLi32ELi4ELi4ELb0EEvPKT_PKfPKiPfiiiiiiiiiiiiiiii.num_named_barrier, max(0, .L_ZL14no_device_codePKciS0_iS0_.num_named_barrier)
	.set _ZL9mul_mat_fIfLi32ELi4ELi4ELb0EEvPKT_PKfPKiPfiiiiiiiiiiiiiiii.private_seg_size, 0+max(.L_ZL14no_device_codePKciS0_iS0_.private_seg_size)
	.set _ZL9mul_mat_fIfLi32ELi4ELi4ELb0EEvPKT_PKfPKiPfiiiiiiiiiiiiiiii.uses_vcc, or(1, .L_ZL14no_device_codePKciS0_iS0_.uses_vcc)
	.set _ZL9mul_mat_fIfLi32ELi4ELi4ELb0EEvPKT_PKfPKiPfiiiiiiiiiiiiiiii.uses_flat_scratch, or(0, .L_ZL14no_device_codePKciS0_iS0_.uses_flat_scratch)
	.set _ZL9mul_mat_fIfLi32ELi4ELi4ELb0EEvPKT_PKfPKiPfiiiiiiiiiiiiiiii.has_dyn_sized_stack, or(0, .L_ZL14no_device_codePKciS0_iS0_.has_dyn_sized_stack)
	.set _ZL9mul_mat_fIfLi32ELi4ELi4ELb0EEvPKT_PKfPKiPfiiiiiiiiiiiiiiii.has_recursion, or(0, .L_ZL14no_device_codePKciS0_iS0_.has_recursion)
	.set _ZL9mul_mat_fIfLi32ELi4ELi4ELb0EEvPKT_PKfPKiPfiiiiiiiiiiiiiiii.has_indirect_call, or(0, .L_ZL14no_device_codePKciS0_iS0_.has_indirect_call)
	.section	.AMDGPU.csdata,"",@progbits
; Kernel info:
; codeLenInByte = 76
; TotalNumSgprs: 36
; NumVgprs: 38
; ScratchSize: 16
; MemoryBound: 0
; FloatMode: 240
; IeeeMode: 1
; LDSByteSize: 0 bytes/workgroup (compile time only)
; SGPRBlocks: 0
; VGPRBlocks: 4
; NumSGPRsForWavesPerEU: 36
; NumVGPRsForWavesPerEU: 38
; Occupancy: 16
; WaveLimiterHint : 1
; COMPUTE_PGM_RSRC2:SCRATCH_EN: 1
; COMPUTE_PGM_RSRC2:USER_SGPR: 2
; COMPUTE_PGM_RSRC2:TRAP_HANDLER: 0
; COMPUTE_PGM_RSRC2:TGID_X_EN: 1
; COMPUTE_PGM_RSRC2:TGID_Y_EN: 0
; COMPUTE_PGM_RSRC2:TGID_Z_EN: 0
; COMPUTE_PGM_RSRC2:TIDIG_COMP_CNT: 0
	.section	.text._ZL13mul_mat_f_idsIfLi32ELi4ELi5EEvPKT_PKfPKiS6_S6_Pfiiiiiiiiiiiiii15HIP_vector_typeIjLj3EES9_,"axG",@progbits,_ZL13mul_mat_f_idsIfLi32ELi4ELi5EEvPKT_PKfPKiS6_S6_Pfiiiiiiiiiiiiii15HIP_vector_typeIjLj3EES9_,comdat
	.globl	_ZL13mul_mat_f_idsIfLi32ELi4ELi5EEvPKT_PKfPKiS6_S6_Pfiiiiiiiiiiiiii15HIP_vector_typeIjLj3EES9_ ; -- Begin function _ZL13mul_mat_f_idsIfLi32ELi4ELi5EEvPKT_PKfPKiS6_S6_Pfiiiiiiiiiiiiii15HIP_vector_typeIjLj3EES9_
	.p2align	8
	.type	_ZL13mul_mat_f_idsIfLi32ELi4ELi5EEvPKT_PKfPKiS6_S6_Pfiiiiiiiiiiiiii15HIP_vector_typeIjLj3EES9_,@function
_ZL13mul_mat_f_idsIfLi32ELi4ELi5EEvPKT_PKfPKiS6_S6_Pfiiiiiiiiiiiiii15HIP_vector_typeIjLj3EES9_: ; @_ZL13mul_mat_f_idsIfLi32ELi4ELi5EEvPKT_PKfPKiS6_S6_Pfiiiiiiiiiiiiii15HIP_vector_typeIjLj3EES9_
; %bb.0:
	s_getpc_b64 s[2:3]
	s_sext_i32_i16 s3, s3
	s_add_co_u32 s2, s2, __FUNCTION__._ZL13mul_mat_f_idsIfLi32ELi4ELi1EEvPKT_PKfPKiS6_S6_Pfiiiiiiiiiiiiii15HIP_vector_typeIjLj3EES9_@rel32@lo+8
	s_add_co_ci_u32 s3, s3, __FUNCTION__._ZL13mul_mat_f_idsIfLi32ELi4ELi1EEvPKT_PKfPKiS6_S6_Pfiiiiiiiiiiiiii15HIP_vector_typeIjLj3EES9_@rel32@hi+16
	v_dual_mov_b32 v0, 0x136 :: v_dual_mov_b32 v1, s2
	v_mov_b32_e32 v2, s3
	s_add_nc_u64 s[8:9], s[0:1], 0x80
	s_getpc_b64 s[0:1]
	s_sext_i32_i16 s1, s1
	s_add_co_u32 s0, s0, _ZL14no_device_codePKciS0_iS0_@rel32@lo+8
	s_add_co_ci_u32 s1, s1, _ZL14no_device_codePKciS0_iS0_@rel32@hi+16
	s_mov_b32 s32, 0
	s_swappc_b64 s[30:31], s[0:1]
	.section	.rodata,"a",@progbits
	.p2align	6, 0x0
	.amdhsa_kernel _ZL13mul_mat_f_idsIfLi32ELi4ELi5EEvPKT_PKfPKiS6_S6_Pfiiiiiiiiiiiiii15HIP_vector_typeIjLj3EES9_
		.amdhsa_group_segment_fixed_size 0
		.amdhsa_private_segment_fixed_size 16
		.amdhsa_kernarg_size 384
		.amdhsa_user_sgpr_count 2
		.amdhsa_user_sgpr_dispatch_ptr 0
		.amdhsa_user_sgpr_queue_ptr 0
		.amdhsa_user_sgpr_kernarg_segment_ptr 1
		.amdhsa_user_sgpr_dispatch_id 0
		.amdhsa_user_sgpr_private_segment_size 0
		.amdhsa_wavefront_size32 1
		.amdhsa_uses_dynamic_stack 0
		.amdhsa_enable_private_segment 1
		.amdhsa_system_sgpr_workgroup_id_x 1
		.amdhsa_system_sgpr_workgroup_id_y 0
		.amdhsa_system_sgpr_workgroup_id_z 0
		.amdhsa_system_sgpr_workgroup_info 0
		.amdhsa_system_vgpr_workitem_id 0
		.amdhsa_next_free_vgpr 38
		.amdhsa_next_free_sgpr 34
		.amdhsa_reserve_vcc 1
		.amdhsa_float_round_mode_32 0
		.amdhsa_float_round_mode_16_64 0
		.amdhsa_float_denorm_mode_32 3
		.amdhsa_float_denorm_mode_16_64 3
		.amdhsa_fp16_overflow 0
		.amdhsa_workgroup_processor_mode 1
		.amdhsa_memory_ordered 1
		.amdhsa_forward_progress 1
		.amdhsa_inst_pref_size 1
		.amdhsa_round_robin_scheduling 0
		.amdhsa_exception_fp_ieee_invalid_op 0
		.amdhsa_exception_fp_denorm_src 0
		.amdhsa_exception_fp_ieee_div_zero 0
		.amdhsa_exception_fp_ieee_overflow 0
		.amdhsa_exception_fp_ieee_underflow 0
		.amdhsa_exception_fp_ieee_inexact 0
		.amdhsa_exception_int_div_zero 0
	.end_amdhsa_kernel
	.section	.text._ZL13mul_mat_f_idsIfLi32ELi4ELi5EEvPKT_PKfPKiS6_S6_Pfiiiiiiiiiiiiii15HIP_vector_typeIjLj3EES9_,"axG",@progbits,_ZL13mul_mat_f_idsIfLi32ELi4ELi5EEvPKT_PKfPKiS6_S6_Pfiiiiiiiiiiiiii15HIP_vector_typeIjLj3EES9_,comdat
.Lfunc_end15:
	.size	_ZL13mul_mat_f_idsIfLi32ELi4ELi5EEvPKT_PKfPKiS6_S6_Pfiiiiiiiiiiiiii15HIP_vector_typeIjLj3EES9_, .Lfunc_end15-_ZL13mul_mat_f_idsIfLi32ELi4ELi5EEvPKT_PKfPKiS6_S6_Pfiiiiiiiiiiiiii15HIP_vector_typeIjLj3EES9_
                                        ; -- End function
	.set _ZL13mul_mat_f_idsIfLi32ELi4ELi5EEvPKT_PKfPKiS6_S6_Pfiiiiiiiiiiiiii15HIP_vector_typeIjLj3EES9_.num_vgpr, max(3, .L_ZL14no_device_codePKciS0_iS0_.num_vgpr)
	.set _ZL13mul_mat_f_idsIfLi32ELi4ELi5EEvPKT_PKfPKiS6_S6_Pfiiiiiiiiiiiiii15HIP_vector_typeIjLj3EES9_.num_agpr, max(0, .L_ZL14no_device_codePKciS0_iS0_.num_agpr)
	.set _ZL13mul_mat_f_idsIfLi32ELi4ELi5EEvPKT_PKfPKiS6_S6_Pfiiiiiiiiiiiiii15HIP_vector_typeIjLj3EES9_.numbered_sgpr, max(33, .L_ZL14no_device_codePKciS0_iS0_.numbered_sgpr)
	.set _ZL13mul_mat_f_idsIfLi32ELi4ELi5EEvPKT_PKfPKiS6_S6_Pfiiiiiiiiiiiiii15HIP_vector_typeIjLj3EES9_.num_named_barrier, max(0, .L_ZL14no_device_codePKciS0_iS0_.num_named_barrier)
	.set _ZL13mul_mat_f_idsIfLi32ELi4ELi5EEvPKT_PKfPKiS6_S6_Pfiiiiiiiiiiiiii15HIP_vector_typeIjLj3EES9_.private_seg_size, 0+max(.L_ZL14no_device_codePKciS0_iS0_.private_seg_size)
	.set _ZL13mul_mat_f_idsIfLi32ELi4ELi5EEvPKT_PKfPKiS6_S6_Pfiiiiiiiiiiiiii15HIP_vector_typeIjLj3EES9_.uses_vcc, or(1, .L_ZL14no_device_codePKciS0_iS0_.uses_vcc)
	.set _ZL13mul_mat_f_idsIfLi32ELi4ELi5EEvPKT_PKfPKiS6_S6_Pfiiiiiiiiiiiiii15HIP_vector_typeIjLj3EES9_.uses_flat_scratch, or(0, .L_ZL14no_device_codePKciS0_iS0_.uses_flat_scratch)
	.set _ZL13mul_mat_f_idsIfLi32ELi4ELi5EEvPKT_PKfPKiS6_S6_Pfiiiiiiiiiiiiii15HIP_vector_typeIjLj3EES9_.has_dyn_sized_stack, or(0, .L_ZL14no_device_codePKciS0_iS0_.has_dyn_sized_stack)
	.set _ZL13mul_mat_f_idsIfLi32ELi4ELi5EEvPKT_PKfPKiS6_S6_Pfiiiiiiiiiiiiii15HIP_vector_typeIjLj3EES9_.has_recursion, or(0, .L_ZL14no_device_codePKciS0_iS0_.has_recursion)
	.set _ZL13mul_mat_f_idsIfLi32ELi4ELi5EEvPKT_PKfPKiS6_S6_Pfiiiiiiiiiiiiii15HIP_vector_typeIjLj3EES9_.has_indirect_call, or(0, .L_ZL14no_device_codePKciS0_iS0_.has_indirect_call)
	.section	.AMDGPU.csdata,"",@progbits
; Kernel info:
; codeLenInByte = 80
; TotalNumSgprs: 36
; NumVgprs: 38
; ScratchSize: 16
; MemoryBound: 0
; FloatMode: 240
; IeeeMode: 1
; LDSByteSize: 0 bytes/workgroup (compile time only)
; SGPRBlocks: 0
; VGPRBlocks: 4
; NumSGPRsForWavesPerEU: 36
; NumVGPRsForWavesPerEU: 38
; Occupancy: 16
; WaveLimiterHint : 1
; COMPUTE_PGM_RSRC2:SCRATCH_EN: 1
; COMPUTE_PGM_RSRC2:USER_SGPR: 2
; COMPUTE_PGM_RSRC2:TRAP_HANDLER: 0
; COMPUTE_PGM_RSRC2:TGID_X_EN: 1
; COMPUTE_PGM_RSRC2:TGID_Y_EN: 0
; COMPUTE_PGM_RSRC2:TGID_Z_EN: 0
; COMPUTE_PGM_RSRC2:TIDIG_COMP_CNT: 0
	.section	.text._ZL9mul_mat_fIfLi32ELi4ELi5ELb1EEvPKT_PKfPKiPfiiiiiiiiiiiiiiii,"axG",@progbits,_ZL9mul_mat_fIfLi32ELi4ELi5ELb1EEvPKT_PKfPKiPfiiiiiiiiiiiiiiii,comdat
	.globl	_ZL9mul_mat_fIfLi32ELi4ELi5ELb1EEvPKT_PKfPKiPfiiiiiiiiiiiiiiii ; -- Begin function _ZL9mul_mat_fIfLi32ELi4ELi5ELb1EEvPKT_PKfPKiPfiiiiiiiiiiiiiiii
	.p2align	8
	.type	_ZL9mul_mat_fIfLi32ELi4ELi5ELb1EEvPKT_PKfPKiPfiiiiiiiiiiiiiiii,@function
_ZL9mul_mat_fIfLi32ELi4ELi5ELb1EEvPKT_PKfPKiPfiiiiiiiiiiiiiiii: ; @_ZL9mul_mat_fIfLi32ELi4ELi5ELb1EEvPKT_PKfPKiPfiiiiiiiiiiiiiiii
; %bb.0:
	s_getpc_b64 s[2:3]
	s_sext_i32_i16 s3, s3
	s_add_co_u32 s2, s2, __FUNCTION__._ZL9mul_mat_fIfLi32ELi4ELi1ELb1EEvPKT_PKfPKiPfiiiiiiiiiiiiiiii@rel32@lo+8
	s_add_co_ci_u32 s3, s3, __FUNCTION__._ZL9mul_mat_fIfLi32ELi4ELi1ELb1EEvPKT_PKfPKiPfiiiiiiiiiiiiiiii@rel32@hi+16
	v_dual_mov_b32 v0, 59 :: v_dual_mov_b32 v1, s2
	v_mov_b32_e32 v2, s3
	s_add_nc_u64 s[8:9], s[0:1], 0x60
	s_getpc_b64 s[0:1]
	s_sext_i32_i16 s1, s1
	s_add_co_u32 s0, s0, _ZL14no_device_codePKciS0_iS0_@rel32@lo+8
	s_add_co_ci_u32 s1, s1, _ZL14no_device_codePKciS0_iS0_@rel32@hi+16
	s_mov_b32 s32, 0
	s_swappc_b64 s[30:31], s[0:1]
	.section	.rodata,"a",@progbits
	.p2align	6, 0x0
	.amdhsa_kernel _ZL9mul_mat_fIfLi32ELi4ELi5ELb1EEvPKT_PKfPKiPfiiiiiiiiiiiiiiii
		.amdhsa_group_segment_fixed_size 0
		.amdhsa_private_segment_fixed_size 16
		.amdhsa_kernarg_size 352
		.amdhsa_user_sgpr_count 2
		.amdhsa_user_sgpr_dispatch_ptr 0
		.amdhsa_user_sgpr_queue_ptr 0
		.amdhsa_user_sgpr_kernarg_segment_ptr 1
		.amdhsa_user_sgpr_dispatch_id 0
		.amdhsa_user_sgpr_private_segment_size 0
		.amdhsa_wavefront_size32 1
		.amdhsa_uses_dynamic_stack 0
		.amdhsa_enable_private_segment 1
		.amdhsa_system_sgpr_workgroup_id_x 1
		.amdhsa_system_sgpr_workgroup_id_y 0
		.amdhsa_system_sgpr_workgroup_id_z 0
		.amdhsa_system_sgpr_workgroup_info 0
		.amdhsa_system_vgpr_workitem_id 0
		.amdhsa_next_free_vgpr 38
		.amdhsa_next_free_sgpr 34
		.amdhsa_reserve_vcc 1
		.amdhsa_float_round_mode_32 0
		.amdhsa_float_round_mode_16_64 0
		.amdhsa_float_denorm_mode_32 3
		.amdhsa_float_denorm_mode_16_64 3
		.amdhsa_fp16_overflow 0
		.amdhsa_workgroup_processor_mode 1
		.amdhsa_memory_ordered 1
		.amdhsa_forward_progress 1
		.amdhsa_inst_pref_size 1
		.amdhsa_round_robin_scheduling 0
		.amdhsa_exception_fp_ieee_invalid_op 0
		.amdhsa_exception_fp_denorm_src 0
		.amdhsa_exception_fp_ieee_div_zero 0
		.amdhsa_exception_fp_ieee_overflow 0
		.amdhsa_exception_fp_ieee_underflow 0
		.amdhsa_exception_fp_ieee_inexact 0
		.amdhsa_exception_int_div_zero 0
	.end_amdhsa_kernel
	.section	.text._ZL9mul_mat_fIfLi32ELi4ELi5ELb1EEvPKT_PKfPKiPfiiiiiiiiiiiiiiii,"axG",@progbits,_ZL9mul_mat_fIfLi32ELi4ELi5ELb1EEvPKT_PKfPKiPfiiiiiiiiiiiiiiii,comdat
.Lfunc_end16:
	.size	_ZL9mul_mat_fIfLi32ELi4ELi5ELb1EEvPKT_PKfPKiPfiiiiiiiiiiiiiiii, .Lfunc_end16-_ZL9mul_mat_fIfLi32ELi4ELi5ELb1EEvPKT_PKfPKiPfiiiiiiiiiiiiiiii
                                        ; -- End function
	.set _ZL9mul_mat_fIfLi32ELi4ELi5ELb1EEvPKT_PKfPKiPfiiiiiiiiiiiiiiii.num_vgpr, max(3, .L_ZL14no_device_codePKciS0_iS0_.num_vgpr)
	.set _ZL9mul_mat_fIfLi32ELi4ELi5ELb1EEvPKT_PKfPKiPfiiiiiiiiiiiiiiii.num_agpr, max(0, .L_ZL14no_device_codePKciS0_iS0_.num_agpr)
	.set _ZL9mul_mat_fIfLi32ELi4ELi5ELb1EEvPKT_PKfPKiPfiiiiiiiiiiiiiiii.numbered_sgpr, max(33, .L_ZL14no_device_codePKciS0_iS0_.numbered_sgpr)
	.set _ZL9mul_mat_fIfLi32ELi4ELi5ELb1EEvPKT_PKfPKiPfiiiiiiiiiiiiiiii.num_named_barrier, max(0, .L_ZL14no_device_codePKciS0_iS0_.num_named_barrier)
	.set _ZL9mul_mat_fIfLi32ELi4ELi5ELb1EEvPKT_PKfPKiPfiiiiiiiiiiiiiiii.private_seg_size, 0+max(.L_ZL14no_device_codePKciS0_iS0_.private_seg_size)
	.set _ZL9mul_mat_fIfLi32ELi4ELi5ELb1EEvPKT_PKfPKiPfiiiiiiiiiiiiiiii.uses_vcc, or(1, .L_ZL14no_device_codePKciS0_iS0_.uses_vcc)
	.set _ZL9mul_mat_fIfLi32ELi4ELi5ELb1EEvPKT_PKfPKiPfiiiiiiiiiiiiiiii.uses_flat_scratch, or(0, .L_ZL14no_device_codePKciS0_iS0_.uses_flat_scratch)
	.set _ZL9mul_mat_fIfLi32ELi4ELi5ELb1EEvPKT_PKfPKiPfiiiiiiiiiiiiiiii.has_dyn_sized_stack, or(0, .L_ZL14no_device_codePKciS0_iS0_.has_dyn_sized_stack)
	.set _ZL9mul_mat_fIfLi32ELi4ELi5ELb1EEvPKT_PKfPKiPfiiiiiiiiiiiiiiii.has_recursion, or(0, .L_ZL14no_device_codePKciS0_iS0_.has_recursion)
	.set _ZL9mul_mat_fIfLi32ELi4ELi5ELb1EEvPKT_PKfPKiPfiiiiiiiiiiiiiiii.has_indirect_call, or(0, .L_ZL14no_device_codePKciS0_iS0_.has_indirect_call)
	.section	.AMDGPU.csdata,"",@progbits
; Kernel info:
; codeLenInByte = 76
; TotalNumSgprs: 36
; NumVgprs: 38
; ScratchSize: 16
; MemoryBound: 0
; FloatMode: 240
; IeeeMode: 1
; LDSByteSize: 0 bytes/workgroup (compile time only)
; SGPRBlocks: 0
; VGPRBlocks: 4
; NumSGPRsForWavesPerEU: 36
; NumVGPRsForWavesPerEU: 38
; Occupancy: 16
; WaveLimiterHint : 1
; COMPUTE_PGM_RSRC2:SCRATCH_EN: 1
; COMPUTE_PGM_RSRC2:USER_SGPR: 2
; COMPUTE_PGM_RSRC2:TRAP_HANDLER: 0
; COMPUTE_PGM_RSRC2:TGID_X_EN: 1
; COMPUTE_PGM_RSRC2:TGID_Y_EN: 0
; COMPUTE_PGM_RSRC2:TGID_Z_EN: 0
; COMPUTE_PGM_RSRC2:TIDIG_COMP_CNT: 0
	.section	.text._ZL9mul_mat_fIfLi32ELi4ELi5ELb0EEvPKT_PKfPKiPfiiiiiiiiiiiiiiii,"axG",@progbits,_ZL9mul_mat_fIfLi32ELi4ELi5ELb0EEvPKT_PKfPKiPfiiiiiiiiiiiiiiii,comdat
	.globl	_ZL9mul_mat_fIfLi32ELi4ELi5ELb0EEvPKT_PKfPKiPfiiiiiiiiiiiiiiii ; -- Begin function _ZL9mul_mat_fIfLi32ELi4ELi5ELb0EEvPKT_PKfPKiPfiiiiiiiiiiiiiiii
	.p2align	8
	.type	_ZL9mul_mat_fIfLi32ELi4ELi5ELb0EEvPKT_PKfPKiPfiiiiiiiiiiiiiiii,@function
_ZL9mul_mat_fIfLi32ELi4ELi5ELb0EEvPKT_PKfPKiPfiiiiiiiiiiiiiiii: ; @_ZL9mul_mat_fIfLi32ELi4ELi5ELb0EEvPKT_PKfPKiPfiiiiiiiiiiiiiiii
; %bb.0:
	s_getpc_b64 s[2:3]
	s_sext_i32_i16 s3, s3
	s_add_co_u32 s2, s2, __FUNCTION__._ZL9mul_mat_fIfLi32ELi4ELi1ELb1EEvPKT_PKfPKiPfiiiiiiiiiiiiiiii@rel32@lo+8
	s_add_co_ci_u32 s3, s3, __FUNCTION__._ZL9mul_mat_fIfLi32ELi4ELi1ELb1EEvPKT_PKfPKiPfiiiiiiiiiiiiiiii@rel32@hi+16
	v_dual_mov_b32 v0, 59 :: v_dual_mov_b32 v1, s2
	v_mov_b32_e32 v2, s3
	s_add_nc_u64 s[8:9], s[0:1], 0x60
	s_getpc_b64 s[0:1]
	s_sext_i32_i16 s1, s1
	s_add_co_u32 s0, s0, _ZL14no_device_codePKciS0_iS0_@rel32@lo+8
	s_add_co_ci_u32 s1, s1, _ZL14no_device_codePKciS0_iS0_@rel32@hi+16
	s_mov_b32 s32, 0
	s_swappc_b64 s[30:31], s[0:1]
	.section	.rodata,"a",@progbits
	.p2align	6, 0x0
	.amdhsa_kernel _ZL9mul_mat_fIfLi32ELi4ELi5ELb0EEvPKT_PKfPKiPfiiiiiiiiiiiiiiii
		.amdhsa_group_segment_fixed_size 0
		.amdhsa_private_segment_fixed_size 16
		.amdhsa_kernarg_size 352
		.amdhsa_user_sgpr_count 2
		.amdhsa_user_sgpr_dispatch_ptr 0
		.amdhsa_user_sgpr_queue_ptr 0
		.amdhsa_user_sgpr_kernarg_segment_ptr 1
		.amdhsa_user_sgpr_dispatch_id 0
		.amdhsa_user_sgpr_private_segment_size 0
		.amdhsa_wavefront_size32 1
		.amdhsa_uses_dynamic_stack 0
		.amdhsa_enable_private_segment 1
		.amdhsa_system_sgpr_workgroup_id_x 1
		.amdhsa_system_sgpr_workgroup_id_y 0
		.amdhsa_system_sgpr_workgroup_id_z 0
		.amdhsa_system_sgpr_workgroup_info 0
		.amdhsa_system_vgpr_workitem_id 0
		.amdhsa_next_free_vgpr 38
		.amdhsa_next_free_sgpr 34
		.amdhsa_reserve_vcc 1
		.amdhsa_float_round_mode_32 0
		.amdhsa_float_round_mode_16_64 0
		.amdhsa_float_denorm_mode_32 3
		.amdhsa_float_denorm_mode_16_64 3
		.amdhsa_fp16_overflow 0
		.amdhsa_workgroup_processor_mode 1
		.amdhsa_memory_ordered 1
		.amdhsa_forward_progress 1
		.amdhsa_inst_pref_size 1
		.amdhsa_round_robin_scheduling 0
		.amdhsa_exception_fp_ieee_invalid_op 0
		.amdhsa_exception_fp_denorm_src 0
		.amdhsa_exception_fp_ieee_div_zero 0
		.amdhsa_exception_fp_ieee_overflow 0
		.amdhsa_exception_fp_ieee_underflow 0
		.amdhsa_exception_fp_ieee_inexact 0
		.amdhsa_exception_int_div_zero 0
	.end_amdhsa_kernel
	.section	.text._ZL9mul_mat_fIfLi32ELi4ELi5ELb0EEvPKT_PKfPKiPfiiiiiiiiiiiiiiii,"axG",@progbits,_ZL9mul_mat_fIfLi32ELi4ELi5ELb0EEvPKT_PKfPKiPfiiiiiiiiiiiiiiii,comdat
.Lfunc_end17:
	.size	_ZL9mul_mat_fIfLi32ELi4ELi5ELb0EEvPKT_PKfPKiPfiiiiiiiiiiiiiiii, .Lfunc_end17-_ZL9mul_mat_fIfLi32ELi4ELi5ELb0EEvPKT_PKfPKiPfiiiiiiiiiiiiiiii
                                        ; -- End function
	.set _ZL9mul_mat_fIfLi32ELi4ELi5ELb0EEvPKT_PKfPKiPfiiiiiiiiiiiiiiii.num_vgpr, max(3, .L_ZL14no_device_codePKciS0_iS0_.num_vgpr)
	.set _ZL9mul_mat_fIfLi32ELi4ELi5ELb0EEvPKT_PKfPKiPfiiiiiiiiiiiiiiii.num_agpr, max(0, .L_ZL14no_device_codePKciS0_iS0_.num_agpr)
	.set _ZL9mul_mat_fIfLi32ELi4ELi5ELb0EEvPKT_PKfPKiPfiiiiiiiiiiiiiiii.numbered_sgpr, max(33, .L_ZL14no_device_codePKciS0_iS0_.numbered_sgpr)
	.set _ZL9mul_mat_fIfLi32ELi4ELi5ELb0EEvPKT_PKfPKiPfiiiiiiiiiiiiiiii.num_named_barrier, max(0, .L_ZL14no_device_codePKciS0_iS0_.num_named_barrier)
	.set _ZL9mul_mat_fIfLi32ELi4ELi5ELb0EEvPKT_PKfPKiPfiiiiiiiiiiiiiiii.private_seg_size, 0+max(.L_ZL14no_device_codePKciS0_iS0_.private_seg_size)
	.set _ZL9mul_mat_fIfLi32ELi4ELi5ELb0EEvPKT_PKfPKiPfiiiiiiiiiiiiiiii.uses_vcc, or(1, .L_ZL14no_device_codePKciS0_iS0_.uses_vcc)
	.set _ZL9mul_mat_fIfLi32ELi4ELi5ELb0EEvPKT_PKfPKiPfiiiiiiiiiiiiiiii.uses_flat_scratch, or(0, .L_ZL14no_device_codePKciS0_iS0_.uses_flat_scratch)
	.set _ZL9mul_mat_fIfLi32ELi4ELi5ELb0EEvPKT_PKfPKiPfiiiiiiiiiiiiiiii.has_dyn_sized_stack, or(0, .L_ZL14no_device_codePKciS0_iS0_.has_dyn_sized_stack)
	.set _ZL9mul_mat_fIfLi32ELi4ELi5ELb0EEvPKT_PKfPKiPfiiiiiiiiiiiiiiii.has_recursion, or(0, .L_ZL14no_device_codePKciS0_iS0_.has_recursion)
	.set _ZL9mul_mat_fIfLi32ELi4ELi5ELb0EEvPKT_PKfPKiPfiiiiiiiiiiiiiiii.has_indirect_call, or(0, .L_ZL14no_device_codePKciS0_iS0_.has_indirect_call)
	.section	.AMDGPU.csdata,"",@progbits
; Kernel info:
; codeLenInByte = 76
; TotalNumSgprs: 36
; NumVgprs: 38
; ScratchSize: 16
; MemoryBound: 0
; FloatMode: 240
; IeeeMode: 1
; LDSByteSize: 0 bytes/workgroup (compile time only)
; SGPRBlocks: 0
; VGPRBlocks: 4
; NumSGPRsForWavesPerEU: 36
; NumVGPRsForWavesPerEU: 38
; Occupancy: 16
; WaveLimiterHint : 1
; COMPUTE_PGM_RSRC2:SCRATCH_EN: 1
; COMPUTE_PGM_RSRC2:USER_SGPR: 2
; COMPUTE_PGM_RSRC2:TRAP_HANDLER: 0
; COMPUTE_PGM_RSRC2:TGID_X_EN: 1
; COMPUTE_PGM_RSRC2:TGID_Y_EN: 0
; COMPUTE_PGM_RSRC2:TGID_Z_EN: 0
; COMPUTE_PGM_RSRC2:TIDIG_COMP_CNT: 0
	.section	.text._ZL13mul_mat_f_idsIfLi32ELi4ELi6EEvPKT_PKfPKiS6_S6_Pfiiiiiiiiiiiiii15HIP_vector_typeIjLj3EES9_,"axG",@progbits,_ZL13mul_mat_f_idsIfLi32ELi4ELi6EEvPKT_PKfPKiS6_S6_Pfiiiiiiiiiiiiii15HIP_vector_typeIjLj3EES9_,comdat
	.globl	_ZL13mul_mat_f_idsIfLi32ELi4ELi6EEvPKT_PKfPKiS6_S6_Pfiiiiiiiiiiiiii15HIP_vector_typeIjLj3EES9_ ; -- Begin function _ZL13mul_mat_f_idsIfLi32ELi4ELi6EEvPKT_PKfPKiS6_S6_Pfiiiiiiiiiiiiii15HIP_vector_typeIjLj3EES9_
	.p2align	8
	.type	_ZL13mul_mat_f_idsIfLi32ELi4ELi6EEvPKT_PKfPKiS6_S6_Pfiiiiiiiiiiiiii15HIP_vector_typeIjLj3EES9_,@function
_ZL13mul_mat_f_idsIfLi32ELi4ELi6EEvPKT_PKfPKiS6_S6_Pfiiiiiiiiiiiiii15HIP_vector_typeIjLj3EES9_: ; @_ZL13mul_mat_f_idsIfLi32ELi4ELi6EEvPKT_PKfPKiS6_S6_Pfiiiiiiiiiiiiii15HIP_vector_typeIjLj3EES9_
; %bb.0:
	s_getpc_b64 s[2:3]
	s_sext_i32_i16 s3, s3
	s_add_co_u32 s2, s2, __FUNCTION__._ZL13mul_mat_f_idsIfLi32ELi4ELi1EEvPKT_PKfPKiS6_S6_Pfiiiiiiiiiiiiii15HIP_vector_typeIjLj3EES9_@rel32@lo+8
	s_add_co_ci_u32 s3, s3, __FUNCTION__._ZL13mul_mat_f_idsIfLi32ELi4ELi1EEvPKT_PKfPKiS6_S6_Pfiiiiiiiiiiiiii15HIP_vector_typeIjLj3EES9_@rel32@hi+16
	v_dual_mov_b32 v0, 0x136 :: v_dual_mov_b32 v1, s2
	v_mov_b32_e32 v2, s3
	s_add_nc_u64 s[8:9], s[0:1], 0x80
	s_getpc_b64 s[0:1]
	s_sext_i32_i16 s1, s1
	s_add_co_u32 s0, s0, _ZL14no_device_codePKciS0_iS0_@rel32@lo+8
	s_add_co_ci_u32 s1, s1, _ZL14no_device_codePKciS0_iS0_@rel32@hi+16
	s_mov_b32 s32, 0
	s_swappc_b64 s[30:31], s[0:1]
	.section	.rodata,"a",@progbits
	.p2align	6, 0x0
	.amdhsa_kernel _ZL13mul_mat_f_idsIfLi32ELi4ELi6EEvPKT_PKfPKiS6_S6_Pfiiiiiiiiiiiiii15HIP_vector_typeIjLj3EES9_
		.amdhsa_group_segment_fixed_size 0
		.amdhsa_private_segment_fixed_size 16
		.amdhsa_kernarg_size 384
		.amdhsa_user_sgpr_count 2
		.amdhsa_user_sgpr_dispatch_ptr 0
		.amdhsa_user_sgpr_queue_ptr 0
		.amdhsa_user_sgpr_kernarg_segment_ptr 1
		.amdhsa_user_sgpr_dispatch_id 0
		.amdhsa_user_sgpr_private_segment_size 0
		.amdhsa_wavefront_size32 1
		.amdhsa_uses_dynamic_stack 0
		.amdhsa_enable_private_segment 1
		.amdhsa_system_sgpr_workgroup_id_x 1
		.amdhsa_system_sgpr_workgroup_id_y 0
		.amdhsa_system_sgpr_workgroup_id_z 0
		.amdhsa_system_sgpr_workgroup_info 0
		.amdhsa_system_vgpr_workitem_id 0
		.amdhsa_next_free_vgpr 38
		.amdhsa_next_free_sgpr 34
		.amdhsa_reserve_vcc 1
		.amdhsa_float_round_mode_32 0
		.amdhsa_float_round_mode_16_64 0
		.amdhsa_float_denorm_mode_32 3
		.amdhsa_float_denorm_mode_16_64 3
		.amdhsa_fp16_overflow 0
		.amdhsa_workgroup_processor_mode 1
		.amdhsa_memory_ordered 1
		.amdhsa_forward_progress 1
		.amdhsa_inst_pref_size 1
		.amdhsa_round_robin_scheduling 0
		.amdhsa_exception_fp_ieee_invalid_op 0
		.amdhsa_exception_fp_denorm_src 0
		.amdhsa_exception_fp_ieee_div_zero 0
		.amdhsa_exception_fp_ieee_overflow 0
		.amdhsa_exception_fp_ieee_underflow 0
		.amdhsa_exception_fp_ieee_inexact 0
		.amdhsa_exception_int_div_zero 0
	.end_amdhsa_kernel
	.section	.text._ZL13mul_mat_f_idsIfLi32ELi4ELi6EEvPKT_PKfPKiS6_S6_Pfiiiiiiiiiiiiii15HIP_vector_typeIjLj3EES9_,"axG",@progbits,_ZL13mul_mat_f_idsIfLi32ELi4ELi6EEvPKT_PKfPKiS6_S6_Pfiiiiiiiiiiiiii15HIP_vector_typeIjLj3EES9_,comdat
.Lfunc_end18:
	.size	_ZL13mul_mat_f_idsIfLi32ELi4ELi6EEvPKT_PKfPKiS6_S6_Pfiiiiiiiiiiiiii15HIP_vector_typeIjLj3EES9_, .Lfunc_end18-_ZL13mul_mat_f_idsIfLi32ELi4ELi6EEvPKT_PKfPKiS6_S6_Pfiiiiiiiiiiiiii15HIP_vector_typeIjLj3EES9_
                                        ; -- End function
	.set _ZL13mul_mat_f_idsIfLi32ELi4ELi6EEvPKT_PKfPKiS6_S6_Pfiiiiiiiiiiiiii15HIP_vector_typeIjLj3EES9_.num_vgpr, max(3, .L_ZL14no_device_codePKciS0_iS0_.num_vgpr)
	.set _ZL13mul_mat_f_idsIfLi32ELi4ELi6EEvPKT_PKfPKiS6_S6_Pfiiiiiiiiiiiiii15HIP_vector_typeIjLj3EES9_.num_agpr, max(0, .L_ZL14no_device_codePKciS0_iS0_.num_agpr)
	.set _ZL13mul_mat_f_idsIfLi32ELi4ELi6EEvPKT_PKfPKiS6_S6_Pfiiiiiiiiiiiiii15HIP_vector_typeIjLj3EES9_.numbered_sgpr, max(33, .L_ZL14no_device_codePKciS0_iS0_.numbered_sgpr)
	.set _ZL13mul_mat_f_idsIfLi32ELi4ELi6EEvPKT_PKfPKiS6_S6_Pfiiiiiiiiiiiiii15HIP_vector_typeIjLj3EES9_.num_named_barrier, max(0, .L_ZL14no_device_codePKciS0_iS0_.num_named_barrier)
	.set _ZL13mul_mat_f_idsIfLi32ELi4ELi6EEvPKT_PKfPKiS6_S6_Pfiiiiiiiiiiiiii15HIP_vector_typeIjLj3EES9_.private_seg_size, 0+max(.L_ZL14no_device_codePKciS0_iS0_.private_seg_size)
	.set _ZL13mul_mat_f_idsIfLi32ELi4ELi6EEvPKT_PKfPKiS6_S6_Pfiiiiiiiiiiiiii15HIP_vector_typeIjLj3EES9_.uses_vcc, or(1, .L_ZL14no_device_codePKciS0_iS0_.uses_vcc)
	.set _ZL13mul_mat_f_idsIfLi32ELi4ELi6EEvPKT_PKfPKiS6_S6_Pfiiiiiiiiiiiiii15HIP_vector_typeIjLj3EES9_.uses_flat_scratch, or(0, .L_ZL14no_device_codePKciS0_iS0_.uses_flat_scratch)
	.set _ZL13mul_mat_f_idsIfLi32ELi4ELi6EEvPKT_PKfPKiS6_S6_Pfiiiiiiiiiiiiii15HIP_vector_typeIjLj3EES9_.has_dyn_sized_stack, or(0, .L_ZL14no_device_codePKciS0_iS0_.has_dyn_sized_stack)
	.set _ZL13mul_mat_f_idsIfLi32ELi4ELi6EEvPKT_PKfPKiS6_S6_Pfiiiiiiiiiiiiii15HIP_vector_typeIjLj3EES9_.has_recursion, or(0, .L_ZL14no_device_codePKciS0_iS0_.has_recursion)
	.set _ZL13mul_mat_f_idsIfLi32ELi4ELi6EEvPKT_PKfPKiS6_S6_Pfiiiiiiiiiiiiii15HIP_vector_typeIjLj3EES9_.has_indirect_call, or(0, .L_ZL14no_device_codePKciS0_iS0_.has_indirect_call)
	.section	.AMDGPU.csdata,"",@progbits
; Kernel info:
; codeLenInByte = 80
; TotalNumSgprs: 36
; NumVgprs: 38
; ScratchSize: 16
; MemoryBound: 0
; FloatMode: 240
; IeeeMode: 1
; LDSByteSize: 0 bytes/workgroup (compile time only)
; SGPRBlocks: 0
; VGPRBlocks: 4
; NumSGPRsForWavesPerEU: 36
; NumVGPRsForWavesPerEU: 38
; Occupancy: 16
; WaveLimiterHint : 1
; COMPUTE_PGM_RSRC2:SCRATCH_EN: 1
; COMPUTE_PGM_RSRC2:USER_SGPR: 2
; COMPUTE_PGM_RSRC2:TRAP_HANDLER: 0
; COMPUTE_PGM_RSRC2:TGID_X_EN: 1
; COMPUTE_PGM_RSRC2:TGID_Y_EN: 0
; COMPUTE_PGM_RSRC2:TGID_Z_EN: 0
; COMPUTE_PGM_RSRC2:TIDIG_COMP_CNT: 0
	.section	.text._ZL9mul_mat_fIfLi32ELi4ELi6ELb1EEvPKT_PKfPKiPfiiiiiiiiiiiiiiii,"axG",@progbits,_ZL9mul_mat_fIfLi32ELi4ELi6ELb1EEvPKT_PKfPKiPfiiiiiiiiiiiiiiii,comdat
	.globl	_ZL9mul_mat_fIfLi32ELi4ELi6ELb1EEvPKT_PKfPKiPfiiiiiiiiiiiiiiii ; -- Begin function _ZL9mul_mat_fIfLi32ELi4ELi6ELb1EEvPKT_PKfPKiPfiiiiiiiiiiiiiiii
	.p2align	8
	.type	_ZL9mul_mat_fIfLi32ELi4ELi6ELb1EEvPKT_PKfPKiPfiiiiiiiiiiiiiiii,@function
_ZL9mul_mat_fIfLi32ELi4ELi6ELb1EEvPKT_PKfPKiPfiiiiiiiiiiiiiiii: ; @_ZL9mul_mat_fIfLi32ELi4ELi6ELb1EEvPKT_PKfPKiPfiiiiiiiiiiiiiiii
; %bb.0:
	s_getpc_b64 s[2:3]
	s_sext_i32_i16 s3, s3
	s_add_co_u32 s2, s2, __FUNCTION__._ZL9mul_mat_fIfLi32ELi4ELi1ELb1EEvPKT_PKfPKiPfiiiiiiiiiiiiiiii@rel32@lo+8
	s_add_co_ci_u32 s3, s3, __FUNCTION__._ZL9mul_mat_fIfLi32ELi4ELi1ELb1EEvPKT_PKfPKiPfiiiiiiiiiiiiiiii@rel32@hi+16
	v_dual_mov_b32 v0, 59 :: v_dual_mov_b32 v1, s2
	v_mov_b32_e32 v2, s3
	s_add_nc_u64 s[8:9], s[0:1], 0x60
	s_getpc_b64 s[0:1]
	s_sext_i32_i16 s1, s1
	s_add_co_u32 s0, s0, _ZL14no_device_codePKciS0_iS0_@rel32@lo+8
	s_add_co_ci_u32 s1, s1, _ZL14no_device_codePKciS0_iS0_@rel32@hi+16
	s_mov_b32 s32, 0
	s_swappc_b64 s[30:31], s[0:1]
	.section	.rodata,"a",@progbits
	.p2align	6, 0x0
	.amdhsa_kernel _ZL9mul_mat_fIfLi32ELi4ELi6ELb1EEvPKT_PKfPKiPfiiiiiiiiiiiiiiii
		.amdhsa_group_segment_fixed_size 0
		.amdhsa_private_segment_fixed_size 16
		.amdhsa_kernarg_size 352
		.amdhsa_user_sgpr_count 2
		.amdhsa_user_sgpr_dispatch_ptr 0
		.amdhsa_user_sgpr_queue_ptr 0
		.amdhsa_user_sgpr_kernarg_segment_ptr 1
		.amdhsa_user_sgpr_dispatch_id 0
		.amdhsa_user_sgpr_private_segment_size 0
		.amdhsa_wavefront_size32 1
		.amdhsa_uses_dynamic_stack 0
		.amdhsa_enable_private_segment 1
		.amdhsa_system_sgpr_workgroup_id_x 1
		.amdhsa_system_sgpr_workgroup_id_y 0
		.amdhsa_system_sgpr_workgroup_id_z 0
		.amdhsa_system_sgpr_workgroup_info 0
		.amdhsa_system_vgpr_workitem_id 0
		.amdhsa_next_free_vgpr 38
		.amdhsa_next_free_sgpr 34
		.amdhsa_reserve_vcc 1
		.amdhsa_float_round_mode_32 0
		.amdhsa_float_round_mode_16_64 0
		.amdhsa_float_denorm_mode_32 3
		.amdhsa_float_denorm_mode_16_64 3
		.amdhsa_fp16_overflow 0
		.amdhsa_workgroup_processor_mode 1
		.amdhsa_memory_ordered 1
		.amdhsa_forward_progress 1
		.amdhsa_inst_pref_size 1
		.amdhsa_round_robin_scheduling 0
		.amdhsa_exception_fp_ieee_invalid_op 0
		.amdhsa_exception_fp_denorm_src 0
		.amdhsa_exception_fp_ieee_div_zero 0
		.amdhsa_exception_fp_ieee_overflow 0
		.amdhsa_exception_fp_ieee_underflow 0
		.amdhsa_exception_fp_ieee_inexact 0
		.amdhsa_exception_int_div_zero 0
	.end_amdhsa_kernel
	.section	.text._ZL9mul_mat_fIfLi32ELi4ELi6ELb1EEvPKT_PKfPKiPfiiiiiiiiiiiiiiii,"axG",@progbits,_ZL9mul_mat_fIfLi32ELi4ELi6ELb1EEvPKT_PKfPKiPfiiiiiiiiiiiiiiii,comdat
.Lfunc_end19:
	.size	_ZL9mul_mat_fIfLi32ELi4ELi6ELb1EEvPKT_PKfPKiPfiiiiiiiiiiiiiiii, .Lfunc_end19-_ZL9mul_mat_fIfLi32ELi4ELi6ELb1EEvPKT_PKfPKiPfiiiiiiiiiiiiiiii
                                        ; -- End function
	.set _ZL9mul_mat_fIfLi32ELi4ELi6ELb1EEvPKT_PKfPKiPfiiiiiiiiiiiiiiii.num_vgpr, max(3, .L_ZL14no_device_codePKciS0_iS0_.num_vgpr)
	.set _ZL9mul_mat_fIfLi32ELi4ELi6ELb1EEvPKT_PKfPKiPfiiiiiiiiiiiiiiii.num_agpr, max(0, .L_ZL14no_device_codePKciS0_iS0_.num_agpr)
	.set _ZL9mul_mat_fIfLi32ELi4ELi6ELb1EEvPKT_PKfPKiPfiiiiiiiiiiiiiiii.numbered_sgpr, max(33, .L_ZL14no_device_codePKciS0_iS0_.numbered_sgpr)
	.set _ZL9mul_mat_fIfLi32ELi4ELi6ELb1EEvPKT_PKfPKiPfiiiiiiiiiiiiiiii.num_named_barrier, max(0, .L_ZL14no_device_codePKciS0_iS0_.num_named_barrier)
	.set _ZL9mul_mat_fIfLi32ELi4ELi6ELb1EEvPKT_PKfPKiPfiiiiiiiiiiiiiiii.private_seg_size, 0+max(.L_ZL14no_device_codePKciS0_iS0_.private_seg_size)
	.set _ZL9mul_mat_fIfLi32ELi4ELi6ELb1EEvPKT_PKfPKiPfiiiiiiiiiiiiiiii.uses_vcc, or(1, .L_ZL14no_device_codePKciS0_iS0_.uses_vcc)
	.set _ZL9mul_mat_fIfLi32ELi4ELi6ELb1EEvPKT_PKfPKiPfiiiiiiiiiiiiiiii.uses_flat_scratch, or(0, .L_ZL14no_device_codePKciS0_iS0_.uses_flat_scratch)
	.set _ZL9mul_mat_fIfLi32ELi4ELi6ELb1EEvPKT_PKfPKiPfiiiiiiiiiiiiiiii.has_dyn_sized_stack, or(0, .L_ZL14no_device_codePKciS0_iS0_.has_dyn_sized_stack)
	.set _ZL9mul_mat_fIfLi32ELi4ELi6ELb1EEvPKT_PKfPKiPfiiiiiiiiiiiiiiii.has_recursion, or(0, .L_ZL14no_device_codePKciS0_iS0_.has_recursion)
	.set _ZL9mul_mat_fIfLi32ELi4ELi6ELb1EEvPKT_PKfPKiPfiiiiiiiiiiiiiiii.has_indirect_call, or(0, .L_ZL14no_device_codePKciS0_iS0_.has_indirect_call)
	.section	.AMDGPU.csdata,"",@progbits
; Kernel info:
; codeLenInByte = 76
; TotalNumSgprs: 36
; NumVgprs: 38
; ScratchSize: 16
; MemoryBound: 0
; FloatMode: 240
; IeeeMode: 1
; LDSByteSize: 0 bytes/workgroup (compile time only)
; SGPRBlocks: 0
; VGPRBlocks: 4
; NumSGPRsForWavesPerEU: 36
; NumVGPRsForWavesPerEU: 38
; Occupancy: 16
; WaveLimiterHint : 1
; COMPUTE_PGM_RSRC2:SCRATCH_EN: 1
; COMPUTE_PGM_RSRC2:USER_SGPR: 2
; COMPUTE_PGM_RSRC2:TRAP_HANDLER: 0
; COMPUTE_PGM_RSRC2:TGID_X_EN: 1
; COMPUTE_PGM_RSRC2:TGID_Y_EN: 0
; COMPUTE_PGM_RSRC2:TGID_Z_EN: 0
; COMPUTE_PGM_RSRC2:TIDIG_COMP_CNT: 0
	.section	.text._ZL9mul_mat_fIfLi32ELi4ELi6ELb0EEvPKT_PKfPKiPfiiiiiiiiiiiiiiii,"axG",@progbits,_ZL9mul_mat_fIfLi32ELi4ELi6ELb0EEvPKT_PKfPKiPfiiiiiiiiiiiiiiii,comdat
	.globl	_ZL9mul_mat_fIfLi32ELi4ELi6ELb0EEvPKT_PKfPKiPfiiiiiiiiiiiiiiii ; -- Begin function _ZL9mul_mat_fIfLi32ELi4ELi6ELb0EEvPKT_PKfPKiPfiiiiiiiiiiiiiiii
	.p2align	8
	.type	_ZL9mul_mat_fIfLi32ELi4ELi6ELb0EEvPKT_PKfPKiPfiiiiiiiiiiiiiiii,@function
_ZL9mul_mat_fIfLi32ELi4ELi6ELb0EEvPKT_PKfPKiPfiiiiiiiiiiiiiiii: ; @_ZL9mul_mat_fIfLi32ELi4ELi6ELb0EEvPKT_PKfPKiPfiiiiiiiiiiiiiiii
; %bb.0:
	s_getpc_b64 s[2:3]
	s_sext_i32_i16 s3, s3
	s_add_co_u32 s2, s2, __FUNCTION__._ZL9mul_mat_fIfLi32ELi4ELi1ELb1EEvPKT_PKfPKiPfiiiiiiiiiiiiiiii@rel32@lo+8
	s_add_co_ci_u32 s3, s3, __FUNCTION__._ZL9mul_mat_fIfLi32ELi4ELi1ELb1EEvPKT_PKfPKiPfiiiiiiiiiiiiiiii@rel32@hi+16
	v_dual_mov_b32 v0, 59 :: v_dual_mov_b32 v1, s2
	v_mov_b32_e32 v2, s3
	s_add_nc_u64 s[8:9], s[0:1], 0x60
	s_getpc_b64 s[0:1]
	s_sext_i32_i16 s1, s1
	s_add_co_u32 s0, s0, _ZL14no_device_codePKciS0_iS0_@rel32@lo+8
	s_add_co_ci_u32 s1, s1, _ZL14no_device_codePKciS0_iS0_@rel32@hi+16
	s_mov_b32 s32, 0
	s_swappc_b64 s[30:31], s[0:1]
	.section	.rodata,"a",@progbits
	.p2align	6, 0x0
	.amdhsa_kernel _ZL9mul_mat_fIfLi32ELi4ELi6ELb0EEvPKT_PKfPKiPfiiiiiiiiiiiiiiii
		.amdhsa_group_segment_fixed_size 0
		.amdhsa_private_segment_fixed_size 16
		.amdhsa_kernarg_size 352
		.amdhsa_user_sgpr_count 2
		.amdhsa_user_sgpr_dispatch_ptr 0
		.amdhsa_user_sgpr_queue_ptr 0
		.amdhsa_user_sgpr_kernarg_segment_ptr 1
		.amdhsa_user_sgpr_dispatch_id 0
		.amdhsa_user_sgpr_private_segment_size 0
		.amdhsa_wavefront_size32 1
		.amdhsa_uses_dynamic_stack 0
		.amdhsa_enable_private_segment 1
		.amdhsa_system_sgpr_workgroup_id_x 1
		.amdhsa_system_sgpr_workgroup_id_y 0
		.amdhsa_system_sgpr_workgroup_id_z 0
		.amdhsa_system_sgpr_workgroup_info 0
		.amdhsa_system_vgpr_workitem_id 0
		.amdhsa_next_free_vgpr 38
		.amdhsa_next_free_sgpr 34
		.amdhsa_reserve_vcc 1
		.amdhsa_float_round_mode_32 0
		.amdhsa_float_round_mode_16_64 0
		.amdhsa_float_denorm_mode_32 3
		.amdhsa_float_denorm_mode_16_64 3
		.amdhsa_fp16_overflow 0
		.amdhsa_workgroup_processor_mode 1
		.amdhsa_memory_ordered 1
		.amdhsa_forward_progress 1
		.amdhsa_inst_pref_size 1
		.amdhsa_round_robin_scheduling 0
		.amdhsa_exception_fp_ieee_invalid_op 0
		.amdhsa_exception_fp_denorm_src 0
		.amdhsa_exception_fp_ieee_div_zero 0
		.amdhsa_exception_fp_ieee_overflow 0
		.amdhsa_exception_fp_ieee_underflow 0
		.amdhsa_exception_fp_ieee_inexact 0
		.amdhsa_exception_int_div_zero 0
	.end_amdhsa_kernel
	.section	.text._ZL9mul_mat_fIfLi32ELi4ELi6ELb0EEvPKT_PKfPKiPfiiiiiiiiiiiiiiii,"axG",@progbits,_ZL9mul_mat_fIfLi32ELi4ELi6ELb0EEvPKT_PKfPKiPfiiiiiiiiiiiiiiii,comdat
.Lfunc_end20:
	.size	_ZL9mul_mat_fIfLi32ELi4ELi6ELb0EEvPKT_PKfPKiPfiiiiiiiiiiiiiiii, .Lfunc_end20-_ZL9mul_mat_fIfLi32ELi4ELi6ELb0EEvPKT_PKfPKiPfiiiiiiiiiiiiiiii
                                        ; -- End function
	.set _ZL9mul_mat_fIfLi32ELi4ELi6ELb0EEvPKT_PKfPKiPfiiiiiiiiiiiiiiii.num_vgpr, max(3, .L_ZL14no_device_codePKciS0_iS0_.num_vgpr)
	.set _ZL9mul_mat_fIfLi32ELi4ELi6ELb0EEvPKT_PKfPKiPfiiiiiiiiiiiiiiii.num_agpr, max(0, .L_ZL14no_device_codePKciS0_iS0_.num_agpr)
	.set _ZL9mul_mat_fIfLi32ELi4ELi6ELb0EEvPKT_PKfPKiPfiiiiiiiiiiiiiiii.numbered_sgpr, max(33, .L_ZL14no_device_codePKciS0_iS0_.numbered_sgpr)
	.set _ZL9mul_mat_fIfLi32ELi4ELi6ELb0EEvPKT_PKfPKiPfiiiiiiiiiiiiiiii.num_named_barrier, max(0, .L_ZL14no_device_codePKciS0_iS0_.num_named_barrier)
	.set _ZL9mul_mat_fIfLi32ELi4ELi6ELb0EEvPKT_PKfPKiPfiiiiiiiiiiiiiiii.private_seg_size, 0+max(.L_ZL14no_device_codePKciS0_iS0_.private_seg_size)
	.set _ZL9mul_mat_fIfLi32ELi4ELi6ELb0EEvPKT_PKfPKiPfiiiiiiiiiiiiiiii.uses_vcc, or(1, .L_ZL14no_device_codePKciS0_iS0_.uses_vcc)
	.set _ZL9mul_mat_fIfLi32ELi4ELi6ELb0EEvPKT_PKfPKiPfiiiiiiiiiiiiiiii.uses_flat_scratch, or(0, .L_ZL14no_device_codePKciS0_iS0_.uses_flat_scratch)
	.set _ZL9mul_mat_fIfLi32ELi4ELi6ELb0EEvPKT_PKfPKiPfiiiiiiiiiiiiiiii.has_dyn_sized_stack, or(0, .L_ZL14no_device_codePKciS0_iS0_.has_dyn_sized_stack)
	.set _ZL9mul_mat_fIfLi32ELi4ELi6ELb0EEvPKT_PKfPKiPfiiiiiiiiiiiiiiii.has_recursion, or(0, .L_ZL14no_device_codePKciS0_iS0_.has_recursion)
	.set _ZL9mul_mat_fIfLi32ELi4ELi6ELb0EEvPKT_PKfPKiPfiiiiiiiiiiiiiiii.has_indirect_call, or(0, .L_ZL14no_device_codePKciS0_iS0_.has_indirect_call)
	.section	.AMDGPU.csdata,"",@progbits
; Kernel info:
; codeLenInByte = 76
; TotalNumSgprs: 36
; NumVgprs: 38
; ScratchSize: 16
; MemoryBound: 0
; FloatMode: 240
; IeeeMode: 1
; LDSByteSize: 0 bytes/workgroup (compile time only)
; SGPRBlocks: 0
; VGPRBlocks: 4
; NumSGPRsForWavesPerEU: 36
; NumVGPRsForWavesPerEU: 38
; Occupancy: 16
; WaveLimiterHint : 1
; COMPUTE_PGM_RSRC2:SCRATCH_EN: 1
; COMPUTE_PGM_RSRC2:USER_SGPR: 2
; COMPUTE_PGM_RSRC2:TRAP_HANDLER: 0
; COMPUTE_PGM_RSRC2:TGID_X_EN: 1
; COMPUTE_PGM_RSRC2:TGID_Y_EN: 0
; COMPUTE_PGM_RSRC2:TGID_Z_EN: 0
; COMPUTE_PGM_RSRC2:TIDIG_COMP_CNT: 0
	.section	.text._ZL13mul_mat_f_idsIfLi32ELi4ELi7EEvPKT_PKfPKiS6_S6_Pfiiiiiiiiiiiiii15HIP_vector_typeIjLj3EES9_,"axG",@progbits,_ZL13mul_mat_f_idsIfLi32ELi4ELi7EEvPKT_PKfPKiS6_S6_Pfiiiiiiiiiiiiii15HIP_vector_typeIjLj3EES9_,comdat
	.globl	_ZL13mul_mat_f_idsIfLi32ELi4ELi7EEvPKT_PKfPKiS6_S6_Pfiiiiiiiiiiiiii15HIP_vector_typeIjLj3EES9_ ; -- Begin function _ZL13mul_mat_f_idsIfLi32ELi4ELi7EEvPKT_PKfPKiS6_S6_Pfiiiiiiiiiiiiii15HIP_vector_typeIjLj3EES9_
	.p2align	8
	.type	_ZL13mul_mat_f_idsIfLi32ELi4ELi7EEvPKT_PKfPKiS6_S6_Pfiiiiiiiiiiiiii15HIP_vector_typeIjLj3EES9_,@function
_ZL13mul_mat_f_idsIfLi32ELi4ELi7EEvPKT_PKfPKiS6_S6_Pfiiiiiiiiiiiiii15HIP_vector_typeIjLj3EES9_: ; @_ZL13mul_mat_f_idsIfLi32ELi4ELi7EEvPKT_PKfPKiS6_S6_Pfiiiiiiiiiiiiii15HIP_vector_typeIjLj3EES9_
; %bb.0:
	s_getpc_b64 s[2:3]
	s_sext_i32_i16 s3, s3
	s_add_co_u32 s2, s2, __FUNCTION__._ZL13mul_mat_f_idsIfLi32ELi4ELi1EEvPKT_PKfPKiS6_S6_Pfiiiiiiiiiiiiii15HIP_vector_typeIjLj3EES9_@rel32@lo+8
	s_add_co_ci_u32 s3, s3, __FUNCTION__._ZL13mul_mat_f_idsIfLi32ELi4ELi1EEvPKT_PKfPKiS6_S6_Pfiiiiiiiiiiiiii15HIP_vector_typeIjLj3EES9_@rel32@hi+16
	v_dual_mov_b32 v0, 0x136 :: v_dual_mov_b32 v1, s2
	v_mov_b32_e32 v2, s3
	s_add_nc_u64 s[8:9], s[0:1], 0x80
	s_getpc_b64 s[0:1]
	s_sext_i32_i16 s1, s1
	s_add_co_u32 s0, s0, _ZL14no_device_codePKciS0_iS0_@rel32@lo+8
	s_add_co_ci_u32 s1, s1, _ZL14no_device_codePKciS0_iS0_@rel32@hi+16
	s_mov_b32 s32, 0
	s_swappc_b64 s[30:31], s[0:1]
	.section	.rodata,"a",@progbits
	.p2align	6, 0x0
	.amdhsa_kernel _ZL13mul_mat_f_idsIfLi32ELi4ELi7EEvPKT_PKfPKiS6_S6_Pfiiiiiiiiiiiiii15HIP_vector_typeIjLj3EES9_
		.amdhsa_group_segment_fixed_size 0
		.amdhsa_private_segment_fixed_size 16
		.amdhsa_kernarg_size 384
		.amdhsa_user_sgpr_count 2
		.amdhsa_user_sgpr_dispatch_ptr 0
		.amdhsa_user_sgpr_queue_ptr 0
		.amdhsa_user_sgpr_kernarg_segment_ptr 1
		.amdhsa_user_sgpr_dispatch_id 0
		.amdhsa_user_sgpr_private_segment_size 0
		.amdhsa_wavefront_size32 1
		.amdhsa_uses_dynamic_stack 0
		.amdhsa_enable_private_segment 1
		.amdhsa_system_sgpr_workgroup_id_x 1
		.amdhsa_system_sgpr_workgroup_id_y 0
		.amdhsa_system_sgpr_workgroup_id_z 0
		.amdhsa_system_sgpr_workgroup_info 0
		.amdhsa_system_vgpr_workitem_id 0
		.amdhsa_next_free_vgpr 38
		.amdhsa_next_free_sgpr 34
		.amdhsa_reserve_vcc 1
		.amdhsa_float_round_mode_32 0
		.amdhsa_float_round_mode_16_64 0
		.amdhsa_float_denorm_mode_32 3
		.amdhsa_float_denorm_mode_16_64 3
		.amdhsa_fp16_overflow 0
		.amdhsa_workgroup_processor_mode 1
		.amdhsa_memory_ordered 1
		.amdhsa_forward_progress 1
		.amdhsa_inst_pref_size 1
		.amdhsa_round_robin_scheduling 0
		.amdhsa_exception_fp_ieee_invalid_op 0
		.amdhsa_exception_fp_denorm_src 0
		.amdhsa_exception_fp_ieee_div_zero 0
		.amdhsa_exception_fp_ieee_overflow 0
		.amdhsa_exception_fp_ieee_underflow 0
		.amdhsa_exception_fp_ieee_inexact 0
		.amdhsa_exception_int_div_zero 0
	.end_amdhsa_kernel
	.section	.text._ZL13mul_mat_f_idsIfLi32ELi4ELi7EEvPKT_PKfPKiS6_S6_Pfiiiiiiiiiiiiii15HIP_vector_typeIjLj3EES9_,"axG",@progbits,_ZL13mul_mat_f_idsIfLi32ELi4ELi7EEvPKT_PKfPKiS6_S6_Pfiiiiiiiiiiiiii15HIP_vector_typeIjLj3EES9_,comdat
.Lfunc_end21:
	.size	_ZL13mul_mat_f_idsIfLi32ELi4ELi7EEvPKT_PKfPKiS6_S6_Pfiiiiiiiiiiiiii15HIP_vector_typeIjLj3EES9_, .Lfunc_end21-_ZL13mul_mat_f_idsIfLi32ELi4ELi7EEvPKT_PKfPKiS6_S6_Pfiiiiiiiiiiiiii15HIP_vector_typeIjLj3EES9_
                                        ; -- End function
	.set _ZL13mul_mat_f_idsIfLi32ELi4ELi7EEvPKT_PKfPKiS6_S6_Pfiiiiiiiiiiiiii15HIP_vector_typeIjLj3EES9_.num_vgpr, max(3, .L_ZL14no_device_codePKciS0_iS0_.num_vgpr)
	.set _ZL13mul_mat_f_idsIfLi32ELi4ELi7EEvPKT_PKfPKiS6_S6_Pfiiiiiiiiiiiiii15HIP_vector_typeIjLj3EES9_.num_agpr, max(0, .L_ZL14no_device_codePKciS0_iS0_.num_agpr)
	.set _ZL13mul_mat_f_idsIfLi32ELi4ELi7EEvPKT_PKfPKiS6_S6_Pfiiiiiiiiiiiiii15HIP_vector_typeIjLj3EES9_.numbered_sgpr, max(33, .L_ZL14no_device_codePKciS0_iS0_.numbered_sgpr)
	.set _ZL13mul_mat_f_idsIfLi32ELi4ELi7EEvPKT_PKfPKiS6_S6_Pfiiiiiiiiiiiiii15HIP_vector_typeIjLj3EES9_.num_named_barrier, max(0, .L_ZL14no_device_codePKciS0_iS0_.num_named_barrier)
	.set _ZL13mul_mat_f_idsIfLi32ELi4ELi7EEvPKT_PKfPKiS6_S6_Pfiiiiiiiiiiiiii15HIP_vector_typeIjLj3EES9_.private_seg_size, 0+max(.L_ZL14no_device_codePKciS0_iS0_.private_seg_size)
	.set _ZL13mul_mat_f_idsIfLi32ELi4ELi7EEvPKT_PKfPKiS6_S6_Pfiiiiiiiiiiiiii15HIP_vector_typeIjLj3EES9_.uses_vcc, or(1, .L_ZL14no_device_codePKciS0_iS0_.uses_vcc)
	.set _ZL13mul_mat_f_idsIfLi32ELi4ELi7EEvPKT_PKfPKiS6_S6_Pfiiiiiiiiiiiiii15HIP_vector_typeIjLj3EES9_.uses_flat_scratch, or(0, .L_ZL14no_device_codePKciS0_iS0_.uses_flat_scratch)
	.set _ZL13mul_mat_f_idsIfLi32ELi4ELi7EEvPKT_PKfPKiS6_S6_Pfiiiiiiiiiiiiii15HIP_vector_typeIjLj3EES9_.has_dyn_sized_stack, or(0, .L_ZL14no_device_codePKciS0_iS0_.has_dyn_sized_stack)
	.set _ZL13mul_mat_f_idsIfLi32ELi4ELi7EEvPKT_PKfPKiS6_S6_Pfiiiiiiiiiiiiii15HIP_vector_typeIjLj3EES9_.has_recursion, or(0, .L_ZL14no_device_codePKciS0_iS0_.has_recursion)
	.set _ZL13mul_mat_f_idsIfLi32ELi4ELi7EEvPKT_PKfPKiS6_S6_Pfiiiiiiiiiiiiii15HIP_vector_typeIjLj3EES9_.has_indirect_call, or(0, .L_ZL14no_device_codePKciS0_iS0_.has_indirect_call)
	.section	.AMDGPU.csdata,"",@progbits
; Kernel info:
; codeLenInByte = 80
; TotalNumSgprs: 36
; NumVgprs: 38
; ScratchSize: 16
; MemoryBound: 0
; FloatMode: 240
; IeeeMode: 1
; LDSByteSize: 0 bytes/workgroup (compile time only)
; SGPRBlocks: 0
; VGPRBlocks: 4
; NumSGPRsForWavesPerEU: 36
; NumVGPRsForWavesPerEU: 38
; Occupancy: 16
; WaveLimiterHint : 1
; COMPUTE_PGM_RSRC2:SCRATCH_EN: 1
; COMPUTE_PGM_RSRC2:USER_SGPR: 2
; COMPUTE_PGM_RSRC2:TRAP_HANDLER: 0
; COMPUTE_PGM_RSRC2:TGID_X_EN: 1
; COMPUTE_PGM_RSRC2:TGID_Y_EN: 0
; COMPUTE_PGM_RSRC2:TGID_Z_EN: 0
; COMPUTE_PGM_RSRC2:TIDIG_COMP_CNT: 0
	.section	.text._ZL9mul_mat_fIfLi32ELi4ELi7ELb1EEvPKT_PKfPKiPfiiiiiiiiiiiiiiii,"axG",@progbits,_ZL9mul_mat_fIfLi32ELi4ELi7ELb1EEvPKT_PKfPKiPfiiiiiiiiiiiiiiii,comdat
	.globl	_ZL9mul_mat_fIfLi32ELi4ELi7ELb1EEvPKT_PKfPKiPfiiiiiiiiiiiiiiii ; -- Begin function _ZL9mul_mat_fIfLi32ELi4ELi7ELb1EEvPKT_PKfPKiPfiiiiiiiiiiiiiiii
	.p2align	8
	.type	_ZL9mul_mat_fIfLi32ELi4ELi7ELb1EEvPKT_PKfPKiPfiiiiiiiiiiiiiiii,@function
_ZL9mul_mat_fIfLi32ELi4ELi7ELb1EEvPKT_PKfPKiPfiiiiiiiiiiiiiiii: ; @_ZL9mul_mat_fIfLi32ELi4ELi7ELb1EEvPKT_PKfPKiPfiiiiiiiiiiiiiiii
; %bb.0:
	s_getpc_b64 s[2:3]
	s_sext_i32_i16 s3, s3
	s_add_co_u32 s2, s2, __FUNCTION__._ZL9mul_mat_fIfLi32ELi4ELi1ELb1EEvPKT_PKfPKiPfiiiiiiiiiiiiiiii@rel32@lo+8
	s_add_co_ci_u32 s3, s3, __FUNCTION__._ZL9mul_mat_fIfLi32ELi4ELi1ELb1EEvPKT_PKfPKiPfiiiiiiiiiiiiiiii@rel32@hi+16
	v_dual_mov_b32 v0, 59 :: v_dual_mov_b32 v1, s2
	v_mov_b32_e32 v2, s3
	s_add_nc_u64 s[8:9], s[0:1], 0x60
	s_getpc_b64 s[0:1]
	s_sext_i32_i16 s1, s1
	s_add_co_u32 s0, s0, _ZL14no_device_codePKciS0_iS0_@rel32@lo+8
	s_add_co_ci_u32 s1, s1, _ZL14no_device_codePKciS0_iS0_@rel32@hi+16
	s_mov_b32 s32, 0
	s_swappc_b64 s[30:31], s[0:1]
	.section	.rodata,"a",@progbits
	.p2align	6, 0x0
	.amdhsa_kernel _ZL9mul_mat_fIfLi32ELi4ELi7ELb1EEvPKT_PKfPKiPfiiiiiiiiiiiiiiii
		.amdhsa_group_segment_fixed_size 0
		.amdhsa_private_segment_fixed_size 16
		.amdhsa_kernarg_size 352
		.amdhsa_user_sgpr_count 2
		.amdhsa_user_sgpr_dispatch_ptr 0
		.amdhsa_user_sgpr_queue_ptr 0
		.amdhsa_user_sgpr_kernarg_segment_ptr 1
		.amdhsa_user_sgpr_dispatch_id 0
		.amdhsa_user_sgpr_private_segment_size 0
		.amdhsa_wavefront_size32 1
		.amdhsa_uses_dynamic_stack 0
		.amdhsa_enable_private_segment 1
		.amdhsa_system_sgpr_workgroup_id_x 1
		.amdhsa_system_sgpr_workgroup_id_y 0
		.amdhsa_system_sgpr_workgroup_id_z 0
		.amdhsa_system_sgpr_workgroup_info 0
		.amdhsa_system_vgpr_workitem_id 0
		.amdhsa_next_free_vgpr 38
		.amdhsa_next_free_sgpr 34
		.amdhsa_reserve_vcc 1
		.amdhsa_float_round_mode_32 0
		.amdhsa_float_round_mode_16_64 0
		.amdhsa_float_denorm_mode_32 3
		.amdhsa_float_denorm_mode_16_64 3
		.amdhsa_fp16_overflow 0
		.amdhsa_workgroup_processor_mode 1
		.amdhsa_memory_ordered 1
		.amdhsa_forward_progress 1
		.amdhsa_inst_pref_size 1
		.amdhsa_round_robin_scheduling 0
		.amdhsa_exception_fp_ieee_invalid_op 0
		.amdhsa_exception_fp_denorm_src 0
		.amdhsa_exception_fp_ieee_div_zero 0
		.amdhsa_exception_fp_ieee_overflow 0
		.amdhsa_exception_fp_ieee_underflow 0
		.amdhsa_exception_fp_ieee_inexact 0
		.amdhsa_exception_int_div_zero 0
	.end_amdhsa_kernel
	.section	.text._ZL9mul_mat_fIfLi32ELi4ELi7ELb1EEvPKT_PKfPKiPfiiiiiiiiiiiiiiii,"axG",@progbits,_ZL9mul_mat_fIfLi32ELi4ELi7ELb1EEvPKT_PKfPKiPfiiiiiiiiiiiiiiii,comdat
.Lfunc_end22:
	.size	_ZL9mul_mat_fIfLi32ELi4ELi7ELb1EEvPKT_PKfPKiPfiiiiiiiiiiiiiiii, .Lfunc_end22-_ZL9mul_mat_fIfLi32ELi4ELi7ELb1EEvPKT_PKfPKiPfiiiiiiiiiiiiiiii
                                        ; -- End function
	.set _ZL9mul_mat_fIfLi32ELi4ELi7ELb1EEvPKT_PKfPKiPfiiiiiiiiiiiiiiii.num_vgpr, max(3, .L_ZL14no_device_codePKciS0_iS0_.num_vgpr)
	.set _ZL9mul_mat_fIfLi32ELi4ELi7ELb1EEvPKT_PKfPKiPfiiiiiiiiiiiiiiii.num_agpr, max(0, .L_ZL14no_device_codePKciS0_iS0_.num_agpr)
	.set _ZL9mul_mat_fIfLi32ELi4ELi7ELb1EEvPKT_PKfPKiPfiiiiiiiiiiiiiiii.numbered_sgpr, max(33, .L_ZL14no_device_codePKciS0_iS0_.numbered_sgpr)
	.set _ZL9mul_mat_fIfLi32ELi4ELi7ELb1EEvPKT_PKfPKiPfiiiiiiiiiiiiiiii.num_named_barrier, max(0, .L_ZL14no_device_codePKciS0_iS0_.num_named_barrier)
	.set _ZL9mul_mat_fIfLi32ELi4ELi7ELb1EEvPKT_PKfPKiPfiiiiiiiiiiiiiiii.private_seg_size, 0+max(.L_ZL14no_device_codePKciS0_iS0_.private_seg_size)
	.set _ZL9mul_mat_fIfLi32ELi4ELi7ELb1EEvPKT_PKfPKiPfiiiiiiiiiiiiiiii.uses_vcc, or(1, .L_ZL14no_device_codePKciS0_iS0_.uses_vcc)
	.set _ZL9mul_mat_fIfLi32ELi4ELi7ELb1EEvPKT_PKfPKiPfiiiiiiiiiiiiiiii.uses_flat_scratch, or(0, .L_ZL14no_device_codePKciS0_iS0_.uses_flat_scratch)
	.set _ZL9mul_mat_fIfLi32ELi4ELi7ELb1EEvPKT_PKfPKiPfiiiiiiiiiiiiiiii.has_dyn_sized_stack, or(0, .L_ZL14no_device_codePKciS0_iS0_.has_dyn_sized_stack)
	.set _ZL9mul_mat_fIfLi32ELi4ELi7ELb1EEvPKT_PKfPKiPfiiiiiiiiiiiiiiii.has_recursion, or(0, .L_ZL14no_device_codePKciS0_iS0_.has_recursion)
	.set _ZL9mul_mat_fIfLi32ELi4ELi7ELb1EEvPKT_PKfPKiPfiiiiiiiiiiiiiiii.has_indirect_call, or(0, .L_ZL14no_device_codePKciS0_iS0_.has_indirect_call)
	.section	.AMDGPU.csdata,"",@progbits
; Kernel info:
; codeLenInByte = 76
; TotalNumSgprs: 36
; NumVgprs: 38
; ScratchSize: 16
; MemoryBound: 0
; FloatMode: 240
; IeeeMode: 1
; LDSByteSize: 0 bytes/workgroup (compile time only)
; SGPRBlocks: 0
; VGPRBlocks: 4
; NumSGPRsForWavesPerEU: 36
; NumVGPRsForWavesPerEU: 38
; Occupancy: 16
; WaveLimiterHint : 1
; COMPUTE_PGM_RSRC2:SCRATCH_EN: 1
; COMPUTE_PGM_RSRC2:USER_SGPR: 2
; COMPUTE_PGM_RSRC2:TRAP_HANDLER: 0
; COMPUTE_PGM_RSRC2:TGID_X_EN: 1
; COMPUTE_PGM_RSRC2:TGID_Y_EN: 0
; COMPUTE_PGM_RSRC2:TGID_Z_EN: 0
; COMPUTE_PGM_RSRC2:TIDIG_COMP_CNT: 0
	.section	.text._ZL9mul_mat_fIfLi32ELi4ELi7ELb0EEvPKT_PKfPKiPfiiiiiiiiiiiiiiii,"axG",@progbits,_ZL9mul_mat_fIfLi32ELi4ELi7ELb0EEvPKT_PKfPKiPfiiiiiiiiiiiiiiii,comdat
	.globl	_ZL9mul_mat_fIfLi32ELi4ELi7ELb0EEvPKT_PKfPKiPfiiiiiiiiiiiiiiii ; -- Begin function _ZL9mul_mat_fIfLi32ELi4ELi7ELb0EEvPKT_PKfPKiPfiiiiiiiiiiiiiiii
	.p2align	8
	.type	_ZL9mul_mat_fIfLi32ELi4ELi7ELb0EEvPKT_PKfPKiPfiiiiiiiiiiiiiiii,@function
_ZL9mul_mat_fIfLi32ELi4ELi7ELb0EEvPKT_PKfPKiPfiiiiiiiiiiiiiiii: ; @_ZL9mul_mat_fIfLi32ELi4ELi7ELb0EEvPKT_PKfPKiPfiiiiiiiiiiiiiiii
; %bb.0:
	s_getpc_b64 s[2:3]
	s_sext_i32_i16 s3, s3
	s_add_co_u32 s2, s2, __FUNCTION__._ZL9mul_mat_fIfLi32ELi4ELi1ELb1EEvPKT_PKfPKiPfiiiiiiiiiiiiiiii@rel32@lo+8
	s_add_co_ci_u32 s3, s3, __FUNCTION__._ZL9mul_mat_fIfLi32ELi4ELi1ELb1EEvPKT_PKfPKiPfiiiiiiiiiiiiiiii@rel32@hi+16
	v_dual_mov_b32 v0, 59 :: v_dual_mov_b32 v1, s2
	v_mov_b32_e32 v2, s3
	s_add_nc_u64 s[8:9], s[0:1], 0x60
	s_getpc_b64 s[0:1]
	s_sext_i32_i16 s1, s1
	s_add_co_u32 s0, s0, _ZL14no_device_codePKciS0_iS0_@rel32@lo+8
	s_add_co_ci_u32 s1, s1, _ZL14no_device_codePKciS0_iS0_@rel32@hi+16
	s_mov_b32 s32, 0
	s_swappc_b64 s[30:31], s[0:1]
	.section	.rodata,"a",@progbits
	.p2align	6, 0x0
	.amdhsa_kernel _ZL9mul_mat_fIfLi32ELi4ELi7ELb0EEvPKT_PKfPKiPfiiiiiiiiiiiiiiii
		.amdhsa_group_segment_fixed_size 0
		.amdhsa_private_segment_fixed_size 16
		.amdhsa_kernarg_size 352
		.amdhsa_user_sgpr_count 2
		.amdhsa_user_sgpr_dispatch_ptr 0
		.amdhsa_user_sgpr_queue_ptr 0
		.amdhsa_user_sgpr_kernarg_segment_ptr 1
		.amdhsa_user_sgpr_dispatch_id 0
		.amdhsa_user_sgpr_private_segment_size 0
		.amdhsa_wavefront_size32 1
		.amdhsa_uses_dynamic_stack 0
		.amdhsa_enable_private_segment 1
		.amdhsa_system_sgpr_workgroup_id_x 1
		.amdhsa_system_sgpr_workgroup_id_y 0
		.amdhsa_system_sgpr_workgroup_id_z 0
		.amdhsa_system_sgpr_workgroup_info 0
		.amdhsa_system_vgpr_workitem_id 0
		.amdhsa_next_free_vgpr 38
		.amdhsa_next_free_sgpr 34
		.amdhsa_reserve_vcc 1
		.amdhsa_float_round_mode_32 0
		.amdhsa_float_round_mode_16_64 0
		.amdhsa_float_denorm_mode_32 3
		.amdhsa_float_denorm_mode_16_64 3
		.amdhsa_fp16_overflow 0
		.amdhsa_workgroup_processor_mode 1
		.amdhsa_memory_ordered 1
		.amdhsa_forward_progress 1
		.amdhsa_inst_pref_size 1
		.amdhsa_round_robin_scheduling 0
		.amdhsa_exception_fp_ieee_invalid_op 0
		.amdhsa_exception_fp_denorm_src 0
		.amdhsa_exception_fp_ieee_div_zero 0
		.amdhsa_exception_fp_ieee_overflow 0
		.amdhsa_exception_fp_ieee_underflow 0
		.amdhsa_exception_fp_ieee_inexact 0
		.amdhsa_exception_int_div_zero 0
	.end_amdhsa_kernel
	.section	.text._ZL9mul_mat_fIfLi32ELi4ELi7ELb0EEvPKT_PKfPKiPfiiiiiiiiiiiiiiii,"axG",@progbits,_ZL9mul_mat_fIfLi32ELi4ELi7ELb0EEvPKT_PKfPKiPfiiiiiiiiiiiiiiii,comdat
.Lfunc_end23:
	.size	_ZL9mul_mat_fIfLi32ELi4ELi7ELb0EEvPKT_PKfPKiPfiiiiiiiiiiiiiiii, .Lfunc_end23-_ZL9mul_mat_fIfLi32ELi4ELi7ELb0EEvPKT_PKfPKiPfiiiiiiiiiiiiiiii
                                        ; -- End function
	.set _ZL9mul_mat_fIfLi32ELi4ELi7ELb0EEvPKT_PKfPKiPfiiiiiiiiiiiiiiii.num_vgpr, max(3, .L_ZL14no_device_codePKciS0_iS0_.num_vgpr)
	.set _ZL9mul_mat_fIfLi32ELi4ELi7ELb0EEvPKT_PKfPKiPfiiiiiiiiiiiiiiii.num_agpr, max(0, .L_ZL14no_device_codePKciS0_iS0_.num_agpr)
	.set _ZL9mul_mat_fIfLi32ELi4ELi7ELb0EEvPKT_PKfPKiPfiiiiiiiiiiiiiiii.numbered_sgpr, max(33, .L_ZL14no_device_codePKciS0_iS0_.numbered_sgpr)
	.set _ZL9mul_mat_fIfLi32ELi4ELi7ELb0EEvPKT_PKfPKiPfiiiiiiiiiiiiiiii.num_named_barrier, max(0, .L_ZL14no_device_codePKciS0_iS0_.num_named_barrier)
	.set _ZL9mul_mat_fIfLi32ELi4ELi7ELb0EEvPKT_PKfPKiPfiiiiiiiiiiiiiiii.private_seg_size, 0+max(.L_ZL14no_device_codePKciS0_iS0_.private_seg_size)
	.set _ZL9mul_mat_fIfLi32ELi4ELi7ELb0EEvPKT_PKfPKiPfiiiiiiiiiiiiiiii.uses_vcc, or(1, .L_ZL14no_device_codePKciS0_iS0_.uses_vcc)
	.set _ZL9mul_mat_fIfLi32ELi4ELi7ELb0EEvPKT_PKfPKiPfiiiiiiiiiiiiiiii.uses_flat_scratch, or(0, .L_ZL14no_device_codePKciS0_iS0_.uses_flat_scratch)
	.set _ZL9mul_mat_fIfLi32ELi4ELi7ELb0EEvPKT_PKfPKiPfiiiiiiiiiiiiiiii.has_dyn_sized_stack, or(0, .L_ZL14no_device_codePKciS0_iS0_.has_dyn_sized_stack)
	.set _ZL9mul_mat_fIfLi32ELi4ELi7ELb0EEvPKT_PKfPKiPfiiiiiiiiiiiiiiii.has_recursion, or(0, .L_ZL14no_device_codePKciS0_iS0_.has_recursion)
	.set _ZL9mul_mat_fIfLi32ELi4ELi7ELb0EEvPKT_PKfPKiPfiiiiiiiiiiiiiiii.has_indirect_call, or(0, .L_ZL14no_device_codePKciS0_iS0_.has_indirect_call)
	.section	.AMDGPU.csdata,"",@progbits
; Kernel info:
; codeLenInByte = 76
; TotalNumSgprs: 36
; NumVgprs: 38
; ScratchSize: 16
; MemoryBound: 0
; FloatMode: 240
; IeeeMode: 1
; LDSByteSize: 0 bytes/workgroup (compile time only)
; SGPRBlocks: 0
; VGPRBlocks: 4
; NumSGPRsForWavesPerEU: 36
; NumVGPRsForWavesPerEU: 38
; Occupancy: 16
; WaveLimiterHint : 1
; COMPUTE_PGM_RSRC2:SCRATCH_EN: 1
; COMPUTE_PGM_RSRC2:USER_SGPR: 2
; COMPUTE_PGM_RSRC2:TRAP_HANDLER: 0
; COMPUTE_PGM_RSRC2:TGID_X_EN: 1
; COMPUTE_PGM_RSRC2:TGID_Y_EN: 0
; COMPUTE_PGM_RSRC2:TGID_Z_EN: 0
; COMPUTE_PGM_RSRC2:TIDIG_COMP_CNT: 0
	.section	.text._ZL13mul_mat_f_idsIfLi32ELi4ELi8EEvPKT_PKfPKiS6_S6_Pfiiiiiiiiiiiiii15HIP_vector_typeIjLj3EES9_,"axG",@progbits,_ZL13mul_mat_f_idsIfLi32ELi4ELi8EEvPKT_PKfPKiS6_S6_Pfiiiiiiiiiiiiii15HIP_vector_typeIjLj3EES9_,comdat
	.globl	_ZL13mul_mat_f_idsIfLi32ELi4ELi8EEvPKT_PKfPKiS6_S6_Pfiiiiiiiiiiiiii15HIP_vector_typeIjLj3EES9_ ; -- Begin function _ZL13mul_mat_f_idsIfLi32ELi4ELi8EEvPKT_PKfPKiS6_S6_Pfiiiiiiiiiiiiii15HIP_vector_typeIjLj3EES9_
	.p2align	8
	.type	_ZL13mul_mat_f_idsIfLi32ELi4ELi8EEvPKT_PKfPKiS6_S6_Pfiiiiiiiiiiiiii15HIP_vector_typeIjLj3EES9_,@function
_ZL13mul_mat_f_idsIfLi32ELi4ELi8EEvPKT_PKfPKiS6_S6_Pfiiiiiiiiiiiiii15HIP_vector_typeIjLj3EES9_: ; @_ZL13mul_mat_f_idsIfLi32ELi4ELi8EEvPKT_PKfPKiS6_S6_Pfiiiiiiiiiiiiii15HIP_vector_typeIjLj3EES9_
; %bb.0:
	s_getpc_b64 s[2:3]
	s_sext_i32_i16 s3, s3
	s_add_co_u32 s2, s2, __FUNCTION__._ZL13mul_mat_f_idsIfLi32ELi4ELi1EEvPKT_PKfPKiS6_S6_Pfiiiiiiiiiiiiii15HIP_vector_typeIjLj3EES9_@rel32@lo+8
	s_add_co_ci_u32 s3, s3, __FUNCTION__._ZL13mul_mat_f_idsIfLi32ELi4ELi1EEvPKT_PKfPKiS6_S6_Pfiiiiiiiiiiiiii15HIP_vector_typeIjLj3EES9_@rel32@hi+16
	v_dual_mov_b32 v0, 0x136 :: v_dual_mov_b32 v1, s2
	v_mov_b32_e32 v2, s3
	s_add_nc_u64 s[8:9], s[0:1], 0x80
	s_getpc_b64 s[0:1]
	s_sext_i32_i16 s1, s1
	s_add_co_u32 s0, s0, _ZL14no_device_codePKciS0_iS0_@rel32@lo+8
	s_add_co_ci_u32 s1, s1, _ZL14no_device_codePKciS0_iS0_@rel32@hi+16
	s_mov_b32 s32, 0
	s_swappc_b64 s[30:31], s[0:1]
	.section	.rodata,"a",@progbits
	.p2align	6, 0x0
	.amdhsa_kernel _ZL13mul_mat_f_idsIfLi32ELi4ELi8EEvPKT_PKfPKiS6_S6_Pfiiiiiiiiiiiiii15HIP_vector_typeIjLj3EES9_
		.amdhsa_group_segment_fixed_size 0
		.amdhsa_private_segment_fixed_size 16
		.amdhsa_kernarg_size 384
		.amdhsa_user_sgpr_count 2
		.amdhsa_user_sgpr_dispatch_ptr 0
		.amdhsa_user_sgpr_queue_ptr 0
		.amdhsa_user_sgpr_kernarg_segment_ptr 1
		.amdhsa_user_sgpr_dispatch_id 0
		.amdhsa_user_sgpr_private_segment_size 0
		.amdhsa_wavefront_size32 1
		.amdhsa_uses_dynamic_stack 0
		.amdhsa_enable_private_segment 1
		.amdhsa_system_sgpr_workgroup_id_x 1
		.amdhsa_system_sgpr_workgroup_id_y 0
		.amdhsa_system_sgpr_workgroup_id_z 0
		.amdhsa_system_sgpr_workgroup_info 0
		.amdhsa_system_vgpr_workitem_id 0
		.amdhsa_next_free_vgpr 38
		.amdhsa_next_free_sgpr 34
		.amdhsa_reserve_vcc 1
		.amdhsa_float_round_mode_32 0
		.amdhsa_float_round_mode_16_64 0
		.amdhsa_float_denorm_mode_32 3
		.amdhsa_float_denorm_mode_16_64 3
		.amdhsa_fp16_overflow 0
		.amdhsa_workgroup_processor_mode 1
		.amdhsa_memory_ordered 1
		.amdhsa_forward_progress 1
		.amdhsa_inst_pref_size 1
		.amdhsa_round_robin_scheduling 0
		.amdhsa_exception_fp_ieee_invalid_op 0
		.amdhsa_exception_fp_denorm_src 0
		.amdhsa_exception_fp_ieee_div_zero 0
		.amdhsa_exception_fp_ieee_overflow 0
		.amdhsa_exception_fp_ieee_underflow 0
		.amdhsa_exception_fp_ieee_inexact 0
		.amdhsa_exception_int_div_zero 0
	.end_amdhsa_kernel
	.section	.text._ZL13mul_mat_f_idsIfLi32ELi4ELi8EEvPKT_PKfPKiS6_S6_Pfiiiiiiiiiiiiii15HIP_vector_typeIjLj3EES9_,"axG",@progbits,_ZL13mul_mat_f_idsIfLi32ELi4ELi8EEvPKT_PKfPKiS6_S6_Pfiiiiiiiiiiiiii15HIP_vector_typeIjLj3EES9_,comdat
.Lfunc_end24:
	.size	_ZL13mul_mat_f_idsIfLi32ELi4ELi8EEvPKT_PKfPKiS6_S6_Pfiiiiiiiiiiiiii15HIP_vector_typeIjLj3EES9_, .Lfunc_end24-_ZL13mul_mat_f_idsIfLi32ELi4ELi8EEvPKT_PKfPKiS6_S6_Pfiiiiiiiiiiiiii15HIP_vector_typeIjLj3EES9_
                                        ; -- End function
	.set _ZL13mul_mat_f_idsIfLi32ELi4ELi8EEvPKT_PKfPKiS6_S6_Pfiiiiiiiiiiiiii15HIP_vector_typeIjLj3EES9_.num_vgpr, max(3, .L_ZL14no_device_codePKciS0_iS0_.num_vgpr)
	.set _ZL13mul_mat_f_idsIfLi32ELi4ELi8EEvPKT_PKfPKiS6_S6_Pfiiiiiiiiiiiiii15HIP_vector_typeIjLj3EES9_.num_agpr, max(0, .L_ZL14no_device_codePKciS0_iS0_.num_agpr)
	.set _ZL13mul_mat_f_idsIfLi32ELi4ELi8EEvPKT_PKfPKiS6_S6_Pfiiiiiiiiiiiiii15HIP_vector_typeIjLj3EES9_.numbered_sgpr, max(33, .L_ZL14no_device_codePKciS0_iS0_.numbered_sgpr)
	.set _ZL13mul_mat_f_idsIfLi32ELi4ELi8EEvPKT_PKfPKiS6_S6_Pfiiiiiiiiiiiiii15HIP_vector_typeIjLj3EES9_.num_named_barrier, max(0, .L_ZL14no_device_codePKciS0_iS0_.num_named_barrier)
	.set _ZL13mul_mat_f_idsIfLi32ELi4ELi8EEvPKT_PKfPKiS6_S6_Pfiiiiiiiiiiiiii15HIP_vector_typeIjLj3EES9_.private_seg_size, 0+max(.L_ZL14no_device_codePKciS0_iS0_.private_seg_size)
	.set _ZL13mul_mat_f_idsIfLi32ELi4ELi8EEvPKT_PKfPKiS6_S6_Pfiiiiiiiiiiiiii15HIP_vector_typeIjLj3EES9_.uses_vcc, or(1, .L_ZL14no_device_codePKciS0_iS0_.uses_vcc)
	.set _ZL13mul_mat_f_idsIfLi32ELi4ELi8EEvPKT_PKfPKiS6_S6_Pfiiiiiiiiiiiiii15HIP_vector_typeIjLj3EES9_.uses_flat_scratch, or(0, .L_ZL14no_device_codePKciS0_iS0_.uses_flat_scratch)
	.set _ZL13mul_mat_f_idsIfLi32ELi4ELi8EEvPKT_PKfPKiS6_S6_Pfiiiiiiiiiiiiii15HIP_vector_typeIjLj3EES9_.has_dyn_sized_stack, or(0, .L_ZL14no_device_codePKciS0_iS0_.has_dyn_sized_stack)
	.set _ZL13mul_mat_f_idsIfLi32ELi4ELi8EEvPKT_PKfPKiS6_S6_Pfiiiiiiiiiiiiii15HIP_vector_typeIjLj3EES9_.has_recursion, or(0, .L_ZL14no_device_codePKciS0_iS0_.has_recursion)
	.set _ZL13mul_mat_f_idsIfLi32ELi4ELi8EEvPKT_PKfPKiS6_S6_Pfiiiiiiiiiiiiii15HIP_vector_typeIjLj3EES9_.has_indirect_call, or(0, .L_ZL14no_device_codePKciS0_iS0_.has_indirect_call)
	.section	.AMDGPU.csdata,"",@progbits
; Kernel info:
; codeLenInByte = 80
; TotalNumSgprs: 36
; NumVgprs: 38
; ScratchSize: 16
; MemoryBound: 0
; FloatMode: 240
; IeeeMode: 1
; LDSByteSize: 0 bytes/workgroup (compile time only)
; SGPRBlocks: 0
; VGPRBlocks: 4
; NumSGPRsForWavesPerEU: 36
; NumVGPRsForWavesPerEU: 38
; Occupancy: 16
; WaveLimiterHint : 1
; COMPUTE_PGM_RSRC2:SCRATCH_EN: 1
; COMPUTE_PGM_RSRC2:USER_SGPR: 2
; COMPUTE_PGM_RSRC2:TRAP_HANDLER: 0
; COMPUTE_PGM_RSRC2:TGID_X_EN: 1
; COMPUTE_PGM_RSRC2:TGID_Y_EN: 0
; COMPUTE_PGM_RSRC2:TGID_Z_EN: 0
; COMPUTE_PGM_RSRC2:TIDIG_COMP_CNT: 0
	.section	.text._ZL9mul_mat_fIfLi32ELi4ELi8ELb1EEvPKT_PKfPKiPfiiiiiiiiiiiiiiii,"axG",@progbits,_ZL9mul_mat_fIfLi32ELi4ELi8ELb1EEvPKT_PKfPKiPfiiiiiiiiiiiiiiii,comdat
	.globl	_ZL9mul_mat_fIfLi32ELi4ELi8ELb1EEvPKT_PKfPKiPfiiiiiiiiiiiiiiii ; -- Begin function _ZL9mul_mat_fIfLi32ELi4ELi8ELb1EEvPKT_PKfPKiPfiiiiiiiiiiiiiiii
	.p2align	8
	.type	_ZL9mul_mat_fIfLi32ELi4ELi8ELb1EEvPKT_PKfPKiPfiiiiiiiiiiiiiiii,@function
_ZL9mul_mat_fIfLi32ELi4ELi8ELb1EEvPKT_PKfPKiPfiiiiiiiiiiiiiiii: ; @_ZL9mul_mat_fIfLi32ELi4ELi8ELb1EEvPKT_PKfPKiPfiiiiiiiiiiiiiiii
; %bb.0:
	s_getpc_b64 s[2:3]
	s_sext_i32_i16 s3, s3
	s_add_co_u32 s2, s2, __FUNCTION__._ZL9mul_mat_fIfLi32ELi4ELi1ELb1EEvPKT_PKfPKiPfiiiiiiiiiiiiiiii@rel32@lo+8
	s_add_co_ci_u32 s3, s3, __FUNCTION__._ZL9mul_mat_fIfLi32ELi4ELi1ELb1EEvPKT_PKfPKiPfiiiiiiiiiiiiiiii@rel32@hi+16
	v_dual_mov_b32 v0, 59 :: v_dual_mov_b32 v1, s2
	v_mov_b32_e32 v2, s3
	s_add_nc_u64 s[8:9], s[0:1], 0x60
	s_getpc_b64 s[0:1]
	s_sext_i32_i16 s1, s1
	s_add_co_u32 s0, s0, _ZL14no_device_codePKciS0_iS0_@rel32@lo+8
	s_add_co_ci_u32 s1, s1, _ZL14no_device_codePKciS0_iS0_@rel32@hi+16
	s_mov_b32 s32, 0
	s_swappc_b64 s[30:31], s[0:1]
	.section	.rodata,"a",@progbits
	.p2align	6, 0x0
	.amdhsa_kernel _ZL9mul_mat_fIfLi32ELi4ELi8ELb1EEvPKT_PKfPKiPfiiiiiiiiiiiiiiii
		.amdhsa_group_segment_fixed_size 0
		.amdhsa_private_segment_fixed_size 16
		.amdhsa_kernarg_size 352
		.amdhsa_user_sgpr_count 2
		.amdhsa_user_sgpr_dispatch_ptr 0
		.amdhsa_user_sgpr_queue_ptr 0
		.amdhsa_user_sgpr_kernarg_segment_ptr 1
		.amdhsa_user_sgpr_dispatch_id 0
		.amdhsa_user_sgpr_private_segment_size 0
		.amdhsa_wavefront_size32 1
		.amdhsa_uses_dynamic_stack 0
		.amdhsa_enable_private_segment 1
		.amdhsa_system_sgpr_workgroup_id_x 1
		.amdhsa_system_sgpr_workgroup_id_y 0
		.amdhsa_system_sgpr_workgroup_id_z 0
		.amdhsa_system_sgpr_workgroup_info 0
		.amdhsa_system_vgpr_workitem_id 0
		.amdhsa_next_free_vgpr 38
		.amdhsa_next_free_sgpr 34
		.amdhsa_reserve_vcc 1
		.amdhsa_float_round_mode_32 0
		.amdhsa_float_round_mode_16_64 0
		.amdhsa_float_denorm_mode_32 3
		.amdhsa_float_denorm_mode_16_64 3
		.amdhsa_fp16_overflow 0
		.amdhsa_workgroup_processor_mode 1
		.amdhsa_memory_ordered 1
		.amdhsa_forward_progress 1
		.amdhsa_inst_pref_size 1
		.amdhsa_round_robin_scheduling 0
		.amdhsa_exception_fp_ieee_invalid_op 0
		.amdhsa_exception_fp_denorm_src 0
		.amdhsa_exception_fp_ieee_div_zero 0
		.amdhsa_exception_fp_ieee_overflow 0
		.amdhsa_exception_fp_ieee_underflow 0
		.amdhsa_exception_fp_ieee_inexact 0
		.amdhsa_exception_int_div_zero 0
	.end_amdhsa_kernel
	.section	.text._ZL9mul_mat_fIfLi32ELi4ELi8ELb1EEvPKT_PKfPKiPfiiiiiiiiiiiiiiii,"axG",@progbits,_ZL9mul_mat_fIfLi32ELi4ELi8ELb1EEvPKT_PKfPKiPfiiiiiiiiiiiiiiii,comdat
.Lfunc_end25:
	.size	_ZL9mul_mat_fIfLi32ELi4ELi8ELb1EEvPKT_PKfPKiPfiiiiiiiiiiiiiiii, .Lfunc_end25-_ZL9mul_mat_fIfLi32ELi4ELi8ELb1EEvPKT_PKfPKiPfiiiiiiiiiiiiiiii
                                        ; -- End function
	.set _ZL9mul_mat_fIfLi32ELi4ELi8ELb1EEvPKT_PKfPKiPfiiiiiiiiiiiiiiii.num_vgpr, max(3, .L_ZL14no_device_codePKciS0_iS0_.num_vgpr)
	.set _ZL9mul_mat_fIfLi32ELi4ELi8ELb1EEvPKT_PKfPKiPfiiiiiiiiiiiiiiii.num_agpr, max(0, .L_ZL14no_device_codePKciS0_iS0_.num_agpr)
	.set _ZL9mul_mat_fIfLi32ELi4ELi8ELb1EEvPKT_PKfPKiPfiiiiiiiiiiiiiiii.numbered_sgpr, max(33, .L_ZL14no_device_codePKciS0_iS0_.numbered_sgpr)
	.set _ZL9mul_mat_fIfLi32ELi4ELi8ELb1EEvPKT_PKfPKiPfiiiiiiiiiiiiiiii.num_named_barrier, max(0, .L_ZL14no_device_codePKciS0_iS0_.num_named_barrier)
	.set _ZL9mul_mat_fIfLi32ELi4ELi8ELb1EEvPKT_PKfPKiPfiiiiiiiiiiiiiiii.private_seg_size, 0+max(.L_ZL14no_device_codePKciS0_iS0_.private_seg_size)
	.set _ZL9mul_mat_fIfLi32ELi4ELi8ELb1EEvPKT_PKfPKiPfiiiiiiiiiiiiiiii.uses_vcc, or(1, .L_ZL14no_device_codePKciS0_iS0_.uses_vcc)
	.set _ZL9mul_mat_fIfLi32ELi4ELi8ELb1EEvPKT_PKfPKiPfiiiiiiiiiiiiiiii.uses_flat_scratch, or(0, .L_ZL14no_device_codePKciS0_iS0_.uses_flat_scratch)
	.set _ZL9mul_mat_fIfLi32ELi4ELi8ELb1EEvPKT_PKfPKiPfiiiiiiiiiiiiiiii.has_dyn_sized_stack, or(0, .L_ZL14no_device_codePKciS0_iS0_.has_dyn_sized_stack)
	.set _ZL9mul_mat_fIfLi32ELi4ELi8ELb1EEvPKT_PKfPKiPfiiiiiiiiiiiiiiii.has_recursion, or(0, .L_ZL14no_device_codePKciS0_iS0_.has_recursion)
	.set _ZL9mul_mat_fIfLi32ELi4ELi8ELb1EEvPKT_PKfPKiPfiiiiiiiiiiiiiiii.has_indirect_call, or(0, .L_ZL14no_device_codePKciS0_iS0_.has_indirect_call)
	.section	.AMDGPU.csdata,"",@progbits
; Kernel info:
; codeLenInByte = 76
; TotalNumSgprs: 36
; NumVgprs: 38
; ScratchSize: 16
; MemoryBound: 0
; FloatMode: 240
; IeeeMode: 1
; LDSByteSize: 0 bytes/workgroup (compile time only)
; SGPRBlocks: 0
; VGPRBlocks: 4
; NumSGPRsForWavesPerEU: 36
; NumVGPRsForWavesPerEU: 38
; Occupancy: 16
; WaveLimiterHint : 1
; COMPUTE_PGM_RSRC2:SCRATCH_EN: 1
; COMPUTE_PGM_RSRC2:USER_SGPR: 2
; COMPUTE_PGM_RSRC2:TRAP_HANDLER: 0
; COMPUTE_PGM_RSRC2:TGID_X_EN: 1
; COMPUTE_PGM_RSRC2:TGID_Y_EN: 0
; COMPUTE_PGM_RSRC2:TGID_Z_EN: 0
; COMPUTE_PGM_RSRC2:TIDIG_COMP_CNT: 0
	.section	.text._ZL9mul_mat_fIfLi32ELi4ELi8ELb0EEvPKT_PKfPKiPfiiiiiiiiiiiiiiii,"axG",@progbits,_ZL9mul_mat_fIfLi32ELi4ELi8ELb0EEvPKT_PKfPKiPfiiiiiiiiiiiiiiii,comdat
	.globl	_ZL9mul_mat_fIfLi32ELi4ELi8ELb0EEvPKT_PKfPKiPfiiiiiiiiiiiiiiii ; -- Begin function _ZL9mul_mat_fIfLi32ELi4ELi8ELb0EEvPKT_PKfPKiPfiiiiiiiiiiiiiiii
	.p2align	8
	.type	_ZL9mul_mat_fIfLi32ELi4ELi8ELb0EEvPKT_PKfPKiPfiiiiiiiiiiiiiiii,@function
_ZL9mul_mat_fIfLi32ELi4ELi8ELb0EEvPKT_PKfPKiPfiiiiiiiiiiiiiiii: ; @_ZL9mul_mat_fIfLi32ELi4ELi8ELb0EEvPKT_PKfPKiPfiiiiiiiiiiiiiiii
; %bb.0:
	s_getpc_b64 s[2:3]
	s_sext_i32_i16 s3, s3
	s_add_co_u32 s2, s2, __FUNCTION__._ZL9mul_mat_fIfLi32ELi4ELi1ELb1EEvPKT_PKfPKiPfiiiiiiiiiiiiiiii@rel32@lo+8
	s_add_co_ci_u32 s3, s3, __FUNCTION__._ZL9mul_mat_fIfLi32ELi4ELi1ELb1EEvPKT_PKfPKiPfiiiiiiiiiiiiiiii@rel32@hi+16
	v_dual_mov_b32 v0, 59 :: v_dual_mov_b32 v1, s2
	v_mov_b32_e32 v2, s3
	s_add_nc_u64 s[8:9], s[0:1], 0x60
	s_getpc_b64 s[0:1]
	s_sext_i32_i16 s1, s1
	s_add_co_u32 s0, s0, _ZL14no_device_codePKciS0_iS0_@rel32@lo+8
	s_add_co_ci_u32 s1, s1, _ZL14no_device_codePKciS0_iS0_@rel32@hi+16
	s_mov_b32 s32, 0
	s_swappc_b64 s[30:31], s[0:1]
	.section	.rodata,"a",@progbits
	.p2align	6, 0x0
	.amdhsa_kernel _ZL9mul_mat_fIfLi32ELi4ELi8ELb0EEvPKT_PKfPKiPfiiiiiiiiiiiiiiii
		.amdhsa_group_segment_fixed_size 0
		.amdhsa_private_segment_fixed_size 16
		.amdhsa_kernarg_size 352
		.amdhsa_user_sgpr_count 2
		.amdhsa_user_sgpr_dispatch_ptr 0
		.amdhsa_user_sgpr_queue_ptr 0
		.amdhsa_user_sgpr_kernarg_segment_ptr 1
		.amdhsa_user_sgpr_dispatch_id 0
		.amdhsa_user_sgpr_private_segment_size 0
		.amdhsa_wavefront_size32 1
		.amdhsa_uses_dynamic_stack 0
		.amdhsa_enable_private_segment 1
		.amdhsa_system_sgpr_workgroup_id_x 1
		.amdhsa_system_sgpr_workgroup_id_y 0
		.amdhsa_system_sgpr_workgroup_id_z 0
		.amdhsa_system_sgpr_workgroup_info 0
		.amdhsa_system_vgpr_workitem_id 0
		.amdhsa_next_free_vgpr 38
		.amdhsa_next_free_sgpr 34
		.amdhsa_reserve_vcc 1
		.amdhsa_float_round_mode_32 0
		.amdhsa_float_round_mode_16_64 0
		.amdhsa_float_denorm_mode_32 3
		.amdhsa_float_denorm_mode_16_64 3
		.amdhsa_fp16_overflow 0
		.amdhsa_workgroup_processor_mode 1
		.amdhsa_memory_ordered 1
		.amdhsa_forward_progress 1
		.amdhsa_inst_pref_size 1
		.amdhsa_round_robin_scheduling 0
		.amdhsa_exception_fp_ieee_invalid_op 0
		.amdhsa_exception_fp_denorm_src 0
		.amdhsa_exception_fp_ieee_div_zero 0
		.amdhsa_exception_fp_ieee_overflow 0
		.amdhsa_exception_fp_ieee_underflow 0
		.amdhsa_exception_fp_ieee_inexact 0
		.amdhsa_exception_int_div_zero 0
	.end_amdhsa_kernel
	.section	.text._ZL9mul_mat_fIfLi32ELi4ELi8ELb0EEvPKT_PKfPKiPfiiiiiiiiiiiiiiii,"axG",@progbits,_ZL9mul_mat_fIfLi32ELi4ELi8ELb0EEvPKT_PKfPKiPfiiiiiiiiiiiiiiii,comdat
.Lfunc_end26:
	.size	_ZL9mul_mat_fIfLi32ELi4ELi8ELb0EEvPKT_PKfPKiPfiiiiiiiiiiiiiiii, .Lfunc_end26-_ZL9mul_mat_fIfLi32ELi4ELi8ELb0EEvPKT_PKfPKiPfiiiiiiiiiiiiiiii
                                        ; -- End function
	.set _ZL9mul_mat_fIfLi32ELi4ELi8ELb0EEvPKT_PKfPKiPfiiiiiiiiiiiiiiii.num_vgpr, max(3, .L_ZL14no_device_codePKciS0_iS0_.num_vgpr)
	.set _ZL9mul_mat_fIfLi32ELi4ELi8ELb0EEvPKT_PKfPKiPfiiiiiiiiiiiiiiii.num_agpr, max(0, .L_ZL14no_device_codePKciS0_iS0_.num_agpr)
	.set _ZL9mul_mat_fIfLi32ELi4ELi8ELb0EEvPKT_PKfPKiPfiiiiiiiiiiiiiiii.numbered_sgpr, max(33, .L_ZL14no_device_codePKciS0_iS0_.numbered_sgpr)
	.set _ZL9mul_mat_fIfLi32ELi4ELi8ELb0EEvPKT_PKfPKiPfiiiiiiiiiiiiiiii.num_named_barrier, max(0, .L_ZL14no_device_codePKciS0_iS0_.num_named_barrier)
	.set _ZL9mul_mat_fIfLi32ELi4ELi8ELb0EEvPKT_PKfPKiPfiiiiiiiiiiiiiiii.private_seg_size, 0+max(.L_ZL14no_device_codePKciS0_iS0_.private_seg_size)
	.set _ZL9mul_mat_fIfLi32ELi4ELi8ELb0EEvPKT_PKfPKiPfiiiiiiiiiiiiiiii.uses_vcc, or(1, .L_ZL14no_device_codePKciS0_iS0_.uses_vcc)
	.set _ZL9mul_mat_fIfLi32ELi4ELi8ELb0EEvPKT_PKfPKiPfiiiiiiiiiiiiiiii.uses_flat_scratch, or(0, .L_ZL14no_device_codePKciS0_iS0_.uses_flat_scratch)
	.set _ZL9mul_mat_fIfLi32ELi4ELi8ELb0EEvPKT_PKfPKiPfiiiiiiiiiiiiiiii.has_dyn_sized_stack, or(0, .L_ZL14no_device_codePKciS0_iS0_.has_dyn_sized_stack)
	.set _ZL9mul_mat_fIfLi32ELi4ELi8ELb0EEvPKT_PKfPKiPfiiiiiiiiiiiiiiii.has_recursion, or(0, .L_ZL14no_device_codePKciS0_iS0_.has_recursion)
	.set _ZL9mul_mat_fIfLi32ELi4ELi8ELb0EEvPKT_PKfPKiPfiiiiiiiiiiiiiiii.has_indirect_call, or(0, .L_ZL14no_device_codePKciS0_iS0_.has_indirect_call)
	.section	.AMDGPU.csdata,"",@progbits
; Kernel info:
; codeLenInByte = 76
; TotalNumSgprs: 36
; NumVgprs: 38
; ScratchSize: 16
; MemoryBound: 0
; FloatMode: 240
; IeeeMode: 1
; LDSByteSize: 0 bytes/workgroup (compile time only)
; SGPRBlocks: 0
; VGPRBlocks: 4
; NumSGPRsForWavesPerEU: 36
; NumVGPRsForWavesPerEU: 38
; Occupancy: 16
; WaveLimiterHint : 1
; COMPUTE_PGM_RSRC2:SCRATCH_EN: 1
; COMPUTE_PGM_RSRC2:USER_SGPR: 2
; COMPUTE_PGM_RSRC2:TRAP_HANDLER: 0
; COMPUTE_PGM_RSRC2:TGID_X_EN: 1
; COMPUTE_PGM_RSRC2:TGID_Y_EN: 0
; COMPUTE_PGM_RSRC2:TGID_Z_EN: 0
; COMPUTE_PGM_RSRC2:TIDIG_COMP_CNT: 0
	.section	.text._ZL13mul_mat_f_idsI7__half2Li32ELi4ELi1EEvPKT_PKfPKiS7_S7_Pfiiiiiiiiiiiiii15HIP_vector_typeIjLj3EESA_,"axG",@progbits,_ZL13mul_mat_f_idsI7__half2Li32ELi4ELi1EEvPKT_PKfPKiS7_S7_Pfiiiiiiiiiiiiii15HIP_vector_typeIjLj3EESA_,comdat
	.globl	_ZL13mul_mat_f_idsI7__half2Li32ELi4ELi1EEvPKT_PKfPKiS7_S7_Pfiiiiiiiiiiiiii15HIP_vector_typeIjLj3EESA_ ; -- Begin function _ZL13mul_mat_f_idsI7__half2Li32ELi4ELi1EEvPKT_PKfPKiS7_S7_Pfiiiiiiiiiiiiii15HIP_vector_typeIjLj3EESA_
	.p2align	8
	.type	_ZL13mul_mat_f_idsI7__half2Li32ELi4ELi1EEvPKT_PKfPKiS7_S7_Pfiiiiiiiiiiiiii15HIP_vector_typeIjLj3EESA_,@function
_ZL13mul_mat_f_idsI7__half2Li32ELi4ELi1EEvPKT_PKfPKiS7_S7_Pfiiiiiiiiiiiiii15HIP_vector_typeIjLj3EESA_: ; @_ZL13mul_mat_f_idsI7__half2Li32ELi4ELi1EEvPKT_PKfPKiS7_S7_Pfiiiiiiiiiiiiii15HIP_vector_typeIjLj3EESA_
; %bb.0:
	s_load_b64 s[4:5], s[0:1], 0x20
	s_and_b32 s2, ttmp7, 0xffff
	s_delay_alu instid0(SALU_CYCLE_1) | instskip(SKIP_4) | instid1(SALU_CYCLE_1)
	s_lshl_b32 s3, s2, 2
	s_wait_kmcnt 0x0
	s_load_b64 s[26:27], s[4:5], s3 offset:0x0
	s_wait_kmcnt 0x0
	s_sub_co_i32 s19, s27, s26
	s_add_co_i32 s3, s19, 3
	s_delay_alu instid0(SALU_CYCLE_1) | instskip(NEXT) | instid1(SALU_CYCLE_1)
	s_ashr_i32 s4, s3, 31
	s_lshr_b32 s4, s4, 30
	s_delay_alu instid0(SALU_CYCLE_1) | instskip(NEXT) | instid1(SALU_CYCLE_1)
	s_add_co_i32 s3, s3, s4
	s_ashr_i32 s4, s3, 2
	s_lshr_b32 s3, ttmp7, 16
	s_delay_alu instid0(SALU_CYCLE_1)
	s_cmp_ge_i32 s3, s4
	s_cbranch_scc1 .LBB27_31
; %bb.1:
	s_clause 0x3
	s_load_b128 s[4:7], s[0:1], 0x30
	s_load_b64 s[20:21], s[0:1], 0x40
	s_load_b128 s[8:11], s[0:1], 0x68
	s_load_b64 s[22:23], s[0:1], 0x78
	v_bfe_u32 v51, v0, 10, 10
	v_and_b32_e32 v52, 0x3ff, v0
	s_ashr_i32 s27, s26, 31
	s_mov_b32 s12, exec_lo
                                        ; implicit-def: $vgpr54
	s_delay_alu instid0(VALU_DEP_2) | instskip(NEXT) | instid1(VALU_DEP_2)
	v_lshlrev_b32_e32 v53, 5, v51
	v_and_b32_e32 v16, 15, v52
	s_delay_alu instid0(VALU_DEP_2) | instskip(SKIP_1) | instid1(VALU_DEP_1)
	v_or_b32_e32 v48, v53, v52
	s_wait_kmcnt 0x0
	v_cmpx_le_i32_e64 s4, v48
	s_xor_b32 s12, exec_lo, s12
; %bb.2:
	v_mul_u32_u24_e32 v54, 0x90, v16
                                        ; implicit-def: $vgpr48
                                        ; implicit-def: $vgpr16
; %bb.3:
	s_or_saveexec_b32 s37, s12
	s_clause 0x1
	s_load_b64 s[24:25], s[0:1], 0x28
	s_load_b96 s[16:18], s[0:1], 0x4c
	v_mov_b32_e32 v7, 0
	s_lshl_b32 s36, ttmp9, 5
	s_lshl_b32 s33, s3, 2
	s_delay_alu instid0(VALU_DEP_1)
	v_dual_mov_b32 v6, v7 :: v_dual_mov_b32 v5, v7
	v_dual_mov_b32 v4, v7 :: v_dual_mov_b32 v3, v7
	;; [unrolled: 1-line block ×7, first 2 shown]
	v_mov_b32_e32 v8, v7
	s_xor_b32 exec_lo, exec_lo, s37
	s_cbranch_execz .LBB27_19
; %bb.4:
	s_clause 0x1
	s_load_b128 s[12:15], s[0:1], 0x0
	s_load_b64 s[28:29], s[0:1], 0x10
	s_wait_kmcnt 0x0
	s_mul_i32 s30, s16, s2
	s_mul_i32 s34, s7, s36
	s_ashr_i32 s31, s30, 31
	s_ashr_i32 s35, s34, 31
	s_lshl_b64 s[38:39], s[26:27], 2
	s_lshl_b64 s[68:69], s[30:31], 2
	;; [unrolled: 1-line block ×3, first 2 shown]
	s_cmp_lt_i32 s33, s19
	v_mad_u32_u24 v0, 0x900, v51, 0
	v_dual_mov_b32 v8, 0 :: v_dual_lshlrev_b32 v1, 2, v52
	v_mul_u32_u24_e32 v54, 0x90, v16
	v_dual_mov_b32 v57, 0 :: v_dual_and_b32 v2, 0x3f0, v52
	s_cselect_b32 s16, -1, 0
	s_or_b32 s30, s33, 1
	s_lshl_b32 s2, s33, 2
	s_cmp_lt_i32 s30, s19
	s_add_nc_u64 s[30:31], s[12:13], s[68:69]
	s_add_nc_u64 s[34:35], s[28:29], s[38:39]
	;; [unrolled: 1-line block ×3, first 2 shown]
	s_cselect_b32 s38, -1, 0
	s_or_b32 s30, s33, 2
	v_dual_mov_b32 v10, v57 :: v_dual_add_nc_u32 v55, v0, v1
	v_add3_u32 v56, v0, v54, v2
	v_dual_mov_b32 v9, v57 :: v_dual_lshlrev_b32 v0, 7, v51
	s_mov_b32 s3, 0
	s_cmp_lt_i32 s30, s19
	s_add_nc_u64 s[30:31], s[34:35], s[2:3]
	s_cselect_b32 s39, -1, 0
	s_or_b32 s2, s33, 3
	s_add_nc_u64 s[68:69], s[68:69], s[70:71]
	s_cmp_lt_i32 s2, s19
	v_add_co_u32 v0, s2, s68, v0
	s_delay_alu instid0(VALU_DEP_1) | instskip(SKIP_1) | instid1(VALU_DEP_3)
	v_add_co_ci_u32_e64 v2, null, s69, 0, s2
	v_dual_mov_b32 v11, v57 :: v_dual_mov_b32 v12, v57
	v_add_co_u32 v0, vcc_lo, v0, v1
	s_delay_alu instid0(VALU_DEP_1) | instskip(SKIP_1) | instid1(VALU_DEP_3)
	v_add_co_ci_u32_e64 v1, null, 0, v2, vcc_lo
	v_dual_mov_b32 v13, v57 :: v_dual_mov_b32 v14, v57
	v_add_co_u32 v49, vcc_lo, s12, v0
	s_wait_alu 0xfffd
	s_delay_alu instid0(VALU_DEP_3)
	v_add_co_ci_u32_e64 v50, null, s13, v1, vcc_lo
	v_dual_mov_b32 v15, v57 :: v_dual_mov_b32 v0, 0
	v_dual_mov_b32 v1, v57 :: v_dual_mov_b32 v2, v57
	;; [unrolled: 1-line block ×4, first 2 shown]
	v_mov_b32_e32 v7, v57
	s_mov_b32 s34, s8
	s_cselect_b32 s8, -1, 0
	s_ashr_i32 s73, s7, 31
	s_mov_b32 s72, s7
	s_mov_b32 s35, s3
	s_add_co_i32 s40, s7, s7
	s_mul_i32 s41, s7, 3
	s_lshl_b32 s42, s7, 2
	s_mul_i32 s43, s7, 5
	s_mul_i32 s44, s7, 6
	;; [unrolled: 1-line block ×3, first 2 shown]
	s_lshl_b32 s46, s7, 3
	s_mul_i32 s47, s7, 9
	s_mul_i32 s48, s7, 10
	;; [unrolled: 1-line block ×7, first 2 shown]
	s_lshl_b32 s54, s7, 4
	s_mul_i32 s55, s7, 17
	s_mul_i32 s56, s7, 18
	;; [unrolled: 1-line block ×15, first 2 shown]
	s_lshl_b64 s[12:13], s[72:73], 2
	s_mov_b32 s69, 0
	s_branch .LBB27_6
.LBB27_5:                               ;   in Loop: Header=BB27_6 Depth=1
	v_perm_b32 v58, v58, v59, 0x5040100
	v_perm_b32 v59, v61, v62, 0x5040100
	;; [unrolled: 1-line block ×4, first 2 shown]
	v_add_nc_u32_e32 v62, 0x400, v55
	ds_store_2addr_b32 v55, v58, v59 offset1:36
	ds_store_2addr_b32 v55, v60, v61 offset0:72 offset1:108
	ds_store_2addr_b32 v55, v57, v57 offset0:144 offset1:180
	v_add_nc_u32_e32 v58, 0x600, v55
	ds_store_2addr_b32 v55, v57, v57 offset0:216 offset1:252
	ds_store_2addr_b32 v62, v57, v57 offset0:32 offset1:68
	;; [unrolled: 1-line block ×5, first 2 shown]
	ds_load_b128 v[58:61], v56
	ds_load_b128 v[62:65], v56 offset:32
	ds_load_b128 v[66:69], v56 offset:64
	;; [unrolled: 1-line block ×3, first 2 shown]
	v_add_nc_u32_e32 v48, 32, v48
	v_add_co_u32 v49, s2, 0x80, v49
	s_wait_alu 0xf1ff
	v_add_co_ci_u32_e64 v50, null, 0, v50, s2
	s_delay_alu instid0(VALU_DEP_3)
	v_cmp_le_i32_e32 vcc_lo, s4, v48
	s_or_b32 s69, vcc_lo, s69
	s_wait_dscnt 0x3
	v_wmma_f32_16x16x16_f16 v[8:15], v[32:35], v[58:61], v[8:15]
	v_wmma_f32_16x16x16_f16 v[0:7], v[44:47], v[58:61], v[0:7]
	s_wait_dscnt 0x2
	s_delay_alu instid0(VALU_DEP_2) | instskip(NEXT) | instid1(VALU_DEP_2)
	v_wmma_f32_16x16x16_f16 v[8:15], v[28:31], v[62:65], v[8:15]
	v_wmma_f32_16x16x16_f16 v[0:7], v[40:43], v[62:65], v[0:7]
	s_wait_dscnt 0x1
	s_delay_alu instid0(VALU_DEP_2) | instskip(NEXT) | instid1(VALU_DEP_2)
	;; [unrolled: 4-line block ×3, first 2 shown]
	v_wmma_f32_16x16x16_f16 v[8:15], v[16:19], v[70:73], v[8:15]
	v_wmma_f32_16x16x16_f16 v[0:7], v[20:23], v[70:73], v[0:7]
	s_wait_alu 0xfffe
	s_and_not1_b32 exec_lo, exec_lo, s69
	s_cbranch_execz .LBB27_18
.LBB27_6:                               ; =>This Inner Loop Header: Depth=1
	v_add_nc_u32_e32 v22, s42, v48
	v_add_nc_u32_e32 v16, s40, v48
	s_wait_alu 0xfffe
	v_add_co_u32 v20, vcc_lo, v49, s12
	v_add_nc_u32_e32 v18, s41, v48
	s_wait_alu 0xfffd
	v_add_co_ci_u32_e64 v21, null, s13, v50, vcc_lo
	v_ashrrev_i32_e32 v23, 31, v22
	v_ashrrev_i32_e32 v17, 31, v16
	v_add_nc_u32_e32 v24, s43, v48
	v_ashrrev_i32_e32 v19, 31, v18
	s_clause 0x1
	global_load_b32 v38, v[49:50], off
	global_load_b32 v39, v[20:21], off
	v_lshlrev_b64_e32 v[20:21], 2, v[22:23]
	v_add_nc_u32_e32 v22, s44, v48
	v_lshlrev_b64_e32 v[16:17], 2, v[16:17]
	v_add_nc_u32_e32 v26, s45, v48
	v_ashrrev_i32_e32 v25, 31, v24
	v_lshlrev_b64_e32 v[18:19], 2, v[18:19]
	v_add_nc_u32_e32 v28, s46, v48
	v_ashrrev_i32_e32 v23, 31, v22
	v_add_nc_u32_e32 v30, s47, v48
	v_ashrrev_i32_e32 v27, 31, v26
	v_add_co_u32 v16, vcc_lo, s28, v16
	v_lshlrev_b64_e32 v[24:25], 2, v[24:25]
	v_ashrrev_i32_e32 v29, 31, v28
	s_wait_alu 0xfffd
	v_add_co_ci_u32_e64 v17, null, s29, v17, vcc_lo
	v_add_co_u32 v18, vcc_lo, s28, v18
	v_lshlrev_b64_e32 v[22:23], 2, v[22:23]
	v_ashrrev_i32_e32 v31, 31, v30
	s_wait_alu 0xfffd
	v_add_co_ci_u32_e64 v19, null, s29, v19, vcc_lo
	v_add_co_u32 v20, vcc_lo, s28, v20
	v_lshlrev_b64_e32 v[26:27], 2, v[26:27]
	s_wait_alu 0xfffd
	v_add_co_ci_u32_e64 v21, null, s29, v21, vcc_lo
	v_add_co_u32 v24, vcc_lo, s28, v24
	v_lshlrev_b64_e32 v[28:29], 2, v[28:29]
	;; [unrolled: 4-line block ×3, first 2 shown]
	s_wait_alu 0xfffd
	v_add_co_ci_u32_e64 v23, null, s29, v23, vcc_lo
	v_add_co_u32 v26, vcc_lo, s28, v26
	v_add_nc_u32_e32 v32, s48, v48
	s_wait_alu 0xfffd
	v_add_co_ci_u32_e64 v27, null, s29, v27, vcc_lo
	v_add_co_u32 v28, vcc_lo, s28, v28
	v_add_nc_u32_e32 v34, s49, v48
	;; [unrolled: 4-line block ×3, first 2 shown]
	v_ashrrev_i32_e32 v33, 31, v32
	s_wait_alu 0xfffd
	v_add_co_ci_u32_e64 v31, null, s29, v31, vcc_lo
	s_clause 0x7
	global_load_b32 v40, v[16:17], off
	global_load_b32 v41, v[18:19], off
	;; [unrolled: 1-line block ×8, first 2 shown]
	v_add_nc_u32_e32 v18, s51, v48
	v_ashrrev_i32_e32 v35, 31, v34
	v_add_nc_u32_e32 v24, s52, v48
	v_ashrrev_i32_e32 v37, 31, v36
	v_lshlrev_b64_e32 v[32:33], 2, v[32:33]
	v_add_nc_u32_e32 v26, s53, v48
	v_ashrrev_i32_e32 v19, 31, v18
	v_lshlrev_b64_e32 v[16:17], 2, v[34:35]
	;; [unrolled: 3-line block ×3, first 2 shown]
	v_add_nc_u32_e32 v30, s55, v48
	v_ashrrev_i32_e32 v27, 31, v26
	v_add_co_u32 v20, vcc_lo, s28, v32
	v_lshlrev_b64_e32 v[18:19], 2, v[18:19]
	v_ashrrev_i32_e32 v29, 31, v28
	s_wait_alu 0xfffd
	v_add_co_ci_u32_e64 v21, null, s29, v33, vcc_lo
	v_add_co_u32 v16, vcc_lo, s28, v16
	v_lshlrev_b64_e32 v[24:25], 2, v[24:25]
	v_ashrrev_i32_e32 v31, 31, v30
	s_wait_alu 0xfffd
	v_add_co_ci_u32_e64 v17, null, s29, v17, vcc_lo
	v_add_co_u32 v22, vcc_lo, s28, v22
	v_lshlrev_b64_e32 v[26:27], 2, v[26:27]
	s_wait_alu 0xfffd
	v_add_co_ci_u32_e64 v23, null, s29, v23, vcc_lo
	v_add_co_u32 v18, vcc_lo, s28, v18
	v_lshlrev_b64_e32 v[28:29], 2, v[28:29]
	;; [unrolled: 4-line block ×3, first 2 shown]
	s_wait_alu 0xfffd
	v_add_co_ci_u32_e64 v25, null, s29, v25, vcc_lo
	v_add_co_u32 v26, vcc_lo, s28, v26
	v_add_nc_u32_e32 v32, s56, v48
	s_wait_alu 0xfffd
	v_add_co_ci_u32_e64 v27, null, s29, v27, vcc_lo
	v_add_co_u32 v28, vcc_lo, s28, v28
	v_add_nc_u32_e32 v34, s57, v48
	;; [unrolled: 4-line block ×3, first 2 shown]
	v_ashrrev_i32_e32 v33, 31, v32
	s_wait_alu 0xfffd
	v_add_co_ci_u32_e64 v31, null, s29, v31, vcc_lo
	s_clause 0x7
	global_load_b32 v58, v[20:21], off
	global_load_b32 v59, v[16:17], off
	;; [unrolled: 1-line block ×8, first 2 shown]
	v_add_nc_u32_e32 v18, s59, v48
	v_ashrrev_i32_e32 v35, 31, v34
	v_add_nc_u32_e32 v24, s60, v48
	v_ashrrev_i32_e32 v37, 31, v36
	v_lshlrev_b64_e32 v[32:33], 2, v[32:33]
	v_add_nc_u32_e32 v26, s61, v48
	v_ashrrev_i32_e32 v19, 31, v18
	v_lshlrev_b64_e32 v[16:17], 2, v[34:35]
	;; [unrolled: 3-line block ×3, first 2 shown]
	v_add_nc_u32_e32 v30, s63, v48
	v_ashrrev_i32_e32 v27, 31, v26
	v_add_co_u32 v20, vcc_lo, s28, v32
	v_lshlrev_b64_e32 v[18:19], 2, v[18:19]
	v_ashrrev_i32_e32 v29, 31, v28
	s_wait_alu 0xfffd
	v_add_co_ci_u32_e64 v21, null, s29, v33, vcc_lo
	v_add_co_u32 v16, vcc_lo, s28, v16
	v_lshlrev_b64_e32 v[24:25], 2, v[24:25]
	v_ashrrev_i32_e32 v31, 31, v30
	s_wait_alu 0xfffd
	v_add_co_ci_u32_e64 v17, null, s29, v17, vcc_lo
	v_add_co_u32 v22, vcc_lo, s28, v22
	v_lshlrev_b64_e32 v[26:27], 2, v[26:27]
	s_wait_alu 0xfffd
	v_add_co_ci_u32_e64 v23, null, s29, v23, vcc_lo
	v_add_co_u32 v18, vcc_lo, s28, v18
	v_lshlrev_b64_e32 v[28:29], 2, v[28:29]
	;; [unrolled: 4-line block ×3, first 2 shown]
	s_wait_alu 0xfffd
	v_add_co_ci_u32_e64 v25, null, s29, v25, vcc_lo
	v_add_co_u32 v26, vcc_lo, s28, v26
	v_add_nc_u32_e32 v32, s64, v48
	s_wait_alu 0xfffd
	v_add_co_ci_u32_e64 v27, null, s29, v27, vcc_lo
	v_add_co_u32 v28, vcc_lo, s28, v28
	v_add_nc_u32_e32 v34, s65, v48
	;; [unrolled: 4-line block ×3, first 2 shown]
	v_ashrrev_i32_e32 v33, 31, v32
	s_wait_alu 0xfffd
	v_add_co_ci_u32_e64 v31, null, s29, v31, vcc_lo
	s_clause 0x7
	global_load_b32 v66, v[20:21], off
	global_load_b32 v67, v[16:17], off
	;; [unrolled: 1-line block ×8, first 2 shown]
	v_add_nc_u32_e32 v18, s67, v48
	v_ashrrev_i32_e32 v35, 31, v34
	v_add_nc_u32_e32 v24, s68, v48
	v_ashrrev_i32_e32 v37, 31, v36
	v_lshlrev_b64_e32 v[32:33], 2, v[32:33]
	v_add_nc_u32_e32 v26, s7, v48
	v_ashrrev_i32_e32 v19, 31, v18
	v_lshlrev_b64_e32 v[16:17], 2, v[34:35]
	v_ashrrev_i32_e32 v25, 31, v24
	v_lshlrev_b64_e32 v[22:23], 2, v[36:37]
	v_ashrrev_i32_e32 v27, 31, v26
	v_add_co_u32 v20, vcc_lo, s28, v32
	v_lshlrev_b64_e32 v[18:19], 2, v[18:19]
	s_wait_alu 0xfffd
	v_add_co_ci_u32_e64 v21, null, s29, v33, vcc_lo
	v_add_co_u32 v16, vcc_lo, s28, v16
	v_lshlrev_b64_e32 v[24:25], 2, v[24:25]
	s_wait_alu 0xfffd
	v_add_co_ci_u32_e64 v17, null, s29, v17, vcc_lo
	;; [unrolled: 4-line block ×3, first 2 shown]
	v_add_co_u32 v18, vcc_lo, s28, v18
	s_wait_alu 0xfffd
	v_add_co_ci_u32_e64 v19, null, s29, v19, vcc_lo
	v_add_co_u32 v24, vcc_lo, s28, v24
	s_wait_alu 0xfffd
	v_add_co_ci_u32_e64 v25, null, s29, v25, vcc_lo
	v_add_co_u32 v26, vcc_lo, s28, v26
	s_wait_alu 0xfffd
	v_add_co_ci_u32_e64 v27, null, s29, v27, vcc_lo
	s_clause 0x5
	global_load_b32 v20, v[20:21], off
	global_load_b32 v21, v[16:17], off
	;; [unrolled: 1-line block ×6, first 2 shown]
	s_and_not1_b32 vcc_lo, exec_lo, s16
	s_wait_loadcnt 0x1f
	ds_store_b32 v55, v38
	s_wait_loadcnt 0x1e
	ds_store_b32 v55, v39 offset:144
	s_wait_loadcnt 0x1d
	ds_store_b32 v55, v40 offset:288
	s_wait_loadcnt 0x1c
	ds_store_b32 v55, v41 offset:432
	s_wait_loadcnt 0x1b
	ds_store_b32 v55, v42 offset:576
	s_wait_loadcnt 0x1a
	ds_store_b32 v55, v43 offset:720
	s_wait_loadcnt 0x19
	ds_store_b32 v55, v44 offset:864
	s_wait_loadcnt 0x18
	ds_store_b32 v55, v45 offset:1008
	s_wait_loadcnt 0x17
	ds_store_b32 v55, v46 offset:1152
	s_wait_loadcnt 0x16
	ds_store_b32 v55, v47 offset:1296
	s_wait_loadcnt 0x15
	ds_store_b32 v55, v58 offset:1440
	s_wait_loadcnt 0x14
	ds_store_b32 v55, v59 offset:1584
	s_wait_loadcnt 0x13
	ds_store_b32 v55, v60 offset:1728
	s_wait_loadcnt 0x12
	ds_store_b32 v55, v61 offset:1872
	s_wait_loadcnt 0x11
	ds_store_b32 v55, v62 offset:2016
	s_wait_loadcnt 0x10
	ds_store_b32 v55, v63 offset:2160
	ds_load_b128 v[32:35], v56
	ds_load_b128 v[28:31], v56 offset:32
	ds_load_b128 v[24:27], v56 offset:64
	;; [unrolled: 1-line block ×3, first 2 shown]
	s_wait_loadcnt 0xf
	ds_store_b32 v55, v64
	s_wait_loadcnt 0xe
	ds_store_b32 v55, v65 offset:144
	s_wait_loadcnt 0xd
	ds_store_b32 v55, v66 offset:288
	;; [unrolled: 2-line block ×15, first 2 shown]
	ds_load_b128 v[44:47], v56
	ds_load_b128 v[40:43], v56 offset:32
	ds_load_b128 v[36:39], v56 offset:64
	;; [unrolled: 1-line block ×3, first 2 shown]
	v_dual_mov_b32 v59, 0 :: v_dual_mov_b32 v58, 0
	s_wait_alu 0xfffe
	s_cbranch_vccnz .LBB27_9
; %bb.7:                                ;   in Loop: Header=BB27_6 Depth=1
	s_load_b32 s2, s[30:31], 0x0
	v_dual_mov_b32 v58, 0 :: v_dual_mov_b32 v59, 0
	s_wait_kmcnt 0x0
	s_mul_u64 s[70:71], s[2:3], s[34:35]
	s_wait_alu 0xfffe
	s_add_co_i32 s70, s2, s71
	s_wait_alu 0xfffe
	s_lshr_b32 s70, s70, s9
	s_wait_alu 0xfffe
	s_cmp_ge_i32 s70, s5
	s_cbranch_scc1 .LBB27_9
; %bb.8:                                ;   in Loop: Header=BB27_6 Depth=1
	v_mad_co_u64_u32 v[58:59], null, s70, s20, v[48:49]
	s_mul_i32 s70, s70, s10
	s_wait_alu 0xfffe
	s_sub_co_i32 s2, s2, s70
	s_wait_alu 0xfffe
	s_mul_i32 s2, s2, s17
	s_wait_alu 0xfffe
	v_lshl_add_u32 v58, v58, 1, s2
	s_delay_alu instid0(VALU_DEP_1) | instskip(NEXT) | instid1(VALU_DEP_1)
	v_ashrrev_i32_e32 v59, 31, v58
	v_lshlrev_b64_e32 v[58:59], 2, v[58:59]
	s_delay_alu instid0(VALU_DEP_1) | instskip(SKIP_1) | instid1(VALU_DEP_2)
	v_add_co_u32 v58, vcc_lo, s14, v58
	s_wait_alu 0xfffd
	v_add_co_ci_u32_e64 v59, null, s15, v59, vcc_lo
	global_load_b64 v[59:60], v[58:59], off
	s_wait_loadcnt 0x0
	v_cvt_f16_f32_e32 v59, v59
	v_cvt_f16_f32_e32 v58, v60
.LBB27_9:                               ;   in Loop: Header=BB27_6 Depth=1
	v_dual_mov_b32 v60, 0 :: v_dual_mov_b32 v61, 0
	v_mov_b32_e32 v62, 0
	s_and_not1_b32 vcc_lo, exec_lo, s38
	s_wait_alu 0xfffe
	s_cbranch_vccnz .LBB27_12
; %bb.10:                               ;   in Loop: Header=BB27_6 Depth=1
	s_load_b32 s2, s[30:31], 0x4
	v_dual_mov_b32 v61, 0 :: v_dual_mov_b32 v62, 0
	s_wait_kmcnt 0x0
	s_mul_u64 s[70:71], s[2:3], s[34:35]
	s_wait_alu 0xfffe
	s_add_co_i32 s70, s2, s71
	s_wait_alu 0xfffe
	s_lshr_b32 s70, s70, s9
	s_wait_alu 0xfffe
	s_cmp_ge_i32 s70, s5
	s_cbranch_scc1 .LBB27_12
; %bb.11:                               ;   in Loop: Header=BB27_6 Depth=1
	v_mad_co_u64_u32 v[61:62], null, s70, s20, v[48:49]
	s_mul_i32 s70, s70, s10
	s_wait_alu 0xfffe
	s_sub_co_i32 s2, s2, s70
	s_wait_alu 0xfffe
	s_mul_i32 s2, s2, s17
	s_wait_alu 0xfffe
	v_lshl_add_u32 v61, v61, 1, s2
	s_delay_alu instid0(VALU_DEP_1) | instskip(NEXT) | instid1(VALU_DEP_1)
	v_ashrrev_i32_e32 v62, 31, v61
	v_lshlrev_b64_e32 v[61:62], 2, v[61:62]
	s_delay_alu instid0(VALU_DEP_1) | instskip(SKIP_1) | instid1(VALU_DEP_2)
	v_add_co_u32 v61, vcc_lo, s14, v61
	s_wait_alu 0xfffd
	v_add_co_ci_u32_e64 v62, null, s15, v62, vcc_lo
	global_load_b64 v[62:63], v[61:62], off
	s_wait_loadcnt 0x0
	v_cvt_f16_f32_e32 v62, v62
	v_cvt_f16_f32_e32 v61, v63
.LBB27_12:                              ;   in Loop: Header=BB27_6 Depth=1
	v_mov_b32_e32 v63, 0
	s_and_not1_b32 vcc_lo, exec_lo, s39
	s_wait_alu 0xfffe
	s_cbranch_vccnz .LBB27_15
; %bb.13:                               ;   in Loop: Header=BB27_6 Depth=1
	s_load_b32 s2, s[30:31], 0x8
	v_dual_mov_b32 v63, 0 :: v_dual_mov_b32 v60, 0
	s_wait_kmcnt 0x0
	s_mul_u64 s[70:71], s[2:3], s[34:35]
	s_wait_alu 0xfffe
	s_add_co_i32 s70, s2, s71
	s_wait_alu 0xfffe
	s_lshr_b32 s70, s70, s9
	s_wait_alu 0xfffe
	s_cmp_ge_i32 s70, s5
	s_cbranch_scc1 .LBB27_15
; %bb.14:                               ;   in Loop: Header=BB27_6 Depth=1
	v_mad_co_u64_u32 v[63:64], null, s70, s20, v[48:49]
	s_mul_i32 s70, s70, s10
	s_wait_alu 0xfffe
	s_sub_co_i32 s2, s2, s70
	s_wait_alu 0xfffe
	s_mul_i32 s2, s2, s17
	s_wait_alu 0xfffe
	v_lshl_add_u32 v63, v63, 1, s2
	s_delay_alu instid0(VALU_DEP_1) | instskip(NEXT) | instid1(VALU_DEP_1)
	v_ashrrev_i32_e32 v64, 31, v63
	v_lshlrev_b64_e32 v[63:64], 2, v[63:64]
	s_delay_alu instid0(VALU_DEP_1) | instskip(SKIP_1) | instid1(VALU_DEP_2)
	v_add_co_u32 v63, vcc_lo, s14, v63
	s_wait_alu 0xfffd
	v_add_co_ci_u32_e64 v64, null, s15, v64, vcc_lo
	global_load_b64 v[63:64], v[63:64], off
	s_wait_loadcnt 0x0
	v_cvt_f16_f32_e32 v60, v63
	v_cvt_f16_f32_e32 v63, v64
.LBB27_15:                              ;   in Loop: Header=BB27_6 Depth=1
	v_dual_mov_b32 v64, 0 :: v_dual_mov_b32 v65, 0
	s_and_not1_b32 vcc_lo, exec_lo, s8
	s_wait_alu 0xfffe
	s_cbranch_vccnz .LBB27_5
; %bb.16:                               ;   in Loop: Header=BB27_6 Depth=1
	s_load_b32 s2, s[30:31], 0xc
	v_dual_mov_b32 v65, 0 :: v_dual_mov_b32 v64, 0
	s_wait_kmcnt 0x0
	s_mul_u64 s[70:71], s[2:3], s[34:35]
	s_wait_alu 0xfffe
	s_add_co_i32 s70, s2, s71
	s_wait_alu 0xfffe
	s_lshr_b32 s70, s70, s9
	s_wait_alu 0xfffe
	s_cmp_ge_i32 s70, s5
	s_cbranch_scc1 .LBB27_5
; %bb.17:                               ;   in Loop: Header=BB27_6 Depth=1
	v_mad_co_u64_u32 v[64:65], null, s70, s20, v[48:49]
	s_mul_i32 s70, s70, s10
	s_wait_alu 0xfffe
	s_sub_co_i32 s2, s2, s70
	s_wait_alu 0xfffe
	s_mul_i32 s2, s2, s17
	s_wait_alu 0xfffe
	v_lshl_add_u32 v64, v64, 1, s2
	s_delay_alu instid0(VALU_DEP_1) | instskip(NEXT) | instid1(VALU_DEP_1)
	v_ashrrev_i32_e32 v65, 31, v64
	v_lshlrev_b64_e32 v[64:65], 2, v[64:65]
	s_delay_alu instid0(VALU_DEP_1) | instskip(SKIP_1) | instid1(VALU_DEP_2)
	v_add_co_u32 v64, vcc_lo, s14, v64
	s_wait_alu 0xfffd
	v_add_co_ci_u32_e64 v65, null, s15, v65, vcc_lo
	global_load_b64 v[64:65], v[64:65], off
	s_wait_loadcnt 0x0
	v_cvt_f16_f32_e32 v64, v64
	v_cvt_f16_f32_e32 v65, v65
	s_branch .LBB27_5
.LBB27_18:
	s_or_b32 exec_lo, exec_lo, s69
.LBB27_19:
	s_delay_alu instid0(SALU_CYCLE_1)
	s_or_b32 exec_lo, exec_lo, s37
	s_load_b64 s[0:1], s[0:1], 0x18
	v_lshlrev_b32_e32 v16, 1, v52
	v_lshl_add_u32 v17, v53, 2, 0
	s_lshl_b64 s[8:9], s[26:27], 2
	s_cmp_gt_i32 s6, 0
	v_lshl_add_u32 v18, v52, 2, 0
	v_and_b32_e32 v19, 0x7e0, v16
	v_add_nc_u32_e32 v16, s33, v51
	s_mov_b32 s3, 0
	s_mov_b32 s2, s11
	s_delay_alu instid0(VALU_DEP_2) | instskip(NEXT) | instid1(VALU_DEP_2)
	v_add3_u32 v17, v17, v54, v19
	v_cmp_gt_i32_e32 vcc_lo, s19, v16
	ds_store_2addr_b32 v17, v8, v9 offset1:1
	ds_store_2addr_b32 v17, v10, v11 offset0:2 offset1:3
	ds_store_2addr_b32 v17, v12, v13 offset0:4 offset1:5
	;; [unrolled: 1-line block ×3, first 2 shown]
	v_add_nc_u32_e32 v8, s36, v52
	v_mul_u32_u24_e32 v9, 0x90, v51
	ds_store_2addr_b32 v17, v0, v1 offset0:16 offset1:17
	ds_store_2addr_b32 v17, v2, v3 offset0:18 offset1:19
	;; [unrolled: 1-line block ×4, first 2 shown]
	s_wait_kmcnt 0x0
	s_add_nc_u64 s[6:7], s[0:1], s[8:9]
	v_cmp_gt_u32_e64 s0, 4, v51
	s_cselect_b32 s1, -1, 0
	s_delay_alu instid0(SALU_CYCLE_1)
	s_and_b32 s4, s1, vcc_lo
	s_wait_alu 0xfffe
	s_and_b32 s4, s0, s4
	s_wait_alu 0xfffe
	s_and_saveexec_b32 s0, s4
	s_cbranch_execz .LBB27_22
; %bb.20:
	v_ashrrev_i32_e32 v17, 31, v16
	s_delay_alu instid0(VALU_DEP_1) | instskip(NEXT) | instid1(VALU_DEP_1)
	v_lshlrev_b64_e32 v[0:1], 2, v[16:17]
	v_add_co_u32 v0, vcc_lo, s6, v0
	s_wait_alu 0xfffd
	s_delay_alu instid0(VALU_DEP_2) | instskip(SKIP_3) | instid1(VALU_DEP_1)
	v_add_co_ci_u32_e64 v1, null, s7, v1, vcc_lo
	global_load_b32 v0, v[0:1], off
	s_wait_loadcnt 0x0
	v_mul_hi_u32 v1, v0, s2
	v_add_nc_u32_e32 v1, v0, v1
	s_delay_alu instid0(VALU_DEP_1) | instskip(NEXT) | instid1(VALU_DEP_1)
	v_lshrrev_b32_e32 v1, s22, v1
	v_cmp_gt_i32_e32 vcc_lo, s5, v1
	s_and_b32 exec_lo, exec_lo, vcc_lo
	s_cbranch_execz .LBB27_22
; %bb.21:
	v_mul_lo_u32 v2, v1, s23
	v_add_nc_u32_e32 v3, v18, v9
	s_delay_alu instid0(VALU_DEP_2) | instskip(SKIP_4) | instid1(VALU_DEP_1)
	v_sub_nc_u32_e32 v0, v0, v2
	ds_load_b32 v2, v3
	v_mul_lo_u32 v3, v1, s21
	v_mov_b32_e32 v1, 0
	v_mul_lo_u32 v0, v0, s18
	v_add3_u32 v0, v8, v3, v0
	s_delay_alu instid0(VALU_DEP_1) | instskip(SKIP_2) | instid1(VALU_DEP_2)
	v_lshlrev_b64_e32 v[0:1], 2, v[0:1]
	s_wait_dscnt 0x0
	v_add_f32_e32 v2, 0, v2
	v_add_co_u32 v0, vcc_lo, s24, v0
	s_wait_alu 0xfffd
	s_delay_alu instid0(VALU_DEP_3)
	v_add_co_ci_u32_e64 v1, null, s25, v1, vcc_lo
	global_store_b32 v[0:1], v2, off
.LBB27_22:
	s_or_b32 exec_lo, exec_lo, s0
	v_add_nc_u32_e32 v0, 1, v16
	v_cmp_gt_u32_e64 s0, 3, v51
	s_delay_alu instid0(VALU_DEP_2)
	v_cmp_gt_i32_e32 vcc_lo, s19, v0
	v_add_lshl_u32 v0, v51, s33, 2
	s_and_b32 s4, s1, vcc_lo
	s_wait_alu 0xfffe
	s_and_b32 s4, s0, s4
	s_wait_alu 0xfffe
	s_and_saveexec_b32 s0, s4
	s_cbranch_execz .LBB27_25
; %bb.23:
	global_load_b32 v1, v0, s[6:7] offset:4
	s_wait_loadcnt 0x0
	v_mul_hi_u32 v2, v1, s2
	s_delay_alu instid0(VALU_DEP_1) | instskip(NEXT) | instid1(VALU_DEP_1)
	v_add_nc_u32_e32 v2, v1, v2
	v_lshrrev_b32_e32 v2, s22, v2
	s_delay_alu instid0(VALU_DEP_1)
	v_cmp_gt_i32_e32 vcc_lo, s5, v2
	s_and_b32 exec_lo, exec_lo, vcc_lo
	s_cbranch_execz .LBB27_25
; %bb.24:
	v_mul_lo_u32 v3, v2, s23
	v_add_nc_u32_e32 v4, v9, v18
	s_delay_alu instid0(VALU_DEP_2) | instskip(SKIP_4) | instid1(VALU_DEP_1)
	v_sub_nc_u32_e32 v1, v1, v3
	ds_load_b32 v3, v4 offset:144
	v_mul_lo_u32 v4, v2, s21
	v_mov_b32_e32 v2, 0
	v_mul_lo_u32 v1, v1, s18
	v_add3_u32 v1, v8, v4, v1
	s_delay_alu instid0(VALU_DEP_1) | instskip(SKIP_2) | instid1(VALU_DEP_2)
	v_lshlrev_b64_e32 v[1:2], 2, v[1:2]
	s_wait_dscnt 0x0
	v_add_f32_e32 v3, 0, v3
	v_add_co_u32 v1, vcc_lo, s24, v1
	s_wait_alu 0xfffd
	s_delay_alu instid0(VALU_DEP_3)
	v_add_co_ci_u32_e64 v2, null, s25, v2, vcc_lo
	global_store_b32 v[1:2], v3, off
.LBB27_25:
	s_or_b32 exec_lo, exec_lo, s0
	v_add_nc_u32_e32 v1, 2, v16
	v_cmp_gt_u32_e64 s0, 2, v51
	s_delay_alu instid0(VALU_DEP_2)
	v_cmp_gt_i32_e32 vcc_lo, s19, v1
	s_and_b32 s4, s1, vcc_lo
	s_wait_alu 0xfffe
	s_and_b32 s4, s0, s4
	s_wait_alu 0xfffe
	s_and_saveexec_b32 s0, s4
	s_cbranch_execz .LBB27_28
; %bb.26:
	global_load_b32 v0, v0, s[6:7] offset:8
	s_wait_loadcnt 0x0
	v_mul_hi_u32 v1, v0, s2
	s_delay_alu instid0(VALU_DEP_1) | instskip(NEXT) | instid1(VALU_DEP_1)
	v_add_nc_u32_e32 v1, v0, v1
	v_lshrrev_b32_e32 v1, s22, v1
	s_delay_alu instid0(VALU_DEP_1)
	v_cmp_gt_i32_e32 vcc_lo, s5, v1
	s_and_b32 exec_lo, exec_lo, vcc_lo
	s_cbranch_execz .LBB27_28
; %bb.27:
	v_mul_lo_u32 v2, v1, s23
	v_add_nc_u32_e32 v3, v18, v9
	s_delay_alu instid0(VALU_DEP_2) | instskip(SKIP_4) | instid1(VALU_DEP_1)
	v_sub_nc_u32_e32 v0, v0, v2
	ds_load_b32 v2, v3 offset:288
	v_mul_lo_u32 v3, v1, s21
	v_mov_b32_e32 v1, 0
	v_mul_lo_u32 v0, v0, s18
	v_add3_u32 v0, v8, v3, v0
	s_delay_alu instid0(VALU_DEP_1) | instskip(SKIP_2) | instid1(VALU_DEP_2)
	v_lshlrev_b64_e32 v[0:1], 2, v[0:1]
	s_wait_dscnt 0x0
	v_add_f32_e32 v2, 0, v2
	v_add_co_u32 v0, vcc_lo, s24, v0
	s_wait_alu 0xfffd
	s_delay_alu instid0(VALU_DEP_3)
	v_add_co_ci_u32_e64 v1, null, s25, v1, vcc_lo
	global_store_b32 v[0:1], v2, off
.LBB27_28:
	s_or_b32 exec_lo, exec_lo, s0
	v_add_nc_u32_e32 v0, 3, v16
	v_cmp_eq_u32_e64 s0, 0, v51
	s_delay_alu instid0(VALU_DEP_2) | instskip(SKIP_4) | instid1(SALU_CYCLE_1)
	v_cmp_gt_i32_e32 vcc_lo, s19, v0
	s_and_b32 s4, s1, vcc_lo
	s_mov_b32 s1, 0
	s_wait_alu 0xfffe
	s_and_b32 s0, s0, s4
	s_and_saveexec_b32 s4, s0
	s_cbranch_execz .LBB27_31
; %bb.29:
	s_lshl_b32 s0, s33, 2
	s_load_b32 s0, s[6:7], s0 offset:0xc
	s_wait_kmcnt 0x0
	s_mul_u64 s[2:3], s[0:1], s[2:3]
	s_wait_alu 0xfffe
	s_add_co_i32 s1, s0, s3
	s_delay_alu instid0(SALU_CYCLE_1) | instskip(NEXT) | instid1(SALU_CYCLE_1)
	s_lshr_b32 s1, s1, s22
	s_cmp_ge_i32 s1, s5
	s_cbranch_scc1 .LBB27_31
; %bb.30:
	v_dual_mov_b32 v1, 0 :: v_dual_add_nc_u32 v0, v18, v9
	s_mul_i32 s2, s1, s23
	s_mul_i32 s1, s1, s21
	s_wait_alu 0xfffe
	s_sub_co_i32 s0, s0, s2
	ds_load_b32 v2, v0 offset:432
	s_mul_i32 s0, s0, s18
	s_delay_alu instid0(SALU_CYCLE_1) | instskip(NEXT) | instid1(VALU_DEP_1)
	v_add3_u32 v0, s0, s1, v8
	v_lshlrev_b64_e32 v[0:1], 2, v[0:1]
	s_delay_alu instid0(VALU_DEP_1) | instskip(SKIP_1) | instid1(VALU_DEP_2)
	v_add_co_u32 v0, vcc_lo, s24, v0
	s_wait_alu 0xfffd
	v_add_co_ci_u32_e64 v1, null, s25, v1, vcc_lo
	s_wait_dscnt 0x0
	v_add_f32_e32 v2, 0, v2
	global_store_b32 v[0:1], v2, off
.LBB27_31:
	s_endpgm
	.section	.rodata,"a",@progbits
	.p2align	6, 0x0
	.amdhsa_kernel _ZL13mul_mat_f_idsI7__half2Li32ELi4ELi1EEvPKT_PKfPKiS7_S7_Pfiiiiiiiiiiiiii15HIP_vector_typeIjLj3EESA_
		.amdhsa_group_segment_fixed_size 0
		.amdhsa_private_segment_fixed_size 0
		.amdhsa_kernarg_size 128
		.amdhsa_user_sgpr_count 2
		.amdhsa_user_sgpr_dispatch_ptr 0
		.amdhsa_user_sgpr_queue_ptr 0
		.amdhsa_user_sgpr_kernarg_segment_ptr 1
		.amdhsa_user_sgpr_dispatch_id 0
		.amdhsa_user_sgpr_private_segment_size 0
		.amdhsa_wavefront_size32 1
		.amdhsa_uses_dynamic_stack 0
		.amdhsa_enable_private_segment 0
		.amdhsa_system_sgpr_workgroup_id_x 1
		.amdhsa_system_sgpr_workgroup_id_y 1
		.amdhsa_system_sgpr_workgroup_id_z 1
		.amdhsa_system_sgpr_workgroup_info 0
		.amdhsa_system_vgpr_workitem_id 1
		.amdhsa_next_free_vgpr 74
		.amdhsa_next_free_sgpr 74
		.amdhsa_reserve_vcc 1
		.amdhsa_float_round_mode_32 0
		.amdhsa_float_round_mode_16_64 0
		.amdhsa_float_denorm_mode_32 3
		.amdhsa_float_denorm_mode_16_64 3
		.amdhsa_fp16_overflow 0
		.amdhsa_workgroup_processor_mode 1
		.amdhsa_memory_ordered 1
		.amdhsa_forward_progress 1
		.amdhsa_inst_pref_size 36
		.amdhsa_round_robin_scheduling 0
		.amdhsa_exception_fp_ieee_invalid_op 0
		.amdhsa_exception_fp_denorm_src 0
		.amdhsa_exception_fp_ieee_div_zero 0
		.amdhsa_exception_fp_ieee_overflow 0
		.amdhsa_exception_fp_ieee_underflow 0
		.amdhsa_exception_fp_ieee_inexact 0
		.amdhsa_exception_int_div_zero 0
	.end_amdhsa_kernel
	.section	.text._ZL13mul_mat_f_idsI7__half2Li32ELi4ELi1EEvPKT_PKfPKiS7_S7_Pfiiiiiiiiiiiiii15HIP_vector_typeIjLj3EESA_,"axG",@progbits,_ZL13mul_mat_f_idsI7__half2Li32ELi4ELi1EEvPKT_PKfPKiS7_S7_Pfiiiiiiiiiiiiii15HIP_vector_typeIjLj3EESA_,comdat
.Lfunc_end27:
	.size	_ZL13mul_mat_f_idsI7__half2Li32ELi4ELi1EEvPKT_PKfPKiS7_S7_Pfiiiiiiiiiiiiii15HIP_vector_typeIjLj3EESA_, .Lfunc_end27-_ZL13mul_mat_f_idsI7__half2Li32ELi4ELi1EEvPKT_PKfPKiS7_S7_Pfiiiiiiiiiiiiii15HIP_vector_typeIjLj3EESA_
                                        ; -- End function
	.set _ZL13mul_mat_f_idsI7__half2Li32ELi4ELi1EEvPKT_PKfPKiS7_S7_Pfiiiiiiiiiiiiii15HIP_vector_typeIjLj3EESA_.num_vgpr, 74
	.set _ZL13mul_mat_f_idsI7__half2Li32ELi4ELi1EEvPKT_PKfPKiS7_S7_Pfiiiiiiiiiiiiii15HIP_vector_typeIjLj3EESA_.num_agpr, 0
	.set _ZL13mul_mat_f_idsI7__half2Li32ELi4ELi1EEvPKT_PKfPKiS7_S7_Pfiiiiiiiiiiiiii15HIP_vector_typeIjLj3EESA_.numbered_sgpr, 74
	.set _ZL13mul_mat_f_idsI7__half2Li32ELi4ELi1EEvPKT_PKfPKiS7_S7_Pfiiiiiiiiiiiiii15HIP_vector_typeIjLj3EESA_.num_named_barrier, 0
	.set _ZL13mul_mat_f_idsI7__half2Li32ELi4ELi1EEvPKT_PKfPKiS7_S7_Pfiiiiiiiiiiiiii15HIP_vector_typeIjLj3EESA_.private_seg_size, 0
	.set _ZL13mul_mat_f_idsI7__half2Li32ELi4ELi1EEvPKT_PKfPKiS7_S7_Pfiiiiiiiiiiiiii15HIP_vector_typeIjLj3EESA_.uses_vcc, 1
	.set _ZL13mul_mat_f_idsI7__half2Li32ELi4ELi1EEvPKT_PKfPKiS7_S7_Pfiiiiiiiiiiiiii15HIP_vector_typeIjLj3EESA_.uses_flat_scratch, 0
	.set _ZL13mul_mat_f_idsI7__half2Li32ELi4ELi1EEvPKT_PKfPKiS7_S7_Pfiiiiiiiiiiiiii15HIP_vector_typeIjLj3EESA_.has_dyn_sized_stack, 0
	.set _ZL13mul_mat_f_idsI7__half2Li32ELi4ELi1EEvPKT_PKfPKiS7_S7_Pfiiiiiiiiiiiiii15HIP_vector_typeIjLj3EESA_.has_recursion, 0
	.set _ZL13mul_mat_f_idsI7__half2Li32ELi4ELi1EEvPKT_PKfPKiS7_S7_Pfiiiiiiiiiiiiii15HIP_vector_typeIjLj3EESA_.has_indirect_call, 0
	.section	.AMDGPU.csdata,"",@progbits
; Kernel info:
; codeLenInByte = 4600
; TotalNumSgprs: 76
; NumVgprs: 74
; ScratchSize: 0
; MemoryBound: 0
; FloatMode: 240
; IeeeMode: 1
; LDSByteSize: 0 bytes/workgroup (compile time only)
; SGPRBlocks: 0
; VGPRBlocks: 9
; NumSGPRsForWavesPerEU: 76
; NumVGPRsForWavesPerEU: 74
; Occupancy: 16
; WaveLimiterHint : 1
; COMPUTE_PGM_RSRC2:SCRATCH_EN: 0
; COMPUTE_PGM_RSRC2:USER_SGPR: 2
; COMPUTE_PGM_RSRC2:TRAP_HANDLER: 0
; COMPUTE_PGM_RSRC2:TGID_X_EN: 1
; COMPUTE_PGM_RSRC2:TGID_Y_EN: 1
; COMPUTE_PGM_RSRC2:TGID_Z_EN: 1
; COMPUTE_PGM_RSRC2:TIDIG_COMP_CNT: 1
	.section	.text._ZL9mul_mat_fI7__half2Li32ELi4ELi1ELb1EEvPKT_PKfPKiPfiiiiiiiiiiiiiiii,"axG",@progbits,_ZL9mul_mat_fI7__half2Li32ELi4ELi1ELb1EEvPKT_PKfPKiPfiiiiiiiiiiiiiiii,comdat
	.globl	_ZL9mul_mat_fI7__half2Li32ELi4ELi1ELb1EEvPKT_PKfPKiPfiiiiiiiiiiiiiiii ; -- Begin function _ZL9mul_mat_fI7__half2Li32ELi4ELi1ELb1EEvPKT_PKfPKiPfiiiiiiiiiiiiiiii
	.p2align	8
	.type	_ZL9mul_mat_fI7__half2Li32ELi4ELi1ELb1EEvPKT_PKfPKiPfiiiiiiiiiiiiiiii,@function
_ZL9mul_mat_fI7__half2Li32ELi4ELi1ELb1EEvPKT_PKfPKiPfiiiiiiiiiiiiiiii: ; @_ZL9mul_mat_fI7__half2Li32ELi4ELi1ELb1EEvPKT_PKfPKiPfiiiiiiiiiiiiiiii
; %bb.0:
	s_clause 0x1
	s_load_b256 s[8:15], s[0:1], 0x20
	s_load_b128 s[16:19], s[0:1], 0x44
	v_and_b32_e32 v48, 0x3ff, v0
	v_bfe_u32 v55, v0, 10, 10
	s_mov_b32 s35, 0
	s_delay_alu instid0(VALU_DEP_2) | instskip(NEXT) | instid1(VALU_DEP_2)
	v_cmp_eq_u32_e32 vcc_lo, 0, v48
	v_lshl_add_u32 v56, v55, 2, 0x100
	s_wait_kmcnt 0x0
	s_add_co_i32 s2, s9, 3
	s_delay_alu instid0(SALU_CYCLE_1) | instskip(NEXT) | instid1(SALU_CYCLE_1)
	s_ashr_i32 s3, s2, 31
	s_lshr_b32 s3, s3, 30
	s_delay_alu instid0(SALU_CYCLE_1) | instskip(NEXT) | instid1(SALU_CYCLE_1)
	s_add_co_i32 s2, s2, s3
	s_ashr_i32 s2, s2, 2
	s_delay_alu instid0(SALU_CYCLE_1) | instskip(SKIP_1) | instid1(SALU_CYCLE_2)
	s_cvt_f32_u32 s3, s2
	s_sub_co_i32 s5, 0, s2
	v_rcp_iflag_f32_e32 v1, s3
	s_load_b32 s3, s[0:1], 0x64
	s_delay_alu instid0(TRANS32_DEP_1) | instskip(SKIP_1) | instid1(SALU_CYCLE_3)
	v_readfirstlane_b32 s4, v1
	s_mul_f32 s4, s4, 0x4f7ffffe
	s_cvt_u32_f32 s4, s4
	s_delay_alu instid0(SALU_CYCLE_3) | instskip(NEXT) | instid1(SALU_CYCLE_1)
	s_mul_i32 s5, s5, s4
	s_mul_hi_u32 s5, s4, s5
	s_delay_alu instid0(SALU_CYCLE_1) | instskip(SKIP_2) | instid1(SALU_CYCLE_1)
	s_add_co_i32 s4, s4, s5
	s_wait_kmcnt 0x0
	s_mul_hi_u32 s4, s3, s4
	s_mul_i32 s5, s4, s2
	s_delay_alu instid0(SALU_CYCLE_1)
	s_sub_co_i32 s3, s3, s5
	s_add_co_i32 s5, s4, 1
	s_wait_alu 0xfffe
	s_sub_co_i32 s6, s3, s2
	s_cmp_ge_u32 s3, s2
	s_cselect_b32 s4, s5, s4
	s_cselect_b32 s3, s6, s3
	s_add_co_i32 s5, s4, 1
	s_wait_alu 0xfffe
	s_cmp_ge_u32 s3, s2
	s_cselect_b32 s6, s5, s4
	s_load_b64 s[4:5], s[0:1], 0x10
	s_cvt_f32_u32 s2, s6
	s_abs_i32 s33, s19
	s_sub_co_i32 s7, 0, s6
	s_cvt_f32_u32 s3, s33
	s_wait_alu 0xfffe
	v_rcp_iflag_f32_e32 v1, s2
	s_and_b32 s34, ttmp7, 0xffff
	s_delay_alu instid0(TRANS32_DEP_1) | instskip(SKIP_4) | instid1(SALU_CYCLE_2)
	v_readfirstlane_b32 s2, v1
	v_rcp_iflag_f32_e32 v1, s3
	s_mov_b32 s3, s35
	s_mul_f32 s2, s2, 0x4f7ffffe
	s_wait_alu 0xfffe
	s_cvt_u32_f32 s2, s2
	s_wait_alu 0xfffe
	s_delay_alu instid0(SALU_CYCLE_2) | instskip(NEXT) | instid1(SALU_CYCLE_1)
	s_mul_i32 s7, s7, s2
	s_mul_hi_u32 s7, s2, s7
	s_delay_alu instid0(SALU_CYCLE_1) | instskip(NEXT) | instid1(TRANS32_DEP_1)
	s_add_co_i32 s2, s2, s7
	v_readfirstlane_b32 s7, v1
	s_wait_alu 0xfffe
	s_mul_u64 s[2:3], s[34:35], s[2:3]
	s_and_saveexec_b32 s2, vcc_lo
; %bb.1:
	v_mov_b32_e32 v1, -1
	ds_store_b32 v56, v1
; %bb.2:
	s_wait_alu 0xfffe
	s_or_b32 exec_lo, exec_lo, s2
	s_mul_i32 s2, s3, s6
	s_add_co_i32 s20, s3, 1
	s_wait_alu 0xfffe
	s_sub_co_i32 s2, s34, s2
	v_mov_b32_e32 v3, 0
	s_wait_alu 0xfffe
	s_sub_co_i32 s21, s2, s6
	s_cmp_ge_u32 s2, s6
	s_cselect_b32 s3, s20, s3
	s_cselect_b32 s2, s21, s2
	s_wait_alu 0xfffe
	s_add_co_i32 s20, s3, 1
	s_cmp_ge_u32 s2, s6
	s_mov_b32 s2, s15
	s_cselect_b32 s22, s20, s3
	s_ashr_i32 s3, s15, 31
	s_lshl_b32 s28, s22, 2
	s_mul_i32 s22, s22, s6
	v_add_nc_u32_e32 v1, s28, v55
	s_ashr_i32 s29, s28, 31
	v_cmp_gt_i32_e64 s6, s10, v48
	s_wait_alu 0xfffe
	s_mul_u64 s[20:21], s[28:29], s[2:3]
	s_sub_co_i32 s38, s34, s22
	v_cmp_gt_i32_e64 s2, s9, v1
	s_lshl_b64 s[20:21], s[20:21], 2
	s_wait_kmcnt 0x0
	s_add_nc_u64 s[20:21], s[4:5], s[20:21]
	s_and_saveexec_b32 s5, s2
	s_cbranch_execz .LBB28_10
; %bb.3:
	v_mov_b32_e32 v3, 0
	s_and_saveexec_b32 s22, s6
	s_cbranch_execz .LBB28_9
; %bb.4:
	v_mul_lo_u32 v1, v55, s15
	v_dual_mov_b32 v3, 0 :: v_dual_mov_b32 v6, v48
	s_lshl_b32 s24, s14, 5
	s_mov_b32 s23, 0
	s_delay_alu instid0(VALU_DEP_2) | instskip(NEXT) | instid1(VALU_DEP_1)
	v_ashrrev_i32_e32 v2, 31, v1
	v_lshlrev_b64_e32 v[4:5], 2, v[1:2]
	v_mul_lo_u32 v1, v48, s14
	s_delay_alu instid0(VALU_DEP_2) | instskip(SKIP_1) | instid1(VALU_DEP_3)
	v_add_co_u32 v4, s3, s20, v4
	s_wait_alu 0xf1ff
	v_add_co_ci_u32_e64 v5, null, s21, v5, s3
	s_branch .LBB28_6
.LBB28_5:                               ;   in Loop: Header=BB28_6 Depth=1
	s_wait_alu 0xfffe
	s_or_b32 exec_lo, exec_lo, s25
	v_add_nc_u32_e32 v6, 32, v6
	s_xor_b32 s3, s3, -1
	v_add_nc_u32_e32 v1, s24, v1
	s_delay_alu instid0(VALU_DEP_2)
	v_cmp_le_i32_e64 s4, s10, v6
	s_wait_alu 0xfffe
	s_or_b32 s3, s3, s4
	s_wait_alu 0xfffe
	s_and_b32 s3, exec_lo, s3
	s_wait_alu 0xfffe
	s_or_b32 s23, s3, s23
	s_delay_alu instid0(SALU_CYCLE_1)
	s_and_not1_b32 exec_lo, exec_lo, s23
	s_cbranch_execz .LBB28_8
.LBB28_6:                               ; =>This Inner Loop Header: Depth=1
	s_delay_alu instid0(VALU_DEP_3) | instskip(SKIP_1) | instid1(VALU_DEP_1)
	v_ashrrev_i32_e32 v2, 31, v1
	s_mov_b32 s25, exec_lo
	v_lshlrev_b64_e32 v[7:8], 2, v[1:2]
	s_delay_alu instid0(VALU_DEP_1) | instskip(SKIP_1) | instid1(VALU_DEP_2)
	v_add_co_u32 v7, s3, v4, v7
	s_wait_alu 0xf1ff
	v_add_co_ci_u32_e64 v8, null, v5, v8, s3
	global_load_b32 v2, v[7:8], off
	s_wait_loadcnt 0x0
	v_cmp_ne_u32_e64 s3, s38, v2
	v_cmpx_eq_u32_e64 s38, v2
	s_cbranch_execz .LBB28_5
; %bb.7:                                ;   in Loop: Header=BB28_6 Depth=1
	v_mov_b32_e32 v3, 1
	ds_store_b32 v56, v6
	s_branch .LBB28_5
.LBB28_8:
	s_or_b32 exec_lo, exec_lo, s23
.LBB28_9:
	s_delay_alu instid0(SALU_CYCLE_1)
	s_or_b32 exec_lo, exec_lo, s22
.LBB28_10:
	s_delay_alu instid0(SALU_CYCLE_1)
	s_or_b32 exec_lo, exec_lo, s5
	s_and_saveexec_b32 s3, vcc_lo
; %bb.11:
	v_mov_b32_e32 v1, -1
	ds_store_b32 v56, v1 offset:4
; %bb.12:
	s_wait_alu 0xfffe
	s_or_b32 exec_lo, exec_lo, s3
	v_add_nc_u32_e32 v57, 1, v55
	s_mul_f32 s7, s7, 0x4f7ffffe
	s_delay_alu instid0(VALU_DEP_1) | instskip(NEXT) | instid1(VALU_DEP_1)
	v_add_nc_u32_e32 v1, s28, v57
	v_cmp_gt_i32_e64 s3, s9, v1
	s_and_saveexec_b32 s22, s3
	s_cbranch_execz .LBB28_20
; %bb.13:
	s_and_saveexec_b32 s23, s6
	s_cbranch_execz .LBB28_19
; %bb.14:
	v_mul_lo_u32 v1, v57, s15
	v_mov_b32_e32 v6, v48
	s_lshl_b32 s25, s14, 5
	s_mov_b32 s24, 0
	s_delay_alu instid0(VALU_DEP_2) | instskip(NEXT) | instid1(VALU_DEP_1)
	v_ashrrev_i32_e32 v2, 31, v1
	v_lshlrev_b64_e32 v[4:5], 2, v[1:2]
	v_mul_lo_u32 v1, v48, s14
	s_delay_alu instid0(VALU_DEP_2) | instskip(NEXT) | instid1(VALU_DEP_1)
	v_add_co_u32 v4, s4, s20, v4
	v_add_co_ci_u32_e64 v5, null, s21, v5, s4
	s_branch .LBB28_16
.LBB28_15:                              ;   in Loop: Header=BB28_16 Depth=1
	s_or_b32 exec_lo, exec_lo, s26
	v_add_nc_u32_e32 v6, 32, v6
	s_xor_b32 s4, s4, -1
	s_wait_alu 0xfffe
	v_add_nc_u32_e32 v1, s25, v1
	s_delay_alu instid0(VALU_DEP_2)
	v_cmp_le_i32_e64 s5, s10, v6
	s_or_b32 s4, s4, s5
	s_wait_alu 0xfffe
	s_and_b32 s4, exec_lo, s4
	s_wait_alu 0xfffe
	s_or_b32 s24, s4, s24
	s_wait_alu 0xfffe
	s_and_not1_b32 exec_lo, exec_lo, s24
	s_cbranch_execz .LBB28_18
.LBB28_16:                              ; =>This Inner Loop Header: Depth=1
	s_delay_alu instid0(VALU_DEP_3) | instskip(SKIP_1) | instid1(VALU_DEP_1)
	v_ashrrev_i32_e32 v2, 31, v1
	s_mov_b32 s26, exec_lo
	v_lshlrev_b64_e32 v[7:8], 2, v[1:2]
	s_delay_alu instid0(VALU_DEP_1) | instskip(SKIP_1) | instid1(VALU_DEP_2)
	v_add_co_u32 v7, s4, v4, v7
	s_wait_alu 0xf1ff
	v_add_co_ci_u32_e64 v8, null, v5, v8, s4
	global_load_b32 v2, v[7:8], off
	s_wait_loadcnt 0x0
	v_cmp_ne_u32_e64 s4, s38, v2
	v_cmpx_eq_u32_e64 s38, v2
	s_cbranch_execz .LBB28_15
; %bb.17:                               ;   in Loop: Header=BB28_16 Depth=1
	v_mov_b32_e32 v3, 1
	ds_store_b32 v56, v6 offset:4
	s_branch .LBB28_15
.LBB28_18:
	s_or_b32 exec_lo, exec_lo, s24
.LBB28_19:
	s_delay_alu instid0(SALU_CYCLE_1)
	s_or_b32 exec_lo, exec_lo, s23
.LBB28_20:
	s_delay_alu instid0(SALU_CYCLE_1)
	s_or_b32 exec_lo, exec_lo, s22
	s_cvt_u32_f32 s22, s7
	s_sub_co_i32 s23, 0, s33
	s_and_saveexec_b32 s4, vcc_lo
; %bb.21:
	v_mov_b32_e32 v1, -1
	ds_store_b32 v56, v1 offset:8
; %bb.22:
	s_wait_alu 0xfffe
	s_or_b32 exec_lo, exec_lo, s4
	v_add_nc_u32_e32 v58, 2, v55
	s_mul_i32 s23, s23, s22
	s_delay_alu instid0(VALU_DEP_1) | instskip(NEXT) | instid1(VALU_DEP_1)
	v_add_nc_u32_e32 v1, s28, v58
	v_cmp_gt_i32_e64 s4, s9, v1
	s_and_saveexec_b32 s24, s4
	s_cbranch_execz .LBB28_30
; %bb.23:
	s_and_saveexec_b32 s25, s6
	s_cbranch_execz .LBB28_29
; %bb.24:
	v_mul_lo_u32 v1, v58, s15
	v_mov_b32_e32 v6, v48
	s_lshl_b32 s27, s14, 5
	s_mov_b32 s26, 0
	s_delay_alu instid0(VALU_DEP_2) | instskip(NEXT) | instid1(VALU_DEP_1)
	v_ashrrev_i32_e32 v2, 31, v1
	v_lshlrev_b64_e32 v[4:5], 2, v[1:2]
	v_mul_lo_u32 v1, v48, s14
	s_delay_alu instid0(VALU_DEP_2) | instskip(SKIP_1) | instid1(VALU_DEP_3)
	v_add_co_u32 v4, s5, s20, v4
	s_wait_alu 0xf1ff
	v_add_co_ci_u32_e64 v5, null, s21, v5, s5
	s_branch .LBB28_26
.LBB28_25:                              ;   in Loop: Header=BB28_26 Depth=1
	s_or_b32 exec_lo, exec_lo, s30
	v_add_nc_u32_e32 v6, 32, v6
	s_xor_b32 s5, s5, -1
	v_add_nc_u32_e32 v1, s27, v1
	s_delay_alu instid0(VALU_DEP_2)
	v_cmp_le_i32_e64 s7, s10, v6
	s_wait_alu 0xfffe
	s_or_b32 s5, s5, s7
	s_wait_alu 0xfffe
	s_and_b32 s5, exec_lo, s5
	s_wait_alu 0xfffe
	s_or_b32 s26, s5, s26
	s_wait_alu 0xfffe
	s_and_not1_b32 exec_lo, exec_lo, s26
	s_cbranch_execz .LBB28_28
.LBB28_26:                              ; =>This Inner Loop Header: Depth=1
	s_delay_alu instid0(VALU_DEP_3) | instskip(SKIP_1) | instid1(VALU_DEP_1)
	v_ashrrev_i32_e32 v2, 31, v1
	s_mov_b32 s30, exec_lo
	v_lshlrev_b64_e32 v[7:8], 2, v[1:2]
	s_delay_alu instid0(VALU_DEP_1) | instskip(SKIP_1) | instid1(VALU_DEP_2)
	v_add_co_u32 v7, s5, v4, v7
	s_wait_alu 0xf1ff
	v_add_co_ci_u32_e64 v8, null, v5, v8, s5
	global_load_b32 v2, v[7:8], off
	s_wait_loadcnt 0x0
	v_cmp_ne_u32_e64 s5, s38, v2
	v_cmpx_eq_u32_e64 s38, v2
	s_cbranch_execz .LBB28_25
; %bb.27:                               ;   in Loop: Header=BB28_26 Depth=1
	v_mov_b32_e32 v3, 1
	ds_store_b32 v56, v6 offset:8
	s_branch .LBB28_25
.LBB28_28:
	s_or_b32 exec_lo, exec_lo, s26
.LBB28_29:
	s_wait_alu 0xfffe
	s_or_b32 exec_lo, exec_lo, s25
.LBB28_30:
	s_wait_alu 0xfffe
	s_or_b32 exec_lo, exec_lo, s24
	s_lshr_b32 s30, ttmp7, 16
	s_mul_hi_u32 s7, s22, s23
	s_and_saveexec_b32 s5, vcc_lo
; %bb.31:
	v_mov_b32_e32 v1, -1
	ds_store_b32 v56, v1 offset:12
; %bb.32:
	s_wait_alu 0xfffe
	s_or_b32 exec_lo, exec_lo, s5
	s_load_b96 s[24:26], s[0:1], 0x54
	v_add_nc_u32_e32 v59, 3, v55
	s_abs_i32 s34, s30
	s_add_co_i32 s36, s22, s7
	s_add_nc_u64 s[22:23], s[0:1], 0x60
	s_delay_alu instid0(VALU_DEP_1) | instskip(NEXT) | instid1(VALU_DEP_1)
	v_add_nc_u32_e32 v1, s28, v59
	v_cmp_gt_i32_e64 s5, s9, v1
	s_and_saveexec_b32 s7, s5
	s_cbranch_execz .LBB28_40
; %bb.33:
	s_and_saveexec_b32 s27, s6
	s_cbranch_execz .LBB28_39
; %bb.34:
	v_mul_lo_u32 v1, v59, s15
	v_mov_b32_e32 v6, v48
	s_lshl_b32 s15, s14, 5
	s_delay_alu instid0(VALU_DEP_2) | instskip(NEXT) | instid1(VALU_DEP_1)
	v_ashrrev_i32_e32 v2, 31, v1
	v_lshlrev_b64_e32 v[4:5], 2, v[1:2]
	v_mul_lo_u32 v1, v48, s14
	s_mov_b32 s14, 0
	s_delay_alu instid0(VALU_DEP_2) | instskip(NEXT) | instid1(VALU_DEP_1)
	v_add_co_u32 v4, vcc_lo, s20, v4
	v_add_co_ci_u32_e64 v5, null, s21, v5, vcc_lo
	s_branch .LBB28_36
.LBB28_35:                              ;   in Loop: Header=BB28_36 Depth=1
	s_wait_alu 0xfffe
	s_or_b32 exec_lo, exec_lo, s20
	v_add_nc_u32_e32 v6, 32, v6
	s_xor_b32 s20, vcc_lo, -1
	v_add_nc_u32_e32 v1, s15, v1
	s_delay_alu instid0(VALU_DEP_2) | instskip(SKIP_2) | instid1(SALU_CYCLE_1)
	v_cmp_le_i32_e64 s6, s10, v6
	s_wait_alu 0xfffe
	s_or_b32 s6, s20, s6
	s_and_b32 s6, exec_lo, s6
	s_delay_alu instid0(SALU_CYCLE_1)
	s_or_b32 s14, s6, s14
	s_wait_alu 0xfffe
	s_and_not1_b32 exec_lo, exec_lo, s14
	s_cbranch_execz .LBB28_38
.LBB28_36:                              ; =>This Inner Loop Header: Depth=1
	s_delay_alu instid0(VALU_DEP_3) | instskip(SKIP_1) | instid1(VALU_DEP_1)
	v_ashrrev_i32_e32 v2, 31, v1
	s_mov_b32 s20, exec_lo
	v_lshlrev_b64_e32 v[7:8], 2, v[1:2]
	s_delay_alu instid0(VALU_DEP_1) | instskip(SKIP_1) | instid1(VALU_DEP_2)
	v_add_co_u32 v7, vcc_lo, v4, v7
	s_wait_alu 0xfffd
	v_add_co_ci_u32_e64 v8, null, v5, v8, vcc_lo
	global_load_b32 v2, v[7:8], off
	s_wait_loadcnt 0x0
	v_cmp_ne_u32_e32 vcc_lo, s38, v2
	v_cmpx_eq_u32_e64 s38, v2
	s_cbranch_execz .LBB28_35
; %bb.37:                               ;   in Loop: Header=BB28_36 Depth=1
	v_mov_b32_e32 v3, 1
	ds_store_b32 v56, v6 offset:12
	s_branch .LBB28_35
.LBB28_38:
	s_or_b32 exec_lo, exec_lo, s14
.LBB28_39:
	s_wait_alu 0xfffe
	s_or_b32 exec_lo, exec_lo, s27
.LBB28_40:
	s_delay_alu instid0(SALU_CYCLE_1) | instskip(SKIP_3) | instid1(VALU_DEP_1)
	s_or_b32 exec_lo, exec_lo, s7
	v_or_b32_dpp v1, v3, v3 row_shl:1 row_mask:0xf bank_mask:0xf bound_ctrl:1
	s_load_b64 s[14:15], s[22:23], 0xc
	s_mov_b32 s37, s35
	v_or_b32_dpp v1, v1, v1 row_shl:2 row_mask:0xf bank_mask:0xf bound_ctrl:1
	s_delay_alu instid0(VALU_DEP_1) | instskip(NEXT) | instid1(VALU_DEP_1)
	v_or_b32_dpp v1, v1, v1 row_shl:4 row_mask:0xf bank_mask:0xf bound_ctrl:1
	v_or_b32_dpp v1, v1, v1 row_shl:8 row_mask:0xf bank_mask:0xf bound_ctrl:1
	s_delay_alu instid0(VALU_DEP_1)
	v_mov_b32_dpp v1, v1 row_share:0 row_mask:0xf bank_mask:0xf bound_ctrl:1
	s_wait_kmcnt 0x0
	s_lshr_b32 s7, s14, 16
	s_and_b32 s6, s14, 0xffff
	s_and_b32 s14, s15, 0xffff
	s_mul_i32 s10, s7, s6
	v_permlanex16_b32 v2, v1, 0, 0 op_sel:[0,1]
	s_wait_alu 0xfffe
	s_bfe_i32 s10, s10, 0x180000
	s_wait_alu 0xfffe
	s_mul_i32 s10, s10, s14
	s_wait_alu 0xfffe
	s_add_co_i32 s10, s10, 31
	v_or_b32_e32 v2, v2, v1
	s_wait_alu 0xfffe
	s_and_not1_b32 s10, s10, 31
	s_wait_alu 0xfffe
	s_cmp_lg_u32 s10, 32
	s_cbranch_scc0 .LBB28_49
; %bb.41:
	v_bfe_u32 v0, v0, 20, 10
	s_delay_alu instid0(VALU_DEP_1) | instskip(NEXT) | instid1(VALU_DEP_1)
	v_mad_u32_u24 v0, v0, s7, v55
	v_mad_co_u64_u32 v[0:1], null, v0, s6, v[48:49]
	v_mbcnt_lo_u32_b32 v1, -1, 0
	s_mov_b32 s6, exec_lo
	s_delay_alu instid0(VALU_DEP_2) | instskip(NEXT) | instid1(VALU_DEP_1)
	v_lshrrev_b32_e32 v3, 5, v0
	v_or_b32_e32 v3, v1, v3
	s_delay_alu instid0(VALU_DEP_1)
	v_cmpx_eq_u32_e32 0, v3
; %bb.42:
	v_mov_b32_e32 v3, 0
	ds_store_b32 v3, v2
; %bb.43:
	s_wait_alu 0xfffe
	s_or_b32 exec_lo, exec_lo, s6
	v_cmp_eq_u32_e32 vcc_lo, 0, v1
	v_cmp_lt_u32_e64 s6, 31, v0
	s_mov_b32 s7, 0
	s_wait_dscnt 0x0
	; wave barrier
	global_inv scope:SCOPE_SE
	s_and_b32 s10, s6, vcc_lo
	s_wait_alu 0xfffe
	s_and_saveexec_b32 s6, s10
	s_cbranch_execz .LBB28_48
; %bb.44:
	s_mov_b32 s10, exec_lo
.LBB28_45:                              ; =>This Inner Loop Header: Depth=1
	s_wait_alu 0xfffe
	s_ctz_i32_b32 s14, s10
	s_wait_alu 0xfffe
	v_readlane_b32 s15, v2, s14
	s_lshl_b32 s14, 1, s14
	s_wait_alu 0xfffe
	s_and_not1_b32 s10, s10, s14
	s_or_b32 s7, s7, s15
	s_wait_alu 0xfffe
	s_cmp_lg_u32 s10, 0
	s_cbranch_scc1 .LBB28_45
; %bb.46:
	v_mbcnt_lo_u32_b32 v0, exec_lo, 0
	s_mov_b32 s10, exec_lo
	s_delay_alu instid0(VALU_DEP_1)
	v_cmpx_eq_u32_e32 0, v0
	s_wait_alu 0xfffe
	s_xor_b32 s10, exec_lo, s10
; %bb.47:
	v_dual_mov_b32 v0, 0 :: v_dual_mov_b32 v1, s7
	ds_or_b32 v0, v1
.LBB28_48:
	s_wait_alu 0xfffe
	s_or_b32 exec_lo, exec_lo, s6
	v_mov_b32_e32 v0, 0
	; wave barrier
	s_wait_loadcnt_dscnt 0x0
	global_inv scope:SCOPE_SE
	ds_load_b32 v2, v0
	; wave barrier
	s_wait_loadcnt_dscnt 0x0
	global_inv scope:SCOPE_SE
.LBB28_49:
	s_clause 0x1
	s_load_b128 s[20:23], s[0:1], 0x0
	s_load_b64 s[6:7], s[0:1], 0x18
	s_mul_u64 s[0:1], s[34:35], s[36:37]
	s_ashr_i32 s0, s19, 31
	s_mov_b32 s31, 0
	s_mov_b32 s10, exec_lo
	v_cmpx_ne_u32_e32 0, v2
	s_cbranch_execz .LBB28_88
; %bb.50:
	v_lshlrev_b32_e32 v60, 5, v55
	v_and_b32_e32 v16, 15, v48
	s_mov_b32 s10, exec_lo
                                        ; implicit-def: $vgpr63
	s_delay_alu instid0(VALU_DEP_2) | instskip(NEXT) | instid1(VALU_DEP_1)
	v_add_nc_u32_e32 v62, v60, v48
	v_cmpx_le_i32_e64 s8, v62
	s_wait_alu 0xfffe
	s_xor_b32 s10, exec_lo, s10
; %bb.51:
	v_mul_u32_u24_e32 v63, 0x90, v16
                                        ; implicit-def: $vgpr62
                                        ; implicit-def: $vgpr16
; %bb.52:
	s_wait_alu 0xfffe
	s_or_saveexec_b32 s27, s10
	v_mov_b32_e32 v15, 0
	v_lshlrev_b32_e32 v61, 1, v48
	s_lshl_b32 s19, ttmp9, 5
	s_delay_alu instid0(VALU_DEP_2)
	v_dual_mov_b32 v14, v15 :: v_dual_mov_b32 v13, v15
	v_dual_mov_b32 v12, v15 :: v_dual_mov_b32 v11, v15
	;; [unrolled: 1-line block ×7, first 2 shown]
	v_mov_b32_e32 v0, v15
	s_wait_alu 0xfffe
	s_xor_b32 exec_lo, exec_lo, s27
	s_cbranch_execz .LBB28_72
; %bb.53:
	s_mul_i32 s10, s1, s33
	s_add_co_i32 s15, s1, 1
	s_wait_alu 0xfffe
	s_sub_co_i32 s10, s34, s10
	s_mov_b32 s14, s24
	s_wait_alu 0xfffe
	s_sub_co_i32 s35, s10, s33
	s_cmp_ge_u32 s10, s33
	s_mul_i32 s34, s38, s16
	s_cselect_b32 s1, s15, s1
	s_cselect_b32 s10, s35, s10
	s_add_co_i32 s15, s1, 1
	s_wait_alu 0xfffe
	s_cmp_ge_u32 s10, s33
	s_mul_i32 s36, s11, s19
	s_cselect_b32 s1, s15, s1
	s_ashr_i32 s15, s24, 31
	s_xor_b32 s1, s1, s0
	s_ashr_i32 s35, s34, 31
	s_sub_co_i32 s0, s1, s0
	s_mov_b32 s38, s25
	s_ashr_i32 s1, s0, 31
	s_mov_b32 s40, s12
	s_wait_alu 0xfffe
	s_mul_u64 s[0:1], s[0:1], s[14:15]
	s_ashr_i32 s37, s36, 31
	s_lshl_b64 s[66:67], s[0:1], 2
	s_ashr_i32 s39, s25, 31
	s_ashr_i32 s41, s12, 31
	s_lshl_b64 s[64:65], s[34:35], 2
	s_wait_kmcnt 0x0
	s_add_nc_u64 s[0:1], s[20:21], s[66:67]
	s_lshl_b64 s[68:69], s[36:37], 2
	s_mul_u64 s[24:25], s[40:41], s[28:29]
	s_add_nc_u64 s[0:1], s[0:1], s[64:65]
	s_wait_alu 0xfffe
	s_mul_u64 s[34:35], s[38:39], s[30:31]
	s_add_nc_u64 s[14:15], s[0:1], s[68:69]
	s_lshl_b64 s[24:25], s[24:25], 3
	s_lshl_b64 s[0:1], s[34:35], 2
	s_movk_i32 s10, 0x900
	s_cmp_lt_i32 s28, s9
	s_wait_alu 0xfffe
	v_mad_u32_u24 v0, v55, s10, 0x100
	s_add_nc_u64 s[22:23], s[22:23], s[0:1]
	s_cselect_b32 s1, -1, 0
	s_or_b32 s0, s28, 1
	v_mul_u32_u24_e32 v63, 0x90, v16
	v_dual_mov_b32 v66, 0 :: v_dual_and_b32 v1, 0x3f0, v48
	s_cmp_lt_i32 s0, s9
	s_add_nc_u64 s[66:67], s[66:67], s[68:69]
	s_cselect_b32 s16, -1, 0
	s_or_b32 s0, s28, 2
	v_lshl_add_u32 v64, v48, 2, v0
	v_add3_u32 v65, v0, v63, v1
	v_dual_mov_b32 v67, 0x100 :: v_dual_lshlrev_b32 v0, 2, v62
	s_cmp_lt_i32 s0, s9
	s_add_nc_u64 s[64:65], s[66:67], s[64:65]
	s_add_nc_u64 s[22:23], s[22:23], s[24:25]
	s_cselect_b32 s24, -1, 0
	s_or_b32 s0, s28, 3
	s_add_nc_u64 s[20:21], s[20:21], s[64:65]
	s_lshl_b32 s25, s12, 2
	s_cmp_lt_i32 s0, s9
	s_wait_alu 0xfffe
	v_add_co_u32 v50, s0, s20, v0
	v_lshl_add_u32 v49, v55, 6, v61
	v_add_co_ci_u32_e64 v51, null, s21, 0, s0
	v_dual_mov_b32 v0, 0 :: v_dual_mov_b32 v1, v66
	v_dual_mov_b32 v2, v66 :: v_dual_mov_b32 v3, v66
	;; [unrolled: 1-line block ×8, first 2 shown]
	s_cselect_b32 s9, -1, 0
	s_ashr_i32 s71, s11, 31
	s_mov_b32 s70, s11
	s_add_co_i32 s33, s11, s11
	s_mul_i32 s34, s11, 3
	s_lshl_b32 s35, s11, 2
	s_mul_i32 s36, s11, 5
	s_mul_i32 s37, s11, 6
	s_mul_i32 s38, s11, 7
	s_lshl_b32 s39, s11, 3
	s_mul_i32 s40, s11, 9
	s_mul_i32 s41, s11, 10
	;; [unrolled: 1-line block ×7, first 2 shown]
	s_lshl_b32 s47, s11, 4
	s_mul_i32 s48, s11, 17
	s_mul_i32 s49, s11, 18
	;; [unrolled: 1-line block ×15, first 2 shown]
	s_lshl_b64 s[10:11], s[70:71], 2
	s_mul_i32 s20, s12, 6
	s_lshl_b32 s21, s12, 1
	s_mov_b32 s12, 0
	s_branch .LBB28_56
.LBB28_54:                              ;   in Loop: Header=BB28_56 Depth=1
	v_mul_lo_u32 v52, v52, s17
	s_delay_alu instid0(VALU_DEP_1) | instskip(NEXT) | instid1(VALU_DEP_1)
	v_add3_u32 v52, v52, s20, v49
	v_ashrrev_i32_e32 v53, 31, v52
	s_delay_alu instid0(VALU_DEP_1) | instskip(NEXT) | instid1(VALU_DEP_1)
	v_lshlrev_b64_e32 v[52:53], 2, v[52:53]
	v_add_co_u32 v52, vcc_lo, s22, v52
	s_wait_alu 0xfffd
	s_delay_alu instid0(VALU_DEP_2)
	v_add_co_ci_u32_e64 v53, null, s23, v53, vcc_lo
	global_load_b64 v[52:53], v[52:53], off
.LBB28_55:                              ;   in Loop: Header=BB28_56 Depth=1
	s_wait_loadcnt 0x0
	s_delay_alu instid0(VALU_DEP_1) | instskip(NEXT) | instid1(VALU_DEP_2)
	v_cvt_f16_f32_e32 v52, v52
	v_cvt_f16_f32_e32 v53, v53
	v_add_nc_u32_e32 v54, 0x400, v64
	v_add_nc_u32_e32 v68, 0x600, v64
	ds_store_2addr_b32 v64, v66, v66 offset0:196 offset1:232
	v_add_nc_u32_e32 v62, 32, v62
	v_pack_b32_f16 v52, v52, v53
	ds_store_2addr_b32 v54, v66, v66 offset0:12 offset1:48
	ds_store_2addr_b32 v54, v66, v66 offset0:84 offset1:120
	;; [unrolled: 1-line block ×5, first 2 shown]
	ds_store_b32 v64, v66 offset:2224
	ds_load_b128 v[68:71], v65 offset:64
	ds_load_b128 v[72:75], v65 offset:96
	;; [unrolled: 1-line block ×4, first 2 shown]
	v_add_co_u32 v50, s0, 0x80, v50
	v_cmp_le_i32_e32 vcc_lo, s8, v62
	v_add_nc_u32_e32 v49, 64, v49
	s_wait_alu 0xf1ff
	v_add_co_ci_u32_e64 v51, null, 0, v51, s0
	s_or_b32 s12, vcc_lo, s12
	s_wait_dscnt 0x3
	v_wmma_f32_16x16x16_f16 v[8:15], v[32:35], v[68:71], v[8:15]
	v_wmma_f32_16x16x16_f16 v[0:7], v[44:47], v[68:71], v[0:7]
	s_wait_dscnt 0x2
	s_delay_alu instid0(VALU_DEP_2) | instskip(NEXT) | instid1(VALU_DEP_2)
	v_wmma_f32_16x16x16_f16 v[8:15], v[28:31], v[72:75], v[8:15]
	v_wmma_f32_16x16x16_f16 v[0:7], v[40:43], v[72:75], v[0:7]
	s_wait_dscnt 0x1
	s_delay_alu instid0(VALU_DEP_2) | instskip(NEXT) | instid1(VALU_DEP_2)
	v_wmma_f32_16x16x16_f16 v[8:15], v[24:27], v[76:79], v[8:15]
	v_wmma_f32_16x16x16_f16 v[0:7], v[36:39], v[76:79], v[0:7]
	s_wait_dscnt 0x0
	s_delay_alu instid0(VALU_DEP_2) | instskip(NEXT) | instid1(VALU_DEP_2)
	v_wmma_f32_16x16x16_f16 v[8:15], v[16:19], v[80:83], v[8:15]
	v_wmma_f32_16x16x16_f16 v[0:7], v[20:23], v[80:83], v[0:7]
	s_and_not1_b32 exec_lo, exec_lo, s12
	s_cbranch_execz .LBB28_71
.LBB28_56:                              ; =>This Inner Loop Header: Depth=1
	v_add_nc_u32_e32 v22, s35, v62
	v_add_nc_u32_e32 v16, s33, v62
	s_wait_alu 0xfffe
	v_add_co_u32 v20, vcc_lo, v50, s10
	v_add_nc_u32_e32 v18, s34, v62
	s_wait_alu 0xfffd
	v_add_co_ci_u32_e64 v21, null, s11, v51, vcc_lo
	v_ashrrev_i32_e32 v23, 31, v22
	v_ashrrev_i32_e32 v17, 31, v16
	v_add_nc_u32_e32 v24, s36, v62
	v_ashrrev_i32_e32 v19, 31, v18
	s_clause 0x1
	global_load_b32 v38, v[50:51], off
	global_load_b32 v39, v[20:21], off
	v_lshlrev_b64_e32 v[20:21], 2, v[22:23]
	v_add_nc_u32_e32 v22, s37, v62
	v_lshlrev_b64_e32 v[16:17], 2, v[16:17]
	v_add_nc_u32_e32 v26, s38, v62
	v_ashrrev_i32_e32 v25, 31, v24
	v_lshlrev_b64_e32 v[18:19], 2, v[18:19]
	v_add_nc_u32_e32 v28, s39, v62
	v_ashrrev_i32_e32 v23, 31, v22
	v_add_nc_u32_e32 v30, s40, v62
	v_ashrrev_i32_e32 v27, 31, v26
	v_add_co_u32 v16, vcc_lo, s14, v16
	v_lshlrev_b64_e32 v[24:25], 2, v[24:25]
	v_ashrrev_i32_e32 v29, 31, v28
	s_wait_alu 0xfffd
	v_add_co_ci_u32_e64 v17, null, s15, v17, vcc_lo
	v_add_co_u32 v18, vcc_lo, s14, v18
	v_lshlrev_b64_e32 v[22:23], 2, v[22:23]
	v_ashrrev_i32_e32 v31, 31, v30
	s_wait_alu 0xfffd
	v_add_co_ci_u32_e64 v19, null, s15, v19, vcc_lo
	v_add_co_u32 v20, vcc_lo, s14, v20
	v_lshlrev_b64_e32 v[26:27], 2, v[26:27]
	s_wait_alu 0xfffd
	v_add_co_ci_u32_e64 v21, null, s15, v21, vcc_lo
	v_add_co_u32 v24, vcc_lo, s14, v24
	v_lshlrev_b64_e32 v[28:29], 2, v[28:29]
	;; [unrolled: 4-line block ×3, first 2 shown]
	s_wait_alu 0xfffd
	v_add_co_ci_u32_e64 v23, null, s15, v23, vcc_lo
	v_add_co_u32 v26, vcc_lo, s14, v26
	v_add_nc_u32_e32 v32, s41, v62
	s_wait_alu 0xfffd
	v_add_co_ci_u32_e64 v27, null, s15, v27, vcc_lo
	v_add_co_u32 v28, vcc_lo, s14, v28
	v_add_nc_u32_e32 v34, s42, v62
	;; [unrolled: 4-line block ×3, first 2 shown]
	v_ashrrev_i32_e32 v33, 31, v32
	s_wait_alu 0xfffd
	v_add_co_ci_u32_e64 v31, null, s15, v31, vcc_lo
	s_clause 0x7
	global_load_b32 v40, v[16:17], off
	global_load_b32 v41, v[18:19], off
	;; [unrolled: 1-line block ×8, first 2 shown]
	v_add_nc_u32_e32 v18, s44, v62
	v_ashrrev_i32_e32 v35, 31, v34
	v_add_nc_u32_e32 v24, s45, v62
	v_ashrrev_i32_e32 v37, 31, v36
	v_lshlrev_b64_e32 v[32:33], 2, v[32:33]
	v_add_nc_u32_e32 v26, s46, v62
	v_ashrrev_i32_e32 v19, 31, v18
	v_lshlrev_b64_e32 v[16:17], 2, v[34:35]
	;; [unrolled: 3-line block ×3, first 2 shown]
	v_add_nc_u32_e32 v30, s48, v62
	v_ashrrev_i32_e32 v27, 31, v26
	v_add_co_u32 v20, vcc_lo, s14, v32
	v_lshlrev_b64_e32 v[18:19], 2, v[18:19]
	v_ashrrev_i32_e32 v29, 31, v28
	s_wait_alu 0xfffd
	v_add_co_ci_u32_e64 v21, null, s15, v33, vcc_lo
	v_add_co_u32 v16, vcc_lo, s14, v16
	v_lshlrev_b64_e32 v[24:25], 2, v[24:25]
	v_ashrrev_i32_e32 v31, 31, v30
	s_wait_alu 0xfffd
	v_add_co_ci_u32_e64 v17, null, s15, v17, vcc_lo
	v_add_co_u32 v22, vcc_lo, s14, v22
	v_lshlrev_b64_e32 v[26:27], 2, v[26:27]
	s_wait_alu 0xfffd
	v_add_co_ci_u32_e64 v23, null, s15, v23, vcc_lo
	v_add_co_u32 v18, vcc_lo, s14, v18
	v_lshlrev_b64_e32 v[28:29], 2, v[28:29]
	;; [unrolled: 4-line block ×3, first 2 shown]
	s_wait_alu 0xfffd
	v_add_co_ci_u32_e64 v25, null, s15, v25, vcc_lo
	v_add_co_u32 v26, vcc_lo, s14, v26
	v_add_nc_u32_e32 v32, s49, v62
	s_wait_alu 0xfffd
	v_add_co_ci_u32_e64 v27, null, s15, v27, vcc_lo
	v_add_co_u32 v28, vcc_lo, s14, v28
	v_add_nc_u32_e32 v34, s50, v62
	;; [unrolled: 4-line block ×3, first 2 shown]
	v_ashrrev_i32_e32 v33, 31, v32
	s_wait_alu 0xfffd
	v_add_co_ci_u32_e64 v31, null, s15, v31, vcc_lo
	s_clause 0x7
	global_load_b32 v52, v[20:21], off
	global_load_b32 v53, v[16:17], off
	;; [unrolled: 1-line block ×8, first 2 shown]
	v_add_nc_u32_e32 v18, s52, v62
	v_ashrrev_i32_e32 v35, 31, v34
	v_add_nc_u32_e32 v24, s53, v62
	v_ashrrev_i32_e32 v37, 31, v36
	v_lshlrev_b64_e32 v[32:33], 2, v[32:33]
	v_add_nc_u32_e32 v26, s54, v62
	v_ashrrev_i32_e32 v19, 31, v18
	v_lshlrev_b64_e32 v[16:17], 2, v[34:35]
	;; [unrolled: 3-line block ×3, first 2 shown]
	v_add_nc_u32_e32 v30, s56, v62
	v_ashrrev_i32_e32 v27, 31, v26
	v_add_co_u32 v20, vcc_lo, s14, v32
	v_lshlrev_b64_e32 v[18:19], 2, v[18:19]
	v_ashrrev_i32_e32 v29, 31, v28
	s_wait_alu 0xfffd
	v_add_co_ci_u32_e64 v21, null, s15, v33, vcc_lo
	v_add_co_u32 v16, vcc_lo, s14, v16
	v_lshlrev_b64_e32 v[24:25], 2, v[24:25]
	v_ashrrev_i32_e32 v31, 31, v30
	s_wait_alu 0xfffd
	v_add_co_ci_u32_e64 v17, null, s15, v17, vcc_lo
	v_add_co_u32 v22, vcc_lo, s14, v22
	v_lshlrev_b64_e32 v[26:27], 2, v[26:27]
	s_wait_alu 0xfffd
	v_add_co_ci_u32_e64 v23, null, s15, v23, vcc_lo
	v_add_co_u32 v18, vcc_lo, s14, v18
	v_lshlrev_b64_e32 v[28:29], 2, v[28:29]
	;; [unrolled: 4-line block ×3, first 2 shown]
	s_wait_alu 0xfffd
	v_add_co_ci_u32_e64 v25, null, s15, v25, vcc_lo
	v_add_co_u32 v26, vcc_lo, s14, v26
	v_add_nc_u32_e32 v32, s57, v62
	s_wait_alu 0xfffd
	v_add_co_ci_u32_e64 v27, null, s15, v27, vcc_lo
	v_add_co_u32 v28, vcc_lo, s14, v28
	v_add_nc_u32_e32 v34, s58, v62
	s_wait_alu 0xfffd
	v_add_co_ci_u32_e64 v29, null, s15, v29, vcc_lo
	v_add_co_u32 v30, vcc_lo, s14, v30
	v_add_nc_u32_e32 v36, s59, v62
	v_ashrrev_i32_e32 v33, 31, v32
	s_wait_alu 0xfffd
	v_add_co_ci_u32_e64 v31, null, s15, v31, vcc_lo
	s_clause 0x7
	global_load_b32 v73, v[20:21], off
	global_load_b32 v74, v[16:17], off
	;; [unrolled: 1-line block ×8, first 2 shown]
	v_add_nc_u32_e32 v18, s60, v62
	v_ashrrev_i32_e32 v35, 31, v34
	v_add_nc_u32_e32 v24, s61, v62
	v_ashrrev_i32_e32 v37, 31, v36
	v_lshlrev_b64_e32 v[32:33], 2, v[32:33]
	v_add_nc_u32_e32 v26, s62, v62
	v_ashrrev_i32_e32 v19, 31, v18
	v_lshlrev_b64_e32 v[16:17], 2, v[34:35]
	v_ashrrev_i32_e32 v25, 31, v24
	v_lshlrev_b64_e32 v[22:23], 2, v[36:37]
	v_ashrrev_i32_e32 v27, 31, v26
	v_add_co_u32 v20, vcc_lo, s14, v32
	v_lshlrev_b64_e32 v[18:19], 2, v[18:19]
	s_wait_alu 0xfffd
	v_add_co_ci_u32_e64 v21, null, s15, v33, vcc_lo
	v_add_co_u32 v16, vcc_lo, s14, v16
	v_lshlrev_b64_e32 v[24:25], 2, v[24:25]
	s_wait_alu 0xfffd
	v_add_co_ci_u32_e64 v17, null, s15, v17, vcc_lo
	;; [unrolled: 4-line block ×3, first 2 shown]
	v_add_co_u32 v18, vcc_lo, s14, v18
	s_wait_alu 0xfffd
	v_add_co_ci_u32_e64 v19, null, s15, v19, vcc_lo
	v_add_co_u32 v24, vcc_lo, s14, v24
	s_wait_alu 0xfffd
	v_add_co_ci_u32_e64 v25, null, s15, v25, vcc_lo
	;; [unrolled: 3-line block ×3, first 2 shown]
	s_clause 0x5
	global_load_b32 v20, v[20:21], off
	global_load_b32 v21, v[16:17], off
	;; [unrolled: 1-line block ×6, first 2 shown]
	s_and_not1_b32 vcc_lo, exec_lo, s1
	s_wait_loadcnt 0x1f
	ds_store_b32 v64, v38 offset:64
	s_wait_loadcnt 0x1e
	ds_store_b32 v64, v39 offset:208
	;; [unrolled: 2-line block ×16, first 2 shown]
	ds_load_b128 v[32:35], v65 offset:64
	ds_load_b128 v[28:31], v65 offset:96
	;; [unrolled: 1-line block ×4, first 2 shown]
	s_wait_loadcnt 0xf
	ds_store_b32 v64, v71 offset:64
	s_wait_loadcnt 0xe
	ds_store_b32 v64, v72 offset:208
	;; [unrolled: 2-line block ×16, first 2 shown]
	ds_load_b128 v[44:47], v65 offset:64
	ds_load_b128 v[40:43], v65 offset:96
	;; [unrolled: 1-line block ×4, first 2 shown]
	v_dual_mov_b32 v52, 0 :: v_dual_mov_b32 v53, 0
	s_wait_alu 0xfffe
	s_cbranch_vccnz .LBB28_60
; %bb.57:                               ;   in Loop: Header=BB28_56 Depth=1
	ds_load_b32 v52, v67
	s_wait_dscnt 0x0
	v_cmp_gt_i32_e32 vcc_lo, 0, v52
	s_cbranch_vccnz .LBB28_59
; %bb.58:                               ;   in Loop: Header=BB28_56 Depth=1
	v_mad_co_u64_u32 v[52:53], null, v52, s17, v[49:50]
	s_delay_alu instid0(VALU_DEP_1) | instskip(NEXT) | instid1(VALU_DEP_1)
	v_ashrrev_i32_e32 v53, 31, v52
	v_lshlrev_b64_e32 v[52:53], 2, v[52:53]
	s_delay_alu instid0(VALU_DEP_1) | instskip(SKIP_1) | instid1(VALU_DEP_2)
	v_add_co_u32 v52, vcc_lo, s22, v52
	s_wait_alu 0xfffd
	v_add_co_ci_u32_e64 v53, null, s23, v53, vcc_lo
	global_load_b64 v[52:53], v[52:53], off
	s_branch .LBB28_60
.LBB28_59:                              ;   in Loop: Header=BB28_56 Depth=1
	v_dual_mov_b32 v52, 0 :: v_dual_mov_b32 v53, 0
.LBB28_60:                              ;   in Loop: Header=BB28_56 Depth=1
	s_wait_loadcnt 0x0
	s_delay_alu instid0(VALU_DEP_1) | instskip(NEXT) | instid1(VALU_DEP_2)
	v_cvt_f16_f32_e32 v52, v52
	v_cvt_f16_f32_e32 v53, v53
	v_mov_b32_e32 v54, 0
	s_and_not1_b32 vcc_lo, exec_lo, s16
	s_delay_alu instid0(VALU_DEP_2)
	v_pack_b32_f16 v68, v52, v53
	v_dual_mov_b32 v52, 0 :: v_dual_mov_b32 v53, 0
	ds_store_b32 v64, v68 offset:64
	s_wait_alu 0xfffe
	s_cbranch_vccnz .LBB28_64
; %bb.61:                               ;   in Loop: Header=BB28_56 Depth=1
	ds_load_b32 v53, v67 offset:4
	s_wait_dscnt 0x0
	v_cmp_gt_i32_e32 vcc_lo, 0, v53
	s_cbranch_vccnz .LBB28_63
; %bb.62:                               ;   in Loop: Header=BB28_56 Depth=1
	v_mul_lo_u32 v53, v53, s17
	s_delay_alu instid0(VALU_DEP_1) | instskip(NEXT) | instid1(VALU_DEP_1)
	v_add3_u32 v53, v53, s21, v49
	v_ashrrev_i32_e32 v54, 31, v53
	s_delay_alu instid0(VALU_DEP_1) | instskip(NEXT) | instid1(VALU_DEP_1)
	v_lshlrev_b64_e32 v[53:54], 2, v[53:54]
	v_add_co_u32 v53, vcc_lo, s22, v53
	s_wait_alu 0xfffd
	s_delay_alu instid0(VALU_DEP_2)
	v_add_co_ci_u32_e64 v54, null, s23, v54, vcc_lo
	global_load_b64 v[53:54], v[53:54], off
	s_branch .LBB28_64
.LBB28_63:                              ;   in Loop: Header=BB28_56 Depth=1
	v_dual_mov_b32 v53, 0 :: v_dual_mov_b32 v54, 0
.LBB28_64:                              ;   in Loop: Header=BB28_56 Depth=1
	s_wait_loadcnt 0x0
	s_delay_alu instid0(VALU_DEP_1) | instskip(NEXT) | instid1(VALU_DEP_2)
	v_cvt_f16_f32_e32 v53, v53
	v_cvt_f16_f32_e32 v54, v54
	s_and_not1_b32 vcc_lo, exec_lo, s24
	s_delay_alu instid0(VALU_DEP_1)
	v_pack_b32_f16 v54, v53, v54
	v_mov_b32_e32 v53, 0
	ds_store_b32 v64, v54 offset:208
	s_wait_alu 0xfffe
	s_cbranch_vccnz .LBB28_68
; %bb.65:                               ;   in Loop: Header=BB28_56 Depth=1
	ds_load_b32 v52, v67 offset:8
	s_wait_dscnt 0x0
	v_cmp_gt_i32_e32 vcc_lo, 0, v52
	s_cbranch_vccnz .LBB28_67
; %bb.66:                               ;   in Loop: Header=BB28_56 Depth=1
	v_mul_lo_u32 v52, v52, s17
	s_delay_alu instid0(VALU_DEP_1) | instskip(NEXT) | instid1(VALU_DEP_1)
	v_add3_u32 v52, v52, s25, v49
	v_ashrrev_i32_e32 v53, 31, v52
	s_delay_alu instid0(VALU_DEP_1) | instskip(NEXT) | instid1(VALU_DEP_1)
	v_lshlrev_b64_e32 v[52:53], 2, v[52:53]
	v_add_co_u32 v52, vcc_lo, s22, v52
	s_wait_alu 0xfffd
	s_delay_alu instid0(VALU_DEP_2)
	v_add_co_ci_u32_e64 v53, null, s23, v53, vcc_lo
	global_load_b64 v[52:53], v[52:53], off
	s_branch .LBB28_68
.LBB28_67:                              ;   in Loop: Header=BB28_56 Depth=1
	v_dual_mov_b32 v52, 0 :: v_dual_mov_b32 v53, 0
.LBB28_68:                              ;   in Loop: Header=BB28_56 Depth=1
	s_wait_loadcnt 0x0
	s_delay_alu instid0(VALU_DEP_1) | instskip(NEXT) | instid1(VALU_DEP_2)
	v_cvt_f16_f32_e32 v52, v52
	v_cvt_f16_f32_e32 v53, v53
	s_and_not1_b32 vcc_lo, exec_lo, s9
	s_delay_alu instid0(VALU_DEP_1)
	v_pack_b32_f16 v54, v52, v53
	v_dual_mov_b32 v52, 0 :: v_dual_mov_b32 v53, 0
	ds_store_b32 v64, v54 offset:352
	s_wait_alu 0xfffe
	s_cbranch_vccnz .LBB28_55
; %bb.69:                               ;   in Loop: Header=BB28_56 Depth=1
	ds_load_b32 v52, v67 offset:12
	s_wait_dscnt 0x0
	v_cmp_gt_i32_e32 vcc_lo, 0, v52
	s_cbranch_vccz .LBB28_54
; %bb.70:                               ;   in Loop: Header=BB28_56 Depth=1
	v_dual_mov_b32 v52, 0 :: v_dual_mov_b32 v53, 0
	s_branch .LBB28_55
.LBB28_71:
	s_or_b32 exec_lo, exec_lo, s12
.LBB28_72:
	s_delay_alu instid0(SALU_CYCLE_1) | instskip(SKIP_4) | instid1(VALU_DEP_2)
	s_or_b32 exec_lo, exec_lo, s27
	v_lshl_add_u32 v17, v60, 2, 0x100
	v_and_b32_e32 v18, 0x7e0, v61
	v_lshl_add_u32 v16, v48, 2, 0x100
	s_mov_b32 s0, exec_lo
	v_add3_u32 v18, v17, v63, v18
	s_delay_alu instid0(VALU_DEP_2)
	v_mad_u32_u24 v19, 0x90, v55, v16
	ds_store_2addr_b32 v18, v8, v9 offset0:16 offset1:17
	ds_store_2addr_b32 v18, v10, v11 offset0:18 offset1:19
	;; [unrolled: 1-line block ×8, first 2 shown]
	ds_load_b32 v1, v19 offset:64
	v_mov_b32_e32 v2, -1
	v_cmpx_gt_u32_e32 4, v55
; %bb.73:
	v_mad_i32_i24 v0, 0xffffff84, v55, v17
	ds_load_b32 v2, v0
; %bb.74:
	s_wait_alu 0xfffe
	s_or_b32 exec_lo, exec_lo, s0
	s_ashr_i32 s1, s26, 31
	s_mov_b32 s0, s26
	s_ashr_i32 s9, s13, 31
	s_wait_alu 0xfffe
	s_mul_u64 s[0:1], s[0:1], s[30:31]
	s_mov_b32 s8, s13
	s_wait_dscnt 0x0
	v_cmp_lt_i32_e32 vcc_lo, -1, v2
	s_wait_alu 0xfffe
	s_mul_u64 s[8:9], s[28:29], s[8:9]
	s_lshl_b64 s[0:1], s[0:1], 2
	v_mul_u32_u24_e32 v3, 0x90, v55
	v_add_nc_u32_e32 v0, s19, v48
	s_wait_kmcnt 0x0
	s_wait_alu 0xfffe
	s_add_nc_u64 s[0:1], s[6:7], s[0:1]
	s_lshl_b64 s[6:7], s[8:9], 2
	s_wait_alu 0xfffe
	s_add_nc_u64 s[0:1], s[0:1], s[6:7]
	s_and_b32 s6, vcc_lo, s2
	s_wait_alu 0xfffe
	s_and_saveexec_b32 s2, s6
	s_cbranch_execz .LBB28_76
; %bb.75:
	v_mul_lo_u32 v2, v2, s18
	v_mul_lo_u32 v4, v55, s13
	v_dual_mov_b32 v5, 0 :: v_dual_add_f32 v6, 0, v1
	s_delay_alu instid0(VALU_DEP_2) | instskip(NEXT) | instid1(VALU_DEP_1)
	v_add3_u32 v4, v0, v4, v2
	v_lshlrev_b64_e32 v[4:5], 2, v[4:5]
	s_delay_alu instid0(VALU_DEP_1) | instskip(SKIP_1) | instid1(VALU_DEP_2)
	v_add_co_u32 v1, vcc_lo, s0, v4
	s_wait_alu 0xfffd
	v_add_co_ci_u32_e64 v2, null, s1, v5, vcc_lo
	global_store_b32 v[1:2], v6, off
.LBB28_76:
	s_wait_alu 0xfffe
	s_or_b32 exec_lo, exec_lo, s2
	v_add_nc_u32_e32 v1, v3, v16
	v_mov_b32_e32 v3, -1
	s_mov_b32 s2, exec_lo
	ds_load_b32 v2, v1 offset:208
	v_cmpx_gt_u32_e32 3, v55
; %bb.77:
	ds_load_b32 v3, v56 offset:4
; %bb.78:
	s_wait_alu 0xfffe
	s_or_b32 exec_lo, exec_lo, s2
	s_wait_dscnt 0x0
	v_cmp_lt_i32_e32 vcc_lo, -1, v3
	s_and_b32 s3, vcc_lo, s3
	s_wait_alu 0xfffe
	s_and_saveexec_b32 s2, s3
	s_cbranch_execz .LBB28_80
; %bb.79:
	v_mul_lo_u32 v3, v3, s18
	v_mul_lo_u32 v5, v57, s13
	v_mov_b32_e32 v4, 0
	s_delay_alu instid0(VALU_DEP_2) | instskip(SKIP_1) | instid1(VALU_DEP_2)
	v_add3_u32 v3, v0, v5, v3
	v_add_f32_e32 v5, 0, v2
	v_lshlrev_b64_e32 v[3:4], 2, v[3:4]
	s_delay_alu instid0(VALU_DEP_1) | instskip(SKIP_1) | instid1(VALU_DEP_2)
	v_add_co_u32 v2, vcc_lo, s0, v3
	s_wait_alu 0xfffd
	v_add_co_ci_u32_e64 v3, null, s1, v4, vcc_lo
	global_store_b32 v[2:3], v5, off
.LBB28_80:
	s_wait_alu 0xfffe
	s_or_b32 exec_lo, exec_lo, s2
	ds_load_b32 v2, v1 offset:352
	v_mov_b32_e32 v3, -1
	s_mov_b32 s2, exec_lo
	v_cmpx_gt_u32_e32 2, v55
; %bb.81:
	ds_load_b32 v3, v56 offset:8
; %bb.82:
	s_wait_alu 0xfffe
	s_or_b32 exec_lo, exec_lo, s2
	s_wait_dscnt 0x0
	v_cmp_lt_i32_e32 vcc_lo, -1, v3
	s_and_b32 s3, vcc_lo, s4
	s_wait_alu 0xfffe
	s_and_saveexec_b32 s2, s3
	s_cbranch_execz .LBB28_84
; %bb.83:
	v_mul_lo_u32 v3, v3, s18
	v_mul_lo_u32 v5, v58, s13
	v_mov_b32_e32 v4, 0
	s_delay_alu instid0(VALU_DEP_2) | instskip(SKIP_1) | instid1(VALU_DEP_2)
	v_add3_u32 v3, v0, v5, v3
	v_add_f32_e32 v5, 0, v2
	v_lshlrev_b64_e32 v[3:4], 2, v[3:4]
	s_delay_alu instid0(VALU_DEP_1) | instskip(SKIP_1) | instid1(VALU_DEP_2)
	v_add_co_u32 v2, vcc_lo, s0, v3
	s_wait_alu 0xfffd
	v_add_co_ci_u32_e64 v3, null, s1, v4, vcc_lo
	global_store_b32 v[2:3], v5, off
.LBB28_84:
	s_wait_alu 0xfffe
	s_or_b32 exec_lo, exec_lo, s2
	ds_load_b32 v1, v1 offset:496
	v_mov_b32_e32 v2, -1
	s_mov_b32 s2, exec_lo
	v_cmpx_eq_u32_e32 0, v55
; %bb.85:
	v_mov_b32_e32 v2, 0x100
	ds_load_b32 v2, v2 offset:12
; %bb.86:
	s_wait_alu 0xfffe
	s_or_b32 exec_lo, exec_lo, s2
	s_wait_dscnt 0x0
	v_cmp_lt_i32_e32 vcc_lo, -1, v2
	s_and_b32 s2, vcc_lo, s5
	s_wait_alu 0xfffe
	s_and_b32 exec_lo, exec_lo, s2
	s_cbranch_execz .LBB28_88
; %bb.87:
	v_mul_lo_u32 v2, v2, s18
	v_mul_lo_u32 v4, v59, s13
	v_mov_b32_e32 v3, 0
	s_delay_alu instid0(VALU_DEP_2) | instskip(SKIP_1) | instid1(VALU_DEP_2)
	v_add3_u32 v2, v0, v4, v2
	v_add_f32_e32 v4, 0, v1
	v_lshlrev_b64_e32 v[2:3], 2, v[2:3]
	s_delay_alu instid0(VALU_DEP_1) | instskip(SKIP_1) | instid1(VALU_DEP_2)
	v_add_co_u32 v0, vcc_lo, s0, v2
	s_wait_alu 0xfffd
	v_add_co_ci_u32_e64 v1, null, s1, v3, vcc_lo
	global_store_b32 v[0:1], v4, off
.LBB28_88:
	s_endpgm
	.section	.rodata,"a",@progbits
	.p2align	6, 0x0
	.amdhsa_kernel _ZL9mul_mat_fI7__half2Li32ELi4ELi1ELb1EEvPKT_PKfPKiPfiiiiiiiiiiiiiiii
		.amdhsa_group_segment_fixed_size 256
		.amdhsa_private_segment_fixed_size 0
		.amdhsa_kernarg_size 352
		.amdhsa_user_sgpr_count 2
		.amdhsa_user_sgpr_dispatch_ptr 0
		.amdhsa_user_sgpr_queue_ptr 0
		.amdhsa_user_sgpr_kernarg_segment_ptr 1
		.amdhsa_user_sgpr_dispatch_id 0
		.amdhsa_user_sgpr_private_segment_size 0
		.amdhsa_wavefront_size32 1
		.amdhsa_uses_dynamic_stack 0
		.amdhsa_enable_private_segment 0
		.amdhsa_system_sgpr_workgroup_id_x 1
		.amdhsa_system_sgpr_workgroup_id_y 1
		.amdhsa_system_sgpr_workgroup_id_z 1
		.amdhsa_system_sgpr_workgroup_info 0
		.amdhsa_system_vgpr_workitem_id 2
		.amdhsa_next_free_vgpr 84
		.amdhsa_next_free_sgpr 72
		.amdhsa_reserve_vcc 1
		.amdhsa_float_round_mode_32 0
		.amdhsa_float_round_mode_16_64 0
		.amdhsa_float_denorm_mode_32 3
		.amdhsa_float_denorm_mode_16_64 3
		.amdhsa_fp16_overflow 0
		.amdhsa_workgroup_processor_mode 1
		.amdhsa_memory_ordered 1
		.amdhsa_forward_progress 1
		.amdhsa_inst_pref_size 50
		.amdhsa_round_robin_scheduling 0
		.amdhsa_exception_fp_ieee_invalid_op 0
		.amdhsa_exception_fp_denorm_src 0
		.amdhsa_exception_fp_ieee_div_zero 0
		.amdhsa_exception_fp_ieee_overflow 0
		.amdhsa_exception_fp_ieee_underflow 0
		.amdhsa_exception_fp_ieee_inexact 0
		.amdhsa_exception_int_div_zero 0
	.end_amdhsa_kernel
	.section	.text._ZL9mul_mat_fI7__half2Li32ELi4ELi1ELb1EEvPKT_PKfPKiPfiiiiiiiiiiiiiiii,"axG",@progbits,_ZL9mul_mat_fI7__half2Li32ELi4ELi1ELb1EEvPKT_PKfPKiPfiiiiiiiiiiiiiiii,comdat
.Lfunc_end28:
	.size	_ZL9mul_mat_fI7__half2Li32ELi4ELi1ELb1EEvPKT_PKfPKiPfiiiiiiiiiiiiiiii, .Lfunc_end28-_ZL9mul_mat_fI7__half2Li32ELi4ELi1ELb1EEvPKT_PKfPKiPfiiiiiiiiiiiiiiii
                                        ; -- End function
	.set _ZL9mul_mat_fI7__half2Li32ELi4ELi1ELb1EEvPKT_PKfPKiPfiiiiiiiiiiiiiiii.num_vgpr, 84
	.set _ZL9mul_mat_fI7__half2Li32ELi4ELi1ELb1EEvPKT_PKfPKiPfiiiiiiiiiiiiiiii.num_agpr, 0
	.set _ZL9mul_mat_fI7__half2Li32ELi4ELi1ELb1EEvPKT_PKfPKiPfiiiiiiiiiiiiiiii.numbered_sgpr, 72
	.set _ZL9mul_mat_fI7__half2Li32ELi4ELi1ELb1EEvPKT_PKfPKiPfiiiiiiiiiiiiiiii.num_named_barrier, 0
	.set _ZL9mul_mat_fI7__half2Li32ELi4ELi1ELb1EEvPKT_PKfPKiPfiiiiiiiiiiiiiiii.private_seg_size, 0
	.set _ZL9mul_mat_fI7__half2Li32ELi4ELi1ELb1EEvPKT_PKfPKiPfiiiiiiiiiiiiiiii.uses_vcc, 1
	.set _ZL9mul_mat_fI7__half2Li32ELi4ELi1ELb1EEvPKT_PKfPKiPfiiiiiiiiiiiiiiii.uses_flat_scratch, 0
	.set _ZL9mul_mat_fI7__half2Li32ELi4ELi1ELb1EEvPKT_PKfPKiPfiiiiiiiiiiiiiiii.has_dyn_sized_stack, 0
	.set _ZL9mul_mat_fI7__half2Li32ELi4ELi1ELb1EEvPKT_PKfPKiPfiiiiiiiiiiiiiiii.has_recursion, 0
	.set _ZL9mul_mat_fI7__half2Li32ELi4ELi1ELb1EEvPKT_PKfPKiPfiiiiiiiiiiiiiiii.has_indirect_call, 0
	.section	.AMDGPU.csdata,"",@progbits
; Kernel info:
; codeLenInByte = 6316
; TotalNumSgprs: 74
; NumVgprs: 84
; ScratchSize: 0
; MemoryBound: 0
; FloatMode: 240
; IeeeMode: 1
; LDSByteSize: 256 bytes/workgroup (compile time only)
; SGPRBlocks: 0
; VGPRBlocks: 10
; NumSGPRsForWavesPerEU: 74
; NumVGPRsForWavesPerEU: 84
; Occupancy: 16
; WaveLimiterHint : 0
; COMPUTE_PGM_RSRC2:SCRATCH_EN: 0
; COMPUTE_PGM_RSRC2:USER_SGPR: 2
; COMPUTE_PGM_RSRC2:TRAP_HANDLER: 0
; COMPUTE_PGM_RSRC2:TGID_X_EN: 1
; COMPUTE_PGM_RSRC2:TGID_Y_EN: 1
; COMPUTE_PGM_RSRC2:TGID_Z_EN: 1
; COMPUTE_PGM_RSRC2:TIDIG_COMP_CNT: 2
	.section	.text._ZL9mul_mat_fI7__half2Li32ELi4ELi1ELb0EEvPKT_PKfPKiPfiiiiiiiiiiiiiiii,"axG",@progbits,_ZL9mul_mat_fI7__half2Li32ELi4ELi1ELb0EEvPKT_PKfPKiPfiiiiiiiiiiiiiiii,comdat
	.globl	_ZL9mul_mat_fI7__half2Li32ELi4ELi1ELb0EEvPKT_PKfPKiPfiiiiiiiiiiiiiiii ; -- Begin function _ZL9mul_mat_fI7__half2Li32ELi4ELi1ELb0EEvPKT_PKfPKiPfiiiiiiiiiiiiiiii
	.p2align	8
	.type	_ZL9mul_mat_fI7__half2Li32ELi4ELi1ELb0EEvPKT_PKfPKiPfiiiiiiiiiiiiiiii,@function
_ZL9mul_mat_fI7__half2Li32ELi4ELi1ELb0EEvPKT_PKfPKiPfiiiiiiiiiiiiiiii: ; @_ZL9mul_mat_fI7__half2Li32ELi4ELi1ELb0EEvPKT_PKfPKiPfiiiiiiiiiiiiiiii
; %bb.0:
	s_clause 0x1
	s_load_b256 s[4:11], s[0:1], 0x40
	s_load_b32 s21, s[0:1], 0x20
	v_bfe_u32 v37, v0, 10, 10
	v_and_b32_e32 v36, 0x3ff, v0
	s_mov_b32 s15, exec_lo
                                        ; implicit-def: $vgpr41
	s_delay_alu instid0(VALU_DEP_2) | instskip(NEXT) | instid1(VALU_DEP_2)
	v_lshlrev_b32_e32 v38, 5, v37
	v_and_b32_e32 v16, 15, v36
	s_delay_alu instid0(VALU_DEP_2)
	v_or_b32_e32 v40, v38, v36
	s_wait_kmcnt 0x0
	s_abs_i32 s12, s4
	s_abs_i32 s23, s8
	s_cvt_f32_u32 s2, s12
	s_cvt_f32_u32 s3, s23
	s_delay_alu instid0(SALU_CYCLE_2) | instskip(NEXT) | instid1(SALU_CYCLE_2)
	v_rcp_iflag_f32_e32 v0, s2
	v_rcp_iflag_f32_e32 v1, s3
	s_mov_b32 s3, 0
	s_lshr_b32 s2, ttmp7, 16
	s_delay_alu instid0(TRANS32_DEP_2) | instskip(NEXT) | instid1(TRANS32_DEP_1)
	v_readfirstlane_b32 s13, v0
	v_readfirstlane_b32 s14, v1
	v_cmpx_le_i32_e64 s21, v40
	s_xor_b32 s15, exec_lo, s15
; %bb.1:
	v_mul_u32_u24_e32 v41, 0x90, v16
                                        ; implicit-def: $vgpr40
                                        ; implicit-def: $vgpr16
; %bb.2:
	s_or_saveexec_b32 s22, s15
	s_load_b96 s[16:18], s[0:1], 0x2c
	v_mov_b32_e32 v15, 0
	v_lshlrev_b32_e32 v39, 2, v36
	s_and_b32 s19, ttmp7, 0xffff
	s_lshl_b32 s20, ttmp9, 5
	s_delay_alu instid0(VALU_DEP_2)
	v_dual_mov_b32 v14, v15 :: v_dual_mov_b32 v13, v15
	v_dual_mov_b32 v12, v15 :: v_dual_mov_b32 v11, v15
	;; [unrolled: 1-line block ×7, first 2 shown]
	v_mov_b32_e32 v0, v15
	s_xor_b32 exec_lo, exec_lo, s22
	s_cbranch_execz .LBB29_6
; %bb.3:
	s_mul_f32 s13, s13, 0x4f7ffffe
	s_mul_f32 s14, s14, 0x4f7ffffe
	s_sub_co_i32 s24, 0, s12
	s_sub_co_i32 s25, 0, s23
	s_cvt_u32_f32 s13, s13
	s_cvt_u32_f32 s27, s14
	s_abs_i32 s14, s19
	s_mov_b32 s15, s3
	s_mul_i32 s24, s24, s13
	s_mul_i32 s25, s25, s27
	s_mul_hi_u32 s24, s13, s24
	s_mul_hi_u32 s28, s27, s25
	s_add_co_i32 s24, s13, s24
	s_mov_b32 s25, s3
	s_abs_i32 s26, s2
	s_mul_u64 s[24:25], s[14:15], s[24:25]
	s_ashr_i32 s24, s8, 31
	s_mul_i32 s13, s25, s12
	s_add_co_i32 s28, s27, s28
	s_sub_co_i32 s8, s14, s13
	s_ashr_i32 s4, s4, 31
	s_add_co_i32 s13, s25, 1
	s_sub_co_i32 s14, s8, s12
	s_cmp_ge_u32 s8, s12
	s_mov_b32 s27, s3
	s_cselect_b32 s13, s13, s25
	s_mov_b32 s29, s3
	s_cselect_b32 s8, s14, s8
	s_add_co_i32 s14, s13, 1
	s_mul_u64 s[28:29], s[26:27], s[28:29]
	s_cmp_ge_u32 s8, s12
	s_mul_i32 s12, s29, s23
	s_cselect_b32 s8, s14, s13
	s_sub_co_i32 s25, s26, s12
	s_xor_b32 s8, s8, s4
	s_load_b128 s[12:15], s[0:1], 0x0
	s_sub_co_i32 s26, s8, s4
	s_add_co_i32 s4, s29, 1
	s_sub_co_i32 s8, s25, s23
	s_cmp_ge_u32 s25, s23
	v_mad_u32_u24 v0, 0x900, v37, 0
	s_cselect_b32 s4, s4, s29
	s_cselect_b32 s8, s8, s25
	s_add_co_i32 s25, s4, 1
	s_cmp_ge_u32 s8, s23
	s_mov_b32 s8, s9
	s_cselect_b32 s4, s25, s4
	s_ashr_i32 s9, s9, 31
	s_xor_b32 s4, s4, s24
	v_mul_u32_u24_e32 v41, 0x90, v16
	s_sub_co_i32 s24, s4, s24
	v_and_b32_e32 v1, 0x3f0, v36
	s_ashr_i32 s25, s24, 31
	v_mov_b32_e32 v44, 0
	s_mul_u64 s[8:9], s[24:25], s[8:9]
	s_mul_i32 s24, s26, s5
	s_lshl_b64 s[54:55], s[8:9], 2
	s_ashr_i32 s25, s24, 31
	s_wait_kmcnt 0x0
	s_add_nc_u64 s[8:9], s[12:13], s[54:55]
	s_lshl_b64 s[56:57], s[24:25], 2
	s_mul_i32 s24, s16, s20
	v_add3_u32 v43, v0, v41, v1
	s_ashr_i32 s25, s24, 31
	v_lshlrev_b32_e32 v1, 7, v37
	s_lshl_b64 s[60:61], s[24:25], 2
	s_add_nc_u64 s[8:9], s[8:9], s[56:57]
	s_add_nc_u64 s[56:57], s[56:57], s[60:61]
	s_mov_b32 s4, s10
	s_add_nc_u64 s[54:55], s[56:57], s[54:55]
	s_ashr_i32 s5, s10, 31
	v_add_co_u32 v1, s53, s54, v1
	v_add_nc_u32_e32 v42, v0, v39
	v_mov_b32_e32 v0, 0
	v_add_co_ci_u32_e64 v2, null, s55, 0, s53
	v_lshlrev_b32_e32 v3, 8, v37
	s_mul_u64 s[4:5], s[4:5], s[2:3]
	v_add_co_u32 v1, vcc_lo, v1, v39
	s_lshl_b64 s[58:59], s[4:5], 2
	v_add_co_ci_u32_e64 v2, null, 0, v2, vcc_lo
	v_add_co_u32 v3, s53, s58, v3
	v_lshlrev_b32_e32 v5, 3, v36
	s_mul_i32 s4, s6, s19
	s_wait_alu 0xf1ff
	v_add_co_ci_u32_e64 v4, null, s59, 0, s53
	v_add_co_u32 v32, vcc_lo, s12, v1
	s_ashr_i32 s5, s4, 31
	s_wait_alu 0xfffd
	v_add_co_ci_u32_e64 v33, null, s13, v2, vcc_lo
	v_add_co_u32 v1, vcc_lo, v3, v5
	s_lshl_b64 s[62:63], s[4:5], 2
	s_wait_alu 0xfffd
	v_add_co_ci_u32_e64 v2, null, 0, v4, vcc_lo
	s_add_nc_u64 s[12:13], s[14:15], s[62:63]
	v_dual_mov_b32 v3, v0 :: v_dual_mov_b32 v8, v0
	s_wait_alu 0xfffe
	v_add_co_u32 v34, vcc_lo, s12, v1
	s_wait_alu 0xfffd
	v_add_co_ci_u32_e64 v35, null, s13, v2, vcc_lo
	v_dual_mov_b32 v1, v0 :: v_dual_mov_b32 v6, v0
	v_mov_b32_e32 v2, v0
	v_dual_mov_b32 v4, v0 :: v_dual_mov_b32 v5, v0
	v_dual_mov_b32 v10, v0 :: v_dual_mov_b32 v7, v0
	;; [unrolled: 1-line block ×4, first 2 shown]
	v_mov_b32_e32 v13, v0
	v_mov_b32_e32 v15, v0
	s_add_nc_u64 s[26:27], s[14:15], s[58:59]
	s_ashr_i32 s65, s16, 31
	s_mov_b32 s64, s16
	s_ashr_i32 s67, s17, 31
	s_mov_b32 s66, s17
	s_add_nc_u64 s[4:5], s[8:9], s[60:61]
	s_add_nc_u64 s[8:9], s[26:27], s[62:63]
	s_mov_b32 s6, 0
	s_add_co_i32 s10, s16, s16
	s_add_co_i32 s23, s17, s17
	s_mul_i32 s17, s17, 3
	s_mul_i32 s24, s16, 3
	s_lshl_b32 s25, s16, 2
	s_mul_i32 s26, s16, 5
	s_mul_i32 s27, s16, 6
	;; [unrolled: 1-line block ×3, first 2 shown]
	s_lshl_b32 s29, s16, 3
	s_mul_i32 s30, s16, 9
	s_mul_i32 s31, s16, 10
	;; [unrolled: 1-line block ×7, first 2 shown]
	s_lshl_b32 s38, s16, 4
	s_mul_i32 s39, s16, 17
	s_mul_i32 s40, s16, 18
	;; [unrolled: 1-line block ×15, first 2 shown]
	s_lshl_b64 s[12:13], s[64:65], 2
	s_lshl_b64 s[14:15], s[66:67], 3
.LBB29_4:                               ; =>This Inner Loop Header: Depth=1
	global_load_b32 v16, v[32:33], off
	v_add_nc_u32_e32 v45, s38, v40
	s_delay_alu instid0(VALU_DEP_1) | instskip(NEXT) | instid1(VALU_DEP_1)
	v_ashrrev_i32_e32 v46, 31, v45
	v_lshlrev_b64_e32 v[45:46], 2, v[45:46]
	s_wait_loadcnt 0x0
	ds_store_b32 v42, v16
	s_wait_alu 0xfffe
	v_add_co_u32 v16, vcc_lo, v32, s12
	s_wait_alu 0xfffd
	v_add_co_ci_u32_e64 v17, null, s13, v33, vcc_lo
	global_load_b32 v16, v[16:17], off
	s_wait_loadcnt 0x0
	ds_store_b32 v42, v16 offset:144
	v_add_nc_u32_e32 v16, s10, v40
	s_delay_alu instid0(VALU_DEP_1) | instskip(NEXT) | instid1(VALU_DEP_1)
	v_ashrrev_i32_e32 v17, 31, v16
	v_lshlrev_b64_e32 v[16:17], 2, v[16:17]
	s_delay_alu instid0(VALU_DEP_1) | instskip(SKIP_1) | instid1(VALU_DEP_2)
	v_add_co_u32 v16, vcc_lo, s4, v16
	s_wait_alu 0xfffd
	v_add_co_ci_u32_e64 v17, null, s5, v17, vcc_lo
	global_load_b32 v16, v[16:17], off
	s_wait_loadcnt 0x0
	ds_store_b32 v42, v16 offset:288
	v_add_nc_u32_e32 v16, s24, v40
	s_delay_alu instid0(VALU_DEP_1) | instskip(NEXT) | instid1(VALU_DEP_1)
	v_ashrrev_i32_e32 v17, 31, v16
	v_lshlrev_b64_e32 v[16:17], 2, v[16:17]
	s_delay_alu instid0(VALU_DEP_1) | instskip(SKIP_1) | instid1(VALU_DEP_2)
	;; [unrolled: 11-line block ×14, first 2 shown]
	v_add_co_u32 v16, vcc_lo, s4, v16
	s_wait_alu 0xfffd
	v_add_co_ci_u32_e64 v17, null, s5, v17, vcc_lo
	v_add_co_u32 v45, vcc_lo, s4, v45
	s_wait_alu 0xfffd
	v_add_co_ci_u32_e64 v46, null, s5, v46, vcc_lo
	global_load_b32 v16, v[16:17], off
	s_wait_loadcnt 0x0
	ds_store_b32 v42, v16 offset:2160
	ds_load_b128 v[28:31], v43
	ds_load_b128 v[24:27], v43 offset:32
	ds_load_b128 v[20:23], v43 offset:64
	;; [unrolled: 1-line block ×3, first 2 shown]
	global_load_b32 v45, v[45:46], off
	s_wait_loadcnt 0x0
	ds_store_b32 v42, v45
	v_add_nc_u32_e32 v45, s39, v40
	s_delay_alu instid0(VALU_DEP_1) | instskip(NEXT) | instid1(VALU_DEP_1)
	v_ashrrev_i32_e32 v46, 31, v45
	v_lshlrev_b64_e32 v[45:46], 2, v[45:46]
	s_delay_alu instid0(VALU_DEP_1) | instskip(SKIP_1) | instid1(VALU_DEP_2)
	v_add_co_u32 v45, vcc_lo, s4, v45
	s_wait_alu 0xfffd
	v_add_co_ci_u32_e64 v46, null, s5, v46, vcc_lo
	global_load_b32 v45, v[45:46], off
	s_wait_loadcnt 0x0
	ds_store_b32 v42, v45 offset:144
	v_add_nc_u32_e32 v45, s40, v40
	s_delay_alu instid0(VALU_DEP_1) | instskip(NEXT) | instid1(VALU_DEP_1)
	v_ashrrev_i32_e32 v46, 31, v45
	v_lshlrev_b64_e32 v[45:46], 2, v[45:46]
	s_delay_alu instid0(VALU_DEP_1) | instskip(SKIP_1) | instid1(VALU_DEP_2)
	v_add_co_u32 v45, vcc_lo, s4, v45
	s_wait_alu 0xfffd
	v_add_co_ci_u32_e64 v46, null, s5, v46, vcc_lo
	global_load_b32 v45, v[45:46], off
	s_wait_loadcnt 0x0
	ds_store_b32 v42, v45 offset:288
	;; [unrolled: 11-line block ×15, first 2 shown]
	ds_load_b128 v[45:48], v43
	ds_load_b128 v[49:52], v43 offset:32
	ds_load_b128 v[53:56], v43 offset:64
	ds_load_b128 v[57:60], v43 offset:96
	global_load_b64 v[61:62], v[34:35], off
	s_wait_loadcnt 0x0
	v_cvt_f16_f32_e32 v61, v61
	v_cvt_f16_f32_e32 v62, v62
	s_delay_alu instid0(VALU_DEP_1)
	v_pack_b32_f16 v61, v61, v62
	ds_store_b32 v42, v61
	v_add_co_u32 v61, vcc_lo, v34, s14
	s_wait_alu 0xfffd
	v_add_co_ci_u32_e64 v62, null, s15, v35, vcc_lo
	global_load_b64 v[61:62], v[61:62], off
	s_wait_loadcnt 0x0
	v_cvt_f16_f32_e32 v61, v61
	v_cvt_f16_f32_e32 v62, v62
	s_delay_alu instid0(VALU_DEP_1) | instskip(SKIP_2) | instid1(VALU_DEP_1)
	v_pack_b32_f16 v61, v61, v62
	ds_store_b32 v42, v61 offset:144
	v_add_nc_u32_e32 v61, s23, v40
	v_ashrrev_i32_e32 v62, 31, v61
	s_delay_alu instid0(VALU_DEP_1) | instskip(NEXT) | instid1(VALU_DEP_1)
	v_lshlrev_b64_e32 v[61:62], 3, v[61:62]
	v_add_co_u32 v61, vcc_lo, s8, v61
	s_wait_alu 0xfffd
	s_delay_alu instid0(VALU_DEP_2) | instskip(SKIP_4) | instid1(VALU_DEP_1)
	v_add_co_ci_u32_e64 v62, null, s9, v62, vcc_lo
	global_load_b64 v[61:62], v[61:62], off
	s_wait_loadcnt 0x0
	v_cvt_f16_f32_e32 v61, v61
	v_cvt_f16_f32_e32 v62, v62
	v_pack_b32_f16 v61, v61, v62
	ds_store_b32 v42, v61 offset:288
	v_add_nc_u32_e32 v61, s17, v40
	v_add_nc_u32_e32 v40, 32, v40
	s_delay_alu instid0(VALU_DEP_2) | instskip(NEXT) | instid1(VALU_DEP_1)
	v_ashrrev_i32_e32 v62, 31, v61
	v_lshlrev_b64_e32 v[61:62], 3, v[61:62]
	s_delay_alu instid0(VALU_DEP_1) | instskip(SKIP_1) | instid1(VALU_DEP_2)
	v_add_co_u32 v61, vcc_lo, s8, v61
	s_wait_alu 0xfffd
	v_add_co_ci_u32_e64 v62, null, s9, v62, vcc_lo
	v_add_co_u32 v32, vcc_lo, 0x80, v32
	s_wait_alu 0xfffd
	v_add_co_ci_u32_e64 v33, null, 0, v33, vcc_lo
	global_load_b64 v[61:62], v[61:62], off
	v_add_co_u32 v34, vcc_lo, 0x100, v34
	s_wait_alu 0xfffd
	v_add_co_ci_u32_e64 v35, null, 0, v35, vcc_lo
	v_cmp_le_i32_e32 vcc_lo, s21, v40
	s_or_b32 s6, vcc_lo, s6
	s_wait_loadcnt 0x0
	v_cvt_f16_f32_e32 v61, v61
	v_cvt_f16_f32_e32 v62, v62
	s_delay_alu instid0(VALU_DEP_1)
	v_pack_b32_f16 v61, v61, v62
	ds_store_b32 v42, v61 offset:432
	ds_store_b32 v42, v44 offset:576
	;; [unrolled: 1-line block ×13, first 2 shown]
	ds_load_b128 v[61:64], v43
	ds_load_b128 v[65:68], v43 offset:32
	s_wait_dscnt 0x1
	v_wmma_f32_16x16x16_f16 v[8:15], v[28:31], v[61:64], v[8:15]
	v_wmma_f32_16x16x16_f16 v[0:7], v[45:48], v[61:64], v[0:7]
	s_wait_dscnt 0x0
	s_delay_alu instid0(VALU_DEP_2)
	v_wmma_f32_16x16x16_f16 v[8:15], v[24:27], v[65:68], v[8:15]
	ds_load_b128 v[24:27], v43 offset:64
	v_wmma_f32_16x16x16_f16 v[0:7], v[49:52], v[65:68], v[0:7]
	s_wait_dscnt 0x0
	v_wmma_f32_16x16x16_f16 v[8:15], v[20:23], v[24:27], v[8:15]
	ds_load_b128 v[20:23], v43 offset:96
	v_wmma_f32_16x16x16_f16 v[0:7], v[53:56], v[24:27], v[0:7]
	s_wait_dscnt 0x0
	v_wmma_f32_16x16x16_f16 v[8:15], v[16:19], v[20:23], v[8:15]
	s_delay_alu instid0(VALU_DEP_2)
	v_wmma_f32_16x16x16_f16 v[0:7], v[57:60], v[20:23], v[0:7]
	s_and_not1_b32 exec_lo, exec_lo, s6
	s_cbranch_execnz .LBB29_4
; %bb.5:
	s_or_b32 exec_lo, exec_lo, s6
.LBB29_6:
	s_delay_alu instid0(SALU_CYCLE_1)
	s_or_b32 exec_lo, exec_lo, s22
	v_lshlrev_b32_e32 v16, 1, v36
	v_lshl_add_u32 v17, v38, 2, 0
	v_mul_u32_u24_e32 v18, 0x90, v37
	s_load_b64 s[0:1], s[0:1], 0x18
	s_ashr_i32 s5, s11, 31
	v_and_b32_e32 v16, 0x7e0, v16
	s_mov_b32 s4, s11
	v_add3_u32 v18, 0, v39, v18
	s_wait_alu 0xfffe
	s_mul_u64 s[2:3], s[4:5], s[2:3]
	s_mul_i32 s4, s7, s19
	v_add3_u32 v16, v17, v41, v16
	s_wait_kmcnt 0x0
	v_mul_lo_u32 v17, v37, s18
	s_wait_alu 0xfffe
	s_lshl_b64 s[2:3], s[2:3], 2
	s_ashr_i32 s5, s4, 31
	ds_store_2addr_b32 v16, v8, v9 offset1:1
	ds_store_2addr_b32 v16, v10, v11 offset0:2 offset1:3
	ds_store_2addr_b32 v16, v12, v13 offset0:4 offset1:5
	;; [unrolled: 1-line block ×7, first 2 shown]
	ds_load_2addr_b32 v[6:7], v18 offset0:72 offset1:108
	ds_load_2addr_b32 v[0:1], v18 offset1:36
	v_mov_b32_e32 v3, 0
	v_add3_u32 v2, s20, v36, v17
	s_wait_alu 0xfffe
	s_lshl_b64 s[4:5], s[4:5], 2
	s_add_nc_u64 s[0:1], s[0:1], s[2:3]
	s_delay_alu instid0(VALU_DEP_1)
	v_lshlrev_b64_e32 v[4:5], 2, v[2:3]
	v_add_nc_u32_e32 v2, s18, v2
	s_wait_alu 0xfffe
	s_add_nc_u64 s[0:1], s[0:1], s[4:5]
	s_delay_alu instid0(VALU_DEP_2) | instid1(SALU_CYCLE_1)
	v_add_co_u32 v4, vcc_lo, s0, v4
	s_wait_alu 0xfffd
	v_add_co_ci_u32_e64 v5, null, s1, v5, vcc_lo
	s_wait_dscnt 0x1
	v_add_f32_e32 v7, 0, v7
	v_lshlrev_b64_e32 v[8:9], 2, v[2:3]
	v_add_nc_u32_e32 v2, s18, v2
	s_wait_dscnt 0x0
	v_dual_add_f32 v10, 0, v0 :: v_dual_add_f32 v11, 0, v1
	v_add_f32_e32 v6, 0, v6
	s_delay_alu instid0(VALU_DEP_3) | instskip(SKIP_4) | instid1(VALU_DEP_3)
	v_lshlrev_b64_e32 v[0:1], 2, v[2:3]
	v_add_nc_u32_e32 v2, s18, v2
	v_add_co_u32 v8, vcc_lo, s0, v8
	s_wait_alu 0xfffd
	v_add_co_ci_u32_e64 v9, null, s1, v9, vcc_lo
	v_lshlrev_b64_e32 v[2:3], 2, v[2:3]
	v_add_co_u32 v0, vcc_lo, s0, v0
	s_wait_alu 0xfffd
	v_add_co_ci_u32_e64 v1, null, s1, v1, vcc_lo
	s_delay_alu instid0(VALU_DEP_3)
	v_add_co_u32 v2, vcc_lo, s0, v2
	s_wait_alu 0xfffd
	v_add_co_ci_u32_e64 v3, null, s1, v3, vcc_lo
	s_clause 0x3
	global_store_b32 v[4:5], v10, off
	global_store_b32 v[8:9], v11, off
	;; [unrolled: 1-line block ×4, first 2 shown]
	s_endpgm
	.section	.rodata,"a",@progbits
	.p2align	6, 0x0
	.amdhsa_kernel _ZL9mul_mat_fI7__half2Li32ELi4ELi1ELb0EEvPKT_PKfPKiPfiiiiiiiiiiiiiiii
		.amdhsa_group_segment_fixed_size 0
		.amdhsa_private_segment_fixed_size 0
		.amdhsa_kernarg_size 96
		.amdhsa_user_sgpr_count 2
		.amdhsa_user_sgpr_dispatch_ptr 0
		.amdhsa_user_sgpr_queue_ptr 0
		.amdhsa_user_sgpr_kernarg_segment_ptr 1
		.amdhsa_user_sgpr_dispatch_id 0
		.amdhsa_user_sgpr_private_segment_size 0
		.amdhsa_wavefront_size32 1
		.amdhsa_uses_dynamic_stack 0
		.amdhsa_enable_private_segment 0
		.amdhsa_system_sgpr_workgroup_id_x 1
		.amdhsa_system_sgpr_workgroup_id_y 1
		.amdhsa_system_sgpr_workgroup_id_z 1
		.amdhsa_system_sgpr_workgroup_info 0
		.amdhsa_system_vgpr_workitem_id 1
		.amdhsa_next_free_vgpr 69
		.amdhsa_next_free_sgpr 68
		.amdhsa_reserve_vcc 1
		.amdhsa_float_round_mode_32 0
		.amdhsa_float_round_mode_16_64 0
		.amdhsa_float_denorm_mode_32 3
		.amdhsa_float_denorm_mode_16_64 3
		.amdhsa_fp16_overflow 0
		.amdhsa_workgroup_processor_mode 1
		.amdhsa_memory_ordered 1
		.amdhsa_forward_progress 1
		.amdhsa_inst_pref_size 31
		.amdhsa_round_robin_scheduling 0
		.amdhsa_exception_fp_ieee_invalid_op 0
		.amdhsa_exception_fp_denorm_src 0
		.amdhsa_exception_fp_ieee_div_zero 0
		.amdhsa_exception_fp_ieee_overflow 0
		.amdhsa_exception_fp_ieee_underflow 0
		.amdhsa_exception_fp_ieee_inexact 0
		.amdhsa_exception_int_div_zero 0
	.end_amdhsa_kernel
	.section	.text._ZL9mul_mat_fI7__half2Li32ELi4ELi1ELb0EEvPKT_PKfPKiPfiiiiiiiiiiiiiiii,"axG",@progbits,_ZL9mul_mat_fI7__half2Li32ELi4ELi1ELb0EEvPKT_PKfPKiPfiiiiiiiiiiiiiiii,comdat
.Lfunc_end29:
	.size	_ZL9mul_mat_fI7__half2Li32ELi4ELi1ELb0EEvPKT_PKfPKiPfiiiiiiiiiiiiiiii, .Lfunc_end29-_ZL9mul_mat_fI7__half2Li32ELi4ELi1ELb0EEvPKT_PKfPKiPfiiiiiiiiiiiiiiii
                                        ; -- End function
	.set _ZL9mul_mat_fI7__half2Li32ELi4ELi1ELb0EEvPKT_PKfPKiPfiiiiiiiiiiiiiiii.num_vgpr, 69
	.set _ZL9mul_mat_fI7__half2Li32ELi4ELi1ELb0EEvPKT_PKfPKiPfiiiiiiiiiiiiiiii.num_agpr, 0
	.set _ZL9mul_mat_fI7__half2Li32ELi4ELi1ELb0EEvPKT_PKfPKiPfiiiiiiiiiiiiiiii.numbered_sgpr, 68
	.set _ZL9mul_mat_fI7__half2Li32ELi4ELi1ELb0EEvPKT_PKfPKiPfiiiiiiiiiiiiiiii.num_named_barrier, 0
	.set _ZL9mul_mat_fI7__half2Li32ELi4ELi1ELb0EEvPKT_PKfPKiPfiiiiiiiiiiiiiiii.private_seg_size, 0
	.set _ZL9mul_mat_fI7__half2Li32ELi4ELi1ELb0EEvPKT_PKfPKiPfiiiiiiiiiiiiiiii.uses_vcc, 1
	.set _ZL9mul_mat_fI7__half2Li32ELi4ELi1ELb0EEvPKT_PKfPKiPfiiiiiiiiiiiiiiii.uses_flat_scratch, 0
	.set _ZL9mul_mat_fI7__half2Li32ELi4ELi1ELb0EEvPKT_PKfPKiPfiiiiiiiiiiiiiiii.has_dyn_sized_stack, 0
	.set _ZL9mul_mat_fI7__half2Li32ELi4ELi1ELb0EEvPKT_PKfPKiPfiiiiiiiiiiiiiiii.has_recursion, 0
	.set _ZL9mul_mat_fI7__half2Li32ELi4ELi1ELb0EEvPKT_PKfPKiPfiiiiiiiiiiiiiiii.has_indirect_call, 0
	.section	.AMDGPU.csdata,"",@progbits
; Kernel info:
; codeLenInByte = 3968
; TotalNumSgprs: 70
; NumVgprs: 69
; ScratchSize: 0
; MemoryBound: 0
; FloatMode: 240
; IeeeMode: 1
; LDSByteSize: 0 bytes/workgroup (compile time only)
; SGPRBlocks: 0
; VGPRBlocks: 8
; NumSGPRsForWavesPerEU: 70
; NumVGPRsForWavesPerEU: 69
; Occupancy: 16
; WaveLimiterHint : 0
; COMPUTE_PGM_RSRC2:SCRATCH_EN: 0
; COMPUTE_PGM_RSRC2:USER_SGPR: 2
; COMPUTE_PGM_RSRC2:TRAP_HANDLER: 0
; COMPUTE_PGM_RSRC2:TGID_X_EN: 1
; COMPUTE_PGM_RSRC2:TGID_Y_EN: 1
; COMPUTE_PGM_RSRC2:TGID_Z_EN: 1
; COMPUTE_PGM_RSRC2:TIDIG_COMP_CNT: 1
	.section	.text._ZL13mul_mat_f_idsI7__half2Li32ELi4ELi2EEvPKT_PKfPKiS7_S7_Pfiiiiiiiiiiiiii15HIP_vector_typeIjLj3EESA_,"axG",@progbits,_ZL13mul_mat_f_idsI7__half2Li32ELi4ELi2EEvPKT_PKfPKiS7_S7_Pfiiiiiiiiiiiiii15HIP_vector_typeIjLj3EESA_,comdat
	.globl	_ZL13mul_mat_f_idsI7__half2Li32ELi4ELi2EEvPKT_PKfPKiS7_S7_Pfiiiiiiiiiiiiii15HIP_vector_typeIjLj3EESA_ ; -- Begin function _ZL13mul_mat_f_idsI7__half2Li32ELi4ELi2EEvPKT_PKfPKiS7_S7_Pfiiiiiiiiiiiiii15HIP_vector_typeIjLj3EESA_
	.p2align	8
	.type	_ZL13mul_mat_f_idsI7__half2Li32ELi4ELi2EEvPKT_PKfPKiS7_S7_Pfiiiiiiiiiiiiii15HIP_vector_typeIjLj3EESA_,@function
_ZL13mul_mat_f_idsI7__half2Li32ELi4ELi2EEvPKT_PKfPKiS7_S7_Pfiiiiiiiiiiiiii15HIP_vector_typeIjLj3EESA_: ; @_ZL13mul_mat_f_idsI7__half2Li32ELi4ELi2EEvPKT_PKfPKiS7_S7_Pfiiiiiiiiiiiiii15HIP_vector_typeIjLj3EESA_
; %bb.0:
	s_load_b64 s[4:5], s[0:1], 0x20
	s_and_b32 s2, ttmp7, 0xffff
	s_delay_alu instid0(SALU_CYCLE_1) | instskip(SKIP_4) | instid1(SALU_CYCLE_1)
	s_lshl_b32 s3, s2, 2
	s_wait_kmcnt 0x0
	s_load_b64 s[26:27], s[4:5], s3 offset:0x0
	s_wait_kmcnt 0x0
	s_sub_co_i32 s19, s27, s26
	s_add_co_i32 s3, s19, 3
	s_delay_alu instid0(SALU_CYCLE_1) | instskip(NEXT) | instid1(SALU_CYCLE_1)
	s_ashr_i32 s4, s3, 31
	s_lshr_b32 s4, s4, 30
	s_delay_alu instid0(SALU_CYCLE_1) | instskip(NEXT) | instid1(SALU_CYCLE_1)
	s_add_co_i32 s3, s3, s4
	s_ashr_i32 s4, s3, 2
	s_lshr_b32 s3, ttmp7, 16
	s_delay_alu instid0(SALU_CYCLE_1)
	s_cmp_ge_i32 s3, s4
	s_cbranch_scc1 .LBB30_25
; %bb.1:
	s_clause 0x3
	s_load_b128 s[4:7], s[0:1], 0x30
	s_load_b64 s[20:21], s[0:1], 0x40
	s_load_b128 s[8:11], s[0:1], 0x68
	s_load_b64 s[22:23], s[0:1], 0x78
	v_bfe_u32 v51, v0, 10, 10
	v_and_b32_e32 v52, 0x3ff, v0
	s_ashr_i32 s27, s26, 31
	s_mov_b32 s12, exec_lo
	s_delay_alu instid0(VALU_DEP_2) | instskip(NEXT) | instid1(VALU_DEP_2)
	v_lshlrev_b32_e32 v53, 5, v51
	v_and_b32_e32 v54, 15, v52
	s_delay_alu instid0(VALU_DEP_2) | instskip(SKIP_1) | instid1(VALU_DEP_1)
	v_add_nc_u32_e32 v48, v53, v52
	s_wait_kmcnt 0x0
	v_cmpx_le_i32_e64 s4, v48
	s_xor_b32 s12, exec_lo, s12
; %bb.2:
	v_and_b32_e32 v54, 15, v52
                                        ; implicit-def: $vgpr48
; %bb.3:
	s_or_saveexec_b32 s37, s12
	s_clause 0x1
	s_load_b64 s[24:25], s[0:1], 0x28
	s_load_b96 s[16:18], s[0:1], 0x4c
	v_mov_b32_e32 v7, 0
	s_lshl_b32 s36, ttmp9, 5
	s_lshl_b32 s33, s3, 2
	s_delay_alu instid0(VALU_DEP_1)
	v_dual_mov_b32 v6, v7 :: v_dual_mov_b32 v5, v7
	v_dual_mov_b32 v4, v7 :: v_dual_mov_b32 v3, v7
	;; [unrolled: 1-line block ×7, first 2 shown]
	v_mov_b32_e32 v8, v7
	s_xor_b32 exec_lo, exec_lo, s37
	s_cbranch_execz .LBB30_19
; %bb.4:
	s_clause 0x1
	s_load_b128 s[12:15], s[0:1], 0x0
	s_load_b64 s[28:29], s[0:1], 0x10
	s_wait_kmcnt 0x0
	s_mul_i32 s30, s16, s2
	s_mul_i32 s34, s7, s36
	s_ashr_i32 s31, s30, 31
	s_ashr_i32 s35, s34, 31
	s_lshl_b64 s[38:39], s[26:27], 2
	s_lshl_b64 s[68:69], s[30:31], 2
	;; [unrolled: 1-line block ×3, first 2 shown]
	s_cmp_lt_i32 s33, s19
	v_mad_u32_u24 v0, 0x900, v51, 0
	v_dual_mov_b32 v8, 0 :: v_dual_lshlrev_b32 v1, 2, v52
	v_mul_u32_u24_e32 v2, 0x90, v54
	s_cselect_b32 s16, -1, 0
	s_or_b32 s30, s33, 1
	v_mov_b32_e32 v57, 0
	v_and_b32_e32 v3, 0x3f0, v52
	s_lshl_b32 s2, s33, 2
	s_cmp_lt_i32 s30, s19
	s_add_nc_u64 s[30:31], s[12:13], s[68:69]
	s_add_nc_u64 s[34:35], s[28:29], s[38:39]
	;; [unrolled: 1-line block ×3, first 2 shown]
	s_cselect_b32 s38, -1, 0
	s_or_b32 s30, s33, 2
	v_dual_mov_b32 v10, v57 :: v_dual_add_nc_u32 v55, v0, v1
	v_add3_u32 v56, v0, v2, v3
	v_dual_mov_b32 v9, v57 :: v_dual_lshlrev_b32 v0, 7, v51
	s_mov_b32 s3, 0
	s_cmp_lt_i32 s30, s19
	s_add_nc_u64 s[30:31], s[34:35], s[2:3]
	s_cselect_b32 s39, -1, 0
	s_or_b32 s2, s33, 3
	s_add_nc_u64 s[68:69], s[68:69], s[70:71]
	s_cmp_lt_i32 s2, s19
	v_add_co_u32 v0, s2, s68, v0
	s_delay_alu instid0(VALU_DEP_1) | instskip(SKIP_2) | instid1(VALU_DEP_1)
	v_add_co_ci_u32_e64 v2, null, s69, 0, s2
	s_mov_b32 s34, s8
	v_add_co_u32 v0, vcc_lo, v0, v1
	v_add_co_ci_u32_e64 v1, null, 0, v2, vcc_lo
	s_cselect_b32 s8, -1, 0
	v_add_co_u32 v49, vcc_lo, s12, v0
	s_wait_alu 0xfffd
	v_add_co_ci_u32_e64 v50, null, s13, v1, vcc_lo
	v_dual_mov_b32 v0, 0 :: v_dual_mov_b32 v11, v57
	v_mov_b32_e32 v14, v57
	v_dual_mov_b32 v12, v57 :: v_dual_mov_b32 v13, v57
	v_dual_mov_b32 v2, v57 :: v_dual_mov_b32 v15, v57
	;; [unrolled: 1-line block ×4, first 2 shown]
	v_mov_b32_e32 v5, v57
	v_mov_b32_e32 v7, v57
	s_ashr_i32 s73, s7, 31
	s_mov_b32 s72, s7
	s_mov_b32 s35, s3
	s_add_co_i32 s40, s7, s7
	s_mul_i32 s41, s7, 3
	s_lshl_b32 s42, s7, 2
	s_mul_i32 s43, s7, 5
	s_mul_i32 s44, s7, 6
	;; [unrolled: 1-line block ×3, first 2 shown]
	s_lshl_b32 s46, s7, 3
	s_mul_i32 s47, s7, 9
	s_mul_i32 s48, s7, 10
	s_mul_i32 s49, s7, 11
	s_mul_i32 s50, s7, 12
	s_mul_i32 s51, s7, 13
	s_mul_i32 s52, s7, 14
	s_mul_i32 s53, s7, 15
	s_lshl_b32 s54, s7, 4
	s_mul_i32 s55, s7, 17
	s_mul_i32 s56, s7, 18
	;; [unrolled: 1-line block ×15, first 2 shown]
	s_lshl_b64 s[12:13], s[72:73], 2
	s_mov_b32 s69, 0
	s_branch .LBB30_6
.LBB30_5:                               ;   in Loop: Header=BB30_6 Depth=1
	v_perm_b32 v58, v58, v59, 0x5040100
	v_perm_b32 v59, v61, v62, 0x5040100
	;; [unrolled: 1-line block ×4, first 2 shown]
	v_add_nc_u32_e32 v62, 0x400, v55
	ds_store_2addr_b32 v55, v58, v59 offset1:36
	ds_store_2addr_b32 v55, v60, v61 offset0:72 offset1:108
	ds_store_2addr_b32 v55, v57, v57 offset0:144 offset1:180
	v_add_nc_u32_e32 v58, 0x600, v55
	ds_store_2addr_b32 v55, v57, v57 offset0:216 offset1:252
	ds_store_2addr_b32 v62, v57, v57 offset0:32 offset1:68
	;; [unrolled: 1-line block ×5, first 2 shown]
	ds_load_b128 v[58:61], v56
	ds_load_b128 v[62:65], v56 offset:32
	ds_load_b128 v[66:69], v56 offset:64
	;; [unrolled: 1-line block ×3, first 2 shown]
	v_add_nc_u32_e32 v48, 64, v48
	v_add_co_u32 v49, s2, 0x100, v49
	s_wait_alu 0xf1ff
	v_add_co_ci_u32_e64 v50, null, 0, v50, s2
	s_delay_alu instid0(VALU_DEP_3)
	v_cmp_le_i32_e32 vcc_lo, s4, v48
	s_or_b32 s69, vcc_lo, s69
	s_wait_dscnt 0x3
	v_wmma_f32_16x16x16_f16 v[8:15], v[32:35], v[58:61], v[8:15]
	v_wmma_f32_16x16x16_f16 v[0:7], v[44:47], v[58:61], v[0:7]
	s_wait_dscnt 0x2
	s_delay_alu instid0(VALU_DEP_2) | instskip(NEXT) | instid1(VALU_DEP_2)
	v_wmma_f32_16x16x16_f16 v[8:15], v[28:31], v[62:65], v[8:15]
	v_wmma_f32_16x16x16_f16 v[0:7], v[40:43], v[62:65], v[0:7]
	s_wait_dscnt 0x1
	s_delay_alu instid0(VALU_DEP_2) | instskip(NEXT) | instid1(VALU_DEP_2)
	;; [unrolled: 4-line block ×3, first 2 shown]
	v_wmma_f32_16x16x16_f16 v[8:15], v[16:19], v[70:73], v[8:15]
	v_wmma_f32_16x16x16_f16 v[0:7], v[20:23], v[70:73], v[0:7]
	s_wait_alu 0xfffe
	s_and_not1_b32 exec_lo, exec_lo, s69
	s_cbranch_execz .LBB30_18
.LBB30_6:                               ; =>This Inner Loop Header: Depth=1
	v_add_nc_u32_e32 v22, s42, v48
	v_add_nc_u32_e32 v16, s40, v48
	s_wait_alu 0xfffe
	v_add_co_u32 v20, vcc_lo, v49, s12
	v_add_nc_u32_e32 v18, s41, v48
	s_wait_alu 0xfffd
	v_add_co_ci_u32_e64 v21, null, s13, v50, vcc_lo
	v_ashrrev_i32_e32 v23, 31, v22
	v_ashrrev_i32_e32 v17, 31, v16
	v_add_nc_u32_e32 v24, s43, v48
	v_ashrrev_i32_e32 v19, 31, v18
	s_clause 0x1
	global_load_b32 v38, v[49:50], off
	global_load_b32 v39, v[20:21], off
	v_lshlrev_b64_e32 v[20:21], 2, v[22:23]
	v_add_nc_u32_e32 v22, s44, v48
	v_lshlrev_b64_e32 v[16:17], 2, v[16:17]
	v_add_nc_u32_e32 v26, s45, v48
	v_ashrrev_i32_e32 v25, 31, v24
	v_lshlrev_b64_e32 v[18:19], 2, v[18:19]
	v_add_nc_u32_e32 v28, s46, v48
	v_ashrrev_i32_e32 v23, 31, v22
	v_add_nc_u32_e32 v30, s47, v48
	v_ashrrev_i32_e32 v27, 31, v26
	v_add_co_u32 v16, vcc_lo, s28, v16
	v_lshlrev_b64_e32 v[24:25], 2, v[24:25]
	v_ashrrev_i32_e32 v29, 31, v28
	s_wait_alu 0xfffd
	v_add_co_ci_u32_e64 v17, null, s29, v17, vcc_lo
	v_add_co_u32 v18, vcc_lo, s28, v18
	v_lshlrev_b64_e32 v[22:23], 2, v[22:23]
	v_ashrrev_i32_e32 v31, 31, v30
	s_wait_alu 0xfffd
	v_add_co_ci_u32_e64 v19, null, s29, v19, vcc_lo
	v_add_co_u32 v20, vcc_lo, s28, v20
	v_lshlrev_b64_e32 v[26:27], 2, v[26:27]
	s_wait_alu 0xfffd
	v_add_co_ci_u32_e64 v21, null, s29, v21, vcc_lo
	v_add_co_u32 v24, vcc_lo, s28, v24
	v_lshlrev_b64_e32 v[28:29], 2, v[28:29]
	;; [unrolled: 4-line block ×3, first 2 shown]
	s_wait_alu 0xfffd
	v_add_co_ci_u32_e64 v23, null, s29, v23, vcc_lo
	v_add_co_u32 v26, vcc_lo, s28, v26
	v_add_nc_u32_e32 v32, s48, v48
	s_wait_alu 0xfffd
	v_add_co_ci_u32_e64 v27, null, s29, v27, vcc_lo
	v_add_co_u32 v28, vcc_lo, s28, v28
	v_add_nc_u32_e32 v34, s49, v48
	;; [unrolled: 4-line block ×3, first 2 shown]
	v_ashrrev_i32_e32 v33, 31, v32
	s_wait_alu 0xfffd
	v_add_co_ci_u32_e64 v31, null, s29, v31, vcc_lo
	s_clause 0x7
	global_load_b32 v40, v[16:17], off
	global_load_b32 v41, v[18:19], off
	;; [unrolled: 1-line block ×8, first 2 shown]
	v_add_nc_u32_e32 v18, s51, v48
	v_ashrrev_i32_e32 v35, 31, v34
	v_add_nc_u32_e32 v24, s52, v48
	v_ashrrev_i32_e32 v37, 31, v36
	v_lshlrev_b64_e32 v[32:33], 2, v[32:33]
	v_add_nc_u32_e32 v26, s53, v48
	v_ashrrev_i32_e32 v19, 31, v18
	v_lshlrev_b64_e32 v[16:17], 2, v[34:35]
	v_add_nc_u32_e32 v28, s54, v48
	v_ashrrev_i32_e32 v25, 31, v24
	v_lshlrev_b64_e32 v[22:23], 2, v[36:37]
	v_add_nc_u32_e32 v30, s55, v48
	v_ashrrev_i32_e32 v27, 31, v26
	v_add_co_u32 v20, vcc_lo, s28, v32
	v_lshlrev_b64_e32 v[18:19], 2, v[18:19]
	v_ashrrev_i32_e32 v29, 31, v28
	s_wait_alu 0xfffd
	v_add_co_ci_u32_e64 v21, null, s29, v33, vcc_lo
	v_add_co_u32 v16, vcc_lo, s28, v16
	v_lshlrev_b64_e32 v[24:25], 2, v[24:25]
	v_ashrrev_i32_e32 v31, 31, v30
	s_wait_alu 0xfffd
	v_add_co_ci_u32_e64 v17, null, s29, v17, vcc_lo
	v_add_co_u32 v22, vcc_lo, s28, v22
	v_lshlrev_b64_e32 v[26:27], 2, v[26:27]
	s_wait_alu 0xfffd
	v_add_co_ci_u32_e64 v23, null, s29, v23, vcc_lo
	v_add_co_u32 v18, vcc_lo, s28, v18
	v_lshlrev_b64_e32 v[28:29], 2, v[28:29]
	;; [unrolled: 4-line block ×3, first 2 shown]
	s_wait_alu 0xfffd
	v_add_co_ci_u32_e64 v25, null, s29, v25, vcc_lo
	v_add_co_u32 v26, vcc_lo, s28, v26
	v_add_nc_u32_e32 v32, s56, v48
	s_wait_alu 0xfffd
	v_add_co_ci_u32_e64 v27, null, s29, v27, vcc_lo
	v_add_co_u32 v28, vcc_lo, s28, v28
	v_add_nc_u32_e32 v34, s57, v48
	;; [unrolled: 4-line block ×3, first 2 shown]
	v_ashrrev_i32_e32 v33, 31, v32
	s_wait_alu 0xfffd
	v_add_co_ci_u32_e64 v31, null, s29, v31, vcc_lo
	s_clause 0x7
	global_load_b32 v58, v[20:21], off
	global_load_b32 v59, v[16:17], off
	;; [unrolled: 1-line block ×8, first 2 shown]
	v_add_nc_u32_e32 v18, s59, v48
	v_ashrrev_i32_e32 v35, 31, v34
	v_add_nc_u32_e32 v24, s60, v48
	v_ashrrev_i32_e32 v37, 31, v36
	v_lshlrev_b64_e32 v[32:33], 2, v[32:33]
	v_add_nc_u32_e32 v26, s61, v48
	v_ashrrev_i32_e32 v19, 31, v18
	v_lshlrev_b64_e32 v[16:17], 2, v[34:35]
	;; [unrolled: 3-line block ×3, first 2 shown]
	v_add_nc_u32_e32 v30, s63, v48
	v_ashrrev_i32_e32 v27, 31, v26
	v_add_co_u32 v20, vcc_lo, s28, v32
	v_lshlrev_b64_e32 v[18:19], 2, v[18:19]
	v_ashrrev_i32_e32 v29, 31, v28
	s_wait_alu 0xfffd
	v_add_co_ci_u32_e64 v21, null, s29, v33, vcc_lo
	v_add_co_u32 v16, vcc_lo, s28, v16
	v_lshlrev_b64_e32 v[24:25], 2, v[24:25]
	v_ashrrev_i32_e32 v31, 31, v30
	s_wait_alu 0xfffd
	v_add_co_ci_u32_e64 v17, null, s29, v17, vcc_lo
	v_add_co_u32 v22, vcc_lo, s28, v22
	v_lshlrev_b64_e32 v[26:27], 2, v[26:27]
	s_wait_alu 0xfffd
	v_add_co_ci_u32_e64 v23, null, s29, v23, vcc_lo
	v_add_co_u32 v18, vcc_lo, s28, v18
	v_lshlrev_b64_e32 v[28:29], 2, v[28:29]
	;; [unrolled: 4-line block ×3, first 2 shown]
	s_wait_alu 0xfffd
	v_add_co_ci_u32_e64 v25, null, s29, v25, vcc_lo
	v_add_co_u32 v26, vcc_lo, s28, v26
	v_add_nc_u32_e32 v32, s64, v48
	s_wait_alu 0xfffd
	v_add_co_ci_u32_e64 v27, null, s29, v27, vcc_lo
	v_add_co_u32 v28, vcc_lo, s28, v28
	v_add_nc_u32_e32 v34, s65, v48
	;; [unrolled: 4-line block ×3, first 2 shown]
	v_ashrrev_i32_e32 v33, 31, v32
	s_wait_alu 0xfffd
	v_add_co_ci_u32_e64 v31, null, s29, v31, vcc_lo
	s_clause 0x7
	global_load_b32 v66, v[20:21], off
	global_load_b32 v67, v[16:17], off
	;; [unrolled: 1-line block ×8, first 2 shown]
	v_add_nc_u32_e32 v18, s67, v48
	v_ashrrev_i32_e32 v35, 31, v34
	v_add_nc_u32_e32 v24, s68, v48
	v_ashrrev_i32_e32 v37, 31, v36
	v_lshlrev_b64_e32 v[32:33], 2, v[32:33]
	v_add_nc_u32_e32 v26, s7, v48
	v_ashrrev_i32_e32 v19, 31, v18
	v_lshlrev_b64_e32 v[16:17], 2, v[34:35]
	v_ashrrev_i32_e32 v25, 31, v24
	v_lshlrev_b64_e32 v[22:23], 2, v[36:37]
	v_ashrrev_i32_e32 v27, 31, v26
	v_add_co_u32 v20, vcc_lo, s28, v32
	v_lshlrev_b64_e32 v[18:19], 2, v[18:19]
	s_wait_alu 0xfffd
	v_add_co_ci_u32_e64 v21, null, s29, v33, vcc_lo
	v_add_co_u32 v16, vcc_lo, s28, v16
	v_lshlrev_b64_e32 v[24:25], 2, v[24:25]
	s_wait_alu 0xfffd
	v_add_co_ci_u32_e64 v17, null, s29, v17, vcc_lo
	;; [unrolled: 4-line block ×3, first 2 shown]
	v_add_co_u32 v18, vcc_lo, s28, v18
	s_wait_alu 0xfffd
	v_add_co_ci_u32_e64 v19, null, s29, v19, vcc_lo
	v_add_co_u32 v24, vcc_lo, s28, v24
	s_wait_alu 0xfffd
	v_add_co_ci_u32_e64 v25, null, s29, v25, vcc_lo
	;; [unrolled: 3-line block ×3, first 2 shown]
	s_clause 0x5
	global_load_b32 v20, v[20:21], off
	global_load_b32 v21, v[16:17], off
	;; [unrolled: 1-line block ×6, first 2 shown]
	s_and_not1_b32 vcc_lo, exec_lo, s16
	s_wait_loadcnt 0x1f
	ds_store_b32 v55, v38
	s_wait_loadcnt 0x1e
	ds_store_b32 v55, v39 offset:144
	s_wait_loadcnt 0x1d
	ds_store_b32 v55, v40 offset:288
	;; [unrolled: 2-line block ×15, first 2 shown]
	ds_load_b128 v[32:35], v56
	ds_load_b128 v[28:31], v56 offset:32
	ds_load_b128 v[24:27], v56 offset:64
	;; [unrolled: 1-line block ×3, first 2 shown]
	s_wait_loadcnt 0xf
	ds_store_b32 v55, v64
	s_wait_loadcnt 0xe
	ds_store_b32 v55, v65 offset:144
	s_wait_loadcnt 0xd
	ds_store_b32 v55, v66 offset:288
	;; [unrolled: 2-line block ×15, first 2 shown]
	ds_load_b128 v[44:47], v56
	ds_load_b128 v[40:43], v56 offset:32
	ds_load_b128 v[36:39], v56 offset:64
	;; [unrolled: 1-line block ×3, first 2 shown]
	v_dual_mov_b32 v59, 0 :: v_dual_mov_b32 v58, 0
	s_wait_alu 0xfffe
	s_cbranch_vccnz .LBB30_9
; %bb.7:                                ;   in Loop: Header=BB30_6 Depth=1
	s_load_b32 s2, s[30:31], 0x0
	v_dual_mov_b32 v58, 0 :: v_dual_mov_b32 v59, 0
	s_wait_kmcnt 0x0
	s_mul_u64 s[70:71], s[2:3], s[34:35]
	s_wait_alu 0xfffe
	s_add_co_i32 s70, s2, s71
	s_wait_alu 0xfffe
	s_lshr_b32 s70, s70, s9
	s_wait_alu 0xfffe
	s_cmp_ge_i32 s70, s5
	s_cbranch_scc1 .LBB30_9
; %bb.8:                                ;   in Loop: Header=BB30_6 Depth=1
	v_mad_co_u64_u32 v[58:59], null, s70, s20, v[48:49]
	s_mul_i32 s70, s70, s10
	s_wait_alu 0xfffe
	s_sub_co_i32 s2, s2, s70
	s_wait_alu 0xfffe
	s_mul_i32 s2, s2, s17
	s_wait_alu 0xfffe
	v_lshl_add_u32 v58, v58, 1, s2
	s_delay_alu instid0(VALU_DEP_1) | instskip(NEXT) | instid1(VALU_DEP_1)
	v_ashrrev_i32_e32 v59, 31, v58
	v_lshlrev_b64_e32 v[58:59], 2, v[58:59]
	s_delay_alu instid0(VALU_DEP_1) | instskip(SKIP_1) | instid1(VALU_DEP_2)
	v_add_co_u32 v58, vcc_lo, s14, v58
	s_wait_alu 0xfffd
	v_add_co_ci_u32_e64 v59, null, s15, v59, vcc_lo
	global_load_b64 v[59:60], v[58:59], off
	s_wait_loadcnt 0x0
	v_cvt_f16_f32_e32 v59, v59
	v_cvt_f16_f32_e32 v58, v60
.LBB30_9:                               ;   in Loop: Header=BB30_6 Depth=1
	v_dual_mov_b32 v60, 0 :: v_dual_mov_b32 v61, 0
	v_mov_b32_e32 v62, 0
	s_and_not1_b32 vcc_lo, exec_lo, s38
	s_wait_alu 0xfffe
	s_cbranch_vccnz .LBB30_12
; %bb.10:                               ;   in Loop: Header=BB30_6 Depth=1
	s_load_b32 s2, s[30:31], 0x4
	v_dual_mov_b32 v61, 0 :: v_dual_mov_b32 v62, 0
	s_wait_kmcnt 0x0
	s_mul_u64 s[70:71], s[2:3], s[34:35]
	s_wait_alu 0xfffe
	s_add_co_i32 s70, s2, s71
	s_wait_alu 0xfffe
	s_lshr_b32 s70, s70, s9
	s_wait_alu 0xfffe
	s_cmp_ge_i32 s70, s5
	s_cbranch_scc1 .LBB30_12
; %bb.11:                               ;   in Loop: Header=BB30_6 Depth=1
	v_mad_co_u64_u32 v[61:62], null, s70, s20, v[48:49]
	s_mul_i32 s70, s70, s10
	s_wait_alu 0xfffe
	s_sub_co_i32 s2, s2, s70
	s_wait_alu 0xfffe
	s_mul_i32 s2, s2, s17
	s_wait_alu 0xfffe
	v_lshl_add_u32 v61, v61, 1, s2
	s_delay_alu instid0(VALU_DEP_1) | instskip(NEXT) | instid1(VALU_DEP_1)
	v_ashrrev_i32_e32 v62, 31, v61
	v_lshlrev_b64_e32 v[61:62], 2, v[61:62]
	s_delay_alu instid0(VALU_DEP_1) | instskip(SKIP_1) | instid1(VALU_DEP_2)
	v_add_co_u32 v61, vcc_lo, s14, v61
	s_wait_alu 0xfffd
	v_add_co_ci_u32_e64 v62, null, s15, v62, vcc_lo
	global_load_b64 v[62:63], v[61:62], off
	s_wait_loadcnt 0x0
	v_cvt_f16_f32_e32 v62, v62
	v_cvt_f16_f32_e32 v61, v63
.LBB30_12:                              ;   in Loop: Header=BB30_6 Depth=1
	v_mov_b32_e32 v63, 0
	s_and_not1_b32 vcc_lo, exec_lo, s39
	s_wait_alu 0xfffe
	s_cbranch_vccnz .LBB30_15
; %bb.13:                               ;   in Loop: Header=BB30_6 Depth=1
	s_load_b32 s2, s[30:31], 0x8
	v_dual_mov_b32 v63, 0 :: v_dual_mov_b32 v60, 0
	s_wait_kmcnt 0x0
	s_mul_u64 s[70:71], s[2:3], s[34:35]
	s_wait_alu 0xfffe
	s_add_co_i32 s70, s2, s71
	s_wait_alu 0xfffe
	s_lshr_b32 s70, s70, s9
	s_wait_alu 0xfffe
	s_cmp_ge_i32 s70, s5
	s_cbranch_scc1 .LBB30_15
; %bb.14:                               ;   in Loop: Header=BB30_6 Depth=1
	v_mad_co_u64_u32 v[63:64], null, s70, s20, v[48:49]
	s_mul_i32 s70, s70, s10
	s_wait_alu 0xfffe
	s_sub_co_i32 s2, s2, s70
	s_wait_alu 0xfffe
	s_mul_i32 s2, s2, s17
	s_wait_alu 0xfffe
	v_lshl_add_u32 v63, v63, 1, s2
	s_delay_alu instid0(VALU_DEP_1) | instskip(NEXT) | instid1(VALU_DEP_1)
	v_ashrrev_i32_e32 v64, 31, v63
	v_lshlrev_b64_e32 v[63:64], 2, v[63:64]
	s_delay_alu instid0(VALU_DEP_1) | instskip(SKIP_1) | instid1(VALU_DEP_2)
	v_add_co_u32 v63, vcc_lo, s14, v63
	s_wait_alu 0xfffd
	v_add_co_ci_u32_e64 v64, null, s15, v64, vcc_lo
	global_load_b64 v[63:64], v[63:64], off
	s_wait_loadcnt 0x0
	v_cvt_f16_f32_e32 v60, v63
	v_cvt_f16_f32_e32 v63, v64
.LBB30_15:                              ;   in Loop: Header=BB30_6 Depth=1
	v_dual_mov_b32 v64, 0 :: v_dual_mov_b32 v65, 0
	s_and_not1_b32 vcc_lo, exec_lo, s8
	s_wait_alu 0xfffe
	s_cbranch_vccnz .LBB30_5
; %bb.16:                               ;   in Loop: Header=BB30_6 Depth=1
	s_load_b32 s2, s[30:31], 0xc
	v_dual_mov_b32 v65, 0 :: v_dual_mov_b32 v64, 0
	s_wait_kmcnt 0x0
	s_mul_u64 s[70:71], s[2:3], s[34:35]
	s_wait_alu 0xfffe
	s_add_co_i32 s70, s2, s71
	s_wait_alu 0xfffe
	s_lshr_b32 s70, s70, s9
	s_wait_alu 0xfffe
	s_cmp_ge_i32 s70, s5
	s_cbranch_scc1 .LBB30_5
; %bb.17:                               ;   in Loop: Header=BB30_6 Depth=1
	v_mad_co_u64_u32 v[64:65], null, s70, s20, v[48:49]
	s_mul_i32 s70, s70, s10
	s_wait_alu 0xfffe
	s_sub_co_i32 s2, s2, s70
	s_wait_alu 0xfffe
	s_mul_i32 s2, s2, s17
	s_wait_alu 0xfffe
	v_lshl_add_u32 v64, v64, 1, s2
	s_delay_alu instid0(VALU_DEP_1) | instskip(NEXT) | instid1(VALU_DEP_1)
	v_ashrrev_i32_e32 v65, 31, v64
	v_lshlrev_b64_e32 v[64:65], 2, v[64:65]
	s_delay_alu instid0(VALU_DEP_1) | instskip(SKIP_1) | instid1(VALU_DEP_2)
	v_add_co_u32 v64, vcc_lo, s14, v64
	s_wait_alu 0xfffd
	v_add_co_ci_u32_e64 v65, null, s15, v65, vcc_lo
	global_load_b64 v[64:65], v[64:65], off
	s_wait_loadcnt 0x0
	v_cvt_f16_f32_e32 v64, v64
	v_cvt_f16_f32_e32 v65, v65
	s_branch .LBB30_5
.LBB30_18:
	s_or_b32 exec_lo, exec_lo, s69
.LBB30_19:
	s_delay_alu instid0(SALU_CYCLE_1) | instskip(SKIP_4) | instid1(VALU_DEP_3)
	s_or_b32 exec_lo, exec_lo, s37
	v_lshlrev_b32_e32 v16, 1, v52
	s_load_b64 s[0:1], s[0:1], 0x18
	v_lshl_add_u32 v17, v53, 2, 0
	v_mul_u32_u24_e32 v18, 0x110, v54
	v_and_b32_e32 v16, 0x7e0, v16
	s_barrier_signal -1
	s_barrier_wait -1
	global_inv scope:SCOPE_SE
	s_lshl_b64 s[2:3], s[26:27], 2
	v_add3_u32 v16, v17, v18, v16
	s_cmp_gt_i32 s6, 0
	ds_store_2addr_b32 v16, v8, v9 offset1:1
	ds_store_2addr_b32 v16, v10, v11 offset0:2 offset1:3
	ds_store_2addr_b32 v16, v12, v13 offset0:4 offset1:5
	ds_store_2addr_b32 v16, v14, v15 offset0:6 offset1:7
	ds_store_2addr_b32 v16, v0, v1 offset0:16 offset1:17
	ds_store_2addr_b32 v16, v2, v3 offset0:18 offset1:19
	ds_store_2addr_b32 v16, v4, v5 offset0:20 offset1:21
	ds_store_2addr_b32 v16, v6, v7 offset0:22 offset1:23
	v_add_nc_u32_e32 v0, s33, v51
	v_lshl_add_u32 v3, v52, 2, 0
	v_add_nc_u32_e32 v2, s36, v52
	v_mul_u32_u24_e32 v4, 0x110, v51
	s_wait_loadcnt_dscnt 0x0
	v_cmp_gt_i32_e32 vcc_lo, s19, v0
	s_wait_kmcnt 0x0
	s_wait_alu 0xfffe
	s_add_nc_u64 s[2:3], s[0:1], s[2:3]
	v_cmp_gt_u32_e64 s0, 4, v51
	s_cselect_b32 s1, -1, 0
	s_barrier_signal -1
	s_and_b32 s4, s1, vcc_lo
	s_barrier_wait -1
	s_wait_alu 0xfffe
	s_and_b32 s4, s0, s4
	global_inv scope:SCOPE_SE
	s_wait_alu 0xfffe
	s_and_saveexec_b32 s0, s4
	s_cbranch_execz .LBB30_22
; %bb.20:
	v_ashrrev_i32_e32 v1, 31, v0
	s_delay_alu instid0(VALU_DEP_1) | instskip(NEXT) | instid1(VALU_DEP_1)
	v_lshlrev_b64_e32 v[5:6], 2, v[0:1]
	v_add_co_u32 v5, vcc_lo, s2, v5
	s_wait_alu 0xfffd
	s_delay_alu instid0(VALU_DEP_2) | instskip(SKIP_3) | instid1(VALU_DEP_1)
	v_add_co_ci_u32_e64 v6, null, s3, v6, vcc_lo
	global_load_b32 v1, v[5:6], off
	s_wait_loadcnt 0x0
	v_mul_hi_u32 v5, v1, s11
	v_add_nc_u32_e32 v5, v1, v5
	s_delay_alu instid0(VALU_DEP_1) | instskip(NEXT) | instid1(VALU_DEP_1)
	v_lshrrev_b32_e32 v5, s22, v5
	v_cmp_gt_i32_e32 vcc_lo, s5, v5
	s_and_b32 exec_lo, exec_lo, vcc_lo
	s_cbranch_execz .LBB30_22
; %bb.21:
	v_mul_lo_u32 v8, v5, s23
	v_dual_mov_b32 v9, 0 :: v_dual_add_nc_u32 v6, v3, v4
	v_mul_lo_u32 v5, v5, s21
	ds_load_2addr_b32 v[6:7], v6 offset1:32
	v_sub_nc_u32_e32 v1, v1, v8
	s_delay_alu instid0(VALU_DEP_1) | instskip(NEXT) | instid1(VALU_DEP_1)
	v_mul_lo_u32 v1, v1, s18
	v_add3_u32 v8, v2, v5, v1
	s_wait_dscnt 0x0
	v_add_f32_e32 v1, 0, v6
	s_delay_alu instid0(VALU_DEP_2) | instskip(NEXT) | instid1(VALU_DEP_2)
	v_lshlrev_b64_e32 v[5:6], 2, v[8:9]
	v_add_f32_e32 v1, v1, v7
	s_delay_alu instid0(VALU_DEP_2) | instskip(SKIP_1) | instid1(VALU_DEP_3)
	v_add_co_u32 v5, vcc_lo, s24, v5
	s_wait_alu 0xfffd
	v_add_co_ci_u32_e64 v6, null, s25, v6, vcc_lo
	global_store_b32 v[5:6], v1, off
.LBB30_22:
	s_or_b32 exec_lo, exec_lo, s0
	v_add_nc_u32_e32 v0, 2, v0
	v_cmp_gt_u32_e64 s0, 2, v51
	s_delay_alu instid0(VALU_DEP_2) | instskip(SKIP_1) | instid1(SALU_CYCLE_1)
	v_cmp_gt_i32_e32 vcc_lo, s19, v0
	s_and_b32 s1, s1, vcc_lo
	s_and_b32 s0, s0, s1
	s_delay_alu instid0(SALU_CYCLE_1)
	s_and_saveexec_b32 s1, s0
	s_cbranch_execz .LBB30_25
; %bb.23:
	v_add_lshl_u32 v0, v51, s33, 2
	global_load_b32 v0, v0, s[2:3] offset:8
	s_wait_loadcnt 0x0
	v_mul_hi_u32 v1, v0, s11
	s_delay_alu instid0(VALU_DEP_1) | instskip(NEXT) | instid1(VALU_DEP_1)
	v_add_nc_u32_e32 v1, v0, v1
	v_lshrrev_b32_e32 v1, s22, v1
	s_delay_alu instid0(VALU_DEP_1)
	v_cmp_gt_i32_e32 vcc_lo, s5, v1
	s_and_b32 exec_lo, exec_lo, vcc_lo
	s_cbranch_execz .LBB30_25
; %bb.24:
	v_mul_lo_u32 v5, v1, s23
	v_add_nc_u32_e32 v3, v4, v3
	ds_load_2addr_b32 v[3:4], v3 offset0:136 offset1:168
	v_sub_nc_u32_e32 v0, v0, v5
	v_mul_lo_u32 v5, v1, s21
	v_mov_b32_e32 v1, 0
	s_delay_alu instid0(VALU_DEP_3) | instskip(NEXT) | instid1(VALU_DEP_1)
	v_mul_lo_u32 v0, v0, s18
	v_add3_u32 v0, v2, v5, v0
	s_wait_dscnt 0x0
	v_add_f32_e32 v2, 0, v3
	s_delay_alu instid0(VALU_DEP_2) | instskip(NEXT) | instid1(VALU_DEP_2)
	v_lshlrev_b64_e32 v[0:1], 2, v[0:1]
	v_add_f32_e32 v2, v2, v4
	s_delay_alu instid0(VALU_DEP_2) | instskip(SKIP_1) | instid1(VALU_DEP_3)
	v_add_co_u32 v0, vcc_lo, s24, v0
	s_wait_alu 0xfffd
	v_add_co_ci_u32_e64 v1, null, s25, v1, vcc_lo
	global_store_b32 v[0:1], v2, off
.LBB30_25:
	s_endpgm
	.section	.rodata,"a",@progbits
	.p2align	6, 0x0
	.amdhsa_kernel _ZL13mul_mat_f_idsI7__half2Li32ELi4ELi2EEvPKT_PKfPKiS7_S7_Pfiiiiiiiiiiiiii15HIP_vector_typeIjLj3EESA_
		.amdhsa_group_segment_fixed_size 0
		.amdhsa_private_segment_fixed_size 0
		.amdhsa_kernarg_size 128
		.amdhsa_user_sgpr_count 2
		.amdhsa_user_sgpr_dispatch_ptr 0
		.amdhsa_user_sgpr_queue_ptr 0
		.amdhsa_user_sgpr_kernarg_segment_ptr 1
		.amdhsa_user_sgpr_dispatch_id 0
		.amdhsa_user_sgpr_private_segment_size 0
		.amdhsa_wavefront_size32 1
		.amdhsa_uses_dynamic_stack 0
		.amdhsa_enable_private_segment 0
		.amdhsa_system_sgpr_workgroup_id_x 1
		.amdhsa_system_sgpr_workgroup_id_y 1
		.amdhsa_system_sgpr_workgroup_id_z 1
		.amdhsa_system_sgpr_workgroup_info 0
		.amdhsa_system_vgpr_workitem_id 1
		.amdhsa_next_free_vgpr 74
		.amdhsa_next_free_sgpr 74
		.amdhsa_reserve_vcc 1
		.amdhsa_float_round_mode_32 0
		.amdhsa_float_round_mode_16_64 0
		.amdhsa_float_denorm_mode_32 3
		.amdhsa_float_denorm_mode_16_64 3
		.amdhsa_fp16_overflow 0
		.amdhsa_workgroup_processor_mode 1
		.amdhsa_memory_ordered 1
		.amdhsa_forward_progress 1
		.amdhsa_inst_pref_size 34
		.amdhsa_round_robin_scheduling 0
		.amdhsa_exception_fp_ieee_invalid_op 0
		.amdhsa_exception_fp_denorm_src 0
		.amdhsa_exception_fp_ieee_div_zero 0
		.amdhsa_exception_fp_ieee_overflow 0
		.amdhsa_exception_fp_ieee_underflow 0
		.amdhsa_exception_fp_ieee_inexact 0
		.amdhsa_exception_int_div_zero 0
	.end_amdhsa_kernel
	.section	.text._ZL13mul_mat_f_idsI7__half2Li32ELi4ELi2EEvPKT_PKfPKiS7_S7_Pfiiiiiiiiiiiiii15HIP_vector_typeIjLj3EESA_,"axG",@progbits,_ZL13mul_mat_f_idsI7__half2Li32ELi4ELi2EEvPKT_PKfPKiS7_S7_Pfiiiiiiiiiiiiii15HIP_vector_typeIjLj3EESA_,comdat
.Lfunc_end30:
	.size	_ZL13mul_mat_f_idsI7__half2Li32ELi4ELi2EEvPKT_PKfPKiS7_S7_Pfiiiiiiiiiiiiii15HIP_vector_typeIjLj3EESA_, .Lfunc_end30-_ZL13mul_mat_f_idsI7__half2Li32ELi4ELi2EEvPKT_PKfPKiS7_S7_Pfiiiiiiiiiiiiii15HIP_vector_typeIjLj3EESA_
                                        ; -- End function
	.set _ZL13mul_mat_f_idsI7__half2Li32ELi4ELi2EEvPKT_PKfPKiS7_S7_Pfiiiiiiiiiiiiii15HIP_vector_typeIjLj3EESA_.num_vgpr, 74
	.set _ZL13mul_mat_f_idsI7__half2Li32ELi4ELi2EEvPKT_PKfPKiS7_S7_Pfiiiiiiiiiiiiii15HIP_vector_typeIjLj3EESA_.num_agpr, 0
	.set _ZL13mul_mat_f_idsI7__half2Li32ELi4ELi2EEvPKT_PKfPKiS7_S7_Pfiiiiiiiiiiiiii15HIP_vector_typeIjLj3EESA_.numbered_sgpr, 74
	.set _ZL13mul_mat_f_idsI7__half2Li32ELi4ELi2EEvPKT_PKfPKiS7_S7_Pfiiiiiiiiiiiiii15HIP_vector_typeIjLj3EESA_.num_named_barrier, 0
	.set _ZL13mul_mat_f_idsI7__half2Li32ELi4ELi2EEvPKT_PKfPKiS7_S7_Pfiiiiiiiiiiiiii15HIP_vector_typeIjLj3EESA_.private_seg_size, 0
	.set _ZL13mul_mat_f_idsI7__half2Li32ELi4ELi2EEvPKT_PKfPKiS7_S7_Pfiiiiiiiiiiiiii15HIP_vector_typeIjLj3EESA_.uses_vcc, 1
	.set _ZL13mul_mat_f_idsI7__half2Li32ELi4ELi2EEvPKT_PKfPKiS7_S7_Pfiiiiiiiiiiiiii15HIP_vector_typeIjLj3EESA_.uses_flat_scratch, 0
	.set _ZL13mul_mat_f_idsI7__half2Li32ELi4ELi2EEvPKT_PKfPKiS7_S7_Pfiiiiiiiiiiiiii15HIP_vector_typeIjLj3EESA_.has_dyn_sized_stack, 0
	.set _ZL13mul_mat_f_idsI7__half2Li32ELi4ELi2EEvPKT_PKfPKiS7_S7_Pfiiiiiiiiiiiiii15HIP_vector_typeIjLj3EESA_.has_recursion, 0
	.set _ZL13mul_mat_f_idsI7__half2Li32ELi4ELi2EEvPKT_PKfPKiS7_S7_Pfiiiiiiiiiiiiii15HIP_vector_typeIjLj3EESA_.has_indirect_call, 0
	.section	.AMDGPU.csdata,"",@progbits
; Kernel info:
; codeLenInByte = 4236
; TotalNumSgprs: 76
; NumVgprs: 74
; ScratchSize: 0
; MemoryBound: 0
; FloatMode: 240
; IeeeMode: 1
; LDSByteSize: 0 bytes/workgroup (compile time only)
; SGPRBlocks: 0
; VGPRBlocks: 9
; NumSGPRsForWavesPerEU: 76
; NumVGPRsForWavesPerEU: 74
; Occupancy: 16
; WaveLimiterHint : 1
; COMPUTE_PGM_RSRC2:SCRATCH_EN: 0
; COMPUTE_PGM_RSRC2:USER_SGPR: 2
; COMPUTE_PGM_RSRC2:TRAP_HANDLER: 0
; COMPUTE_PGM_RSRC2:TGID_X_EN: 1
; COMPUTE_PGM_RSRC2:TGID_Y_EN: 1
; COMPUTE_PGM_RSRC2:TGID_Z_EN: 1
; COMPUTE_PGM_RSRC2:TIDIG_COMP_CNT: 1
	.section	.text._ZL9mul_mat_fI7__half2Li32ELi4ELi2ELb1EEvPKT_PKfPKiPfiiiiiiiiiiiiiiii,"axG",@progbits,_ZL9mul_mat_fI7__half2Li32ELi4ELi2ELb1EEvPKT_PKfPKiPfiiiiiiiiiiiiiiii,comdat
	.globl	_ZL9mul_mat_fI7__half2Li32ELi4ELi2ELb1EEvPKT_PKfPKiPfiiiiiiiiiiiiiiii ; -- Begin function _ZL9mul_mat_fI7__half2Li32ELi4ELi2ELb1EEvPKT_PKfPKiPfiiiiiiiiiiiiiiii
	.p2align	8
	.type	_ZL9mul_mat_fI7__half2Li32ELi4ELi2ELb1EEvPKT_PKfPKiPfiiiiiiiiiiiiiiii,@function
_ZL9mul_mat_fI7__half2Li32ELi4ELi2ELb1EEvPKT_PKfPKiPfiiiiiiiiiiiiiiii: ; @_ZL9mul_mat_fI7__half2Li32ELi4ELi2ELb1EEvPKT_PKfPKiPfiiiiiiiiiiiiiiii
; %bb.0:
	s_clause 0x1
	s_load_b256 s[8:15], s[0:1], 0x20
	s_load_b128 s[16:19], s[0:1], 0x44
	v_and_b32_e32 v48, 0x3ff, v0
	s_mov_b32 s29, 0
	v_bfe_u32 v55, v0, 10, 10
	s_delay_alu instid0(VALU_DEP_2) | instskip(SKIP_2) | instid1(SALU_CYCLE_1)
	v_cmp_eq_u32_e32 vcc_lo, 0, v48
	s_wait_kmcnt 0x0
	s_add_co_i32 s2, s9, 3
	s_ashr_i32 s3, s2, 31
	s_delay_alu instid0(SALU_CYCLE_1) | instskip(NEXT) | instid1(SALU_CYCLE_1)
	s_lshr_b32 s3, s3, 30
	s_add_co_i32 s2, s2, s3
	s_delay_alu instid0(SALU_CYCLE_1) | instskip(NEXT) | instid1(SALU_CYCLE_1)
	s_ashr_i32 s2, s2, 2
	s_cvt_f32_u32 s3, s2
	s_sub_co_i32 s5, 0, s2
	s_delay_alu instid0(SALU_CYCLE_2) | instskip(SKIP_1) | instid1(TRANS32_DEP_1)
	v_rcp_iflag_f32_e32 v1, s3
	s_load_b32 s3, s[0:1], 0x64
	v_readfirstlane_b32 s4, v1
	s_mul_f32 s4, s4, 0x4f7ffffe
	s_delay_alu instid0(SALU_CYCLE_3) | instskip(NEXT) | instid1(SALU_CYCLE_3)
	s_cvt_u32_f32 s4, s4
	s_mul_i32 s5, s5, s4
	s_delay_alu instid0(SALU_CYCLE_1) | instskip(NEXT) | instid1(SALU_CYCLE_1)
	s_mul_hi_u32 s5, s4, s5
	s_add_co_i32 s4, s4, s5
	s_wait_kmcnt 0x0
	s_mul_hi_u32 s4, s3, s4
	s_delay_alu instid0(SALU_CYCLE_1) | instskip(NEXT) | instid1(SALU_CYCLE_1)
	s_mul_i32 s5, s4, s2
	s_sub_co_i32 s3, s3, s5
	s_add_co_i32 s5, s4, 1
	s_wait_alu 0xfffe
	s_sub_co_i32 s6, s3, s2
	s_cmp_ge_u32 s3, s2
	s_cselect_b32 s4, s5, s4
	s_cselect_b32 s3, s6, s3
	s_add_co_i32 s5, s4, 1
	s_wait_alu 0xfffe
	s_cmp_ge_u32 s3, s2
	s_load_b64 s[6:7], s[0:1], 0x10
	s_cselect_b32 s4, s5, s4
	s_abs_i32 s33, s19
	s_cvt_f32_u32 s2, s4
	s_sub_co_i32 s5, 0, s4
	s_and_b32 s28, ttmp7, 0xffff
	s_wait_alu 0xfffe
	v_rcp_iflag_f32_e32 v1, s2
	s_cvt_f32_u32 s2, s33
	s_delay_alu instid0(TRANS32_DEP_1) | instskip(SKIP_1) | instid1(SALU_CYCLE_1)
	v_readfirstlane_b32 s3, v1
	s_wait_alu 0xfffe
	v_rcp_iflag_f32_e32 v1, s2
	s_mul_f32 s2, s3, 0x4f7ffffe
	s_mov_b32 s3, s29
	s_wait_alu 0xfffe
	s_delay_alu instid0(SALU_CYCLE_1) | instskip(NEXT) | instid1(TRANS32_DEP_1)
	s_cvt_u32_f32 s2, s2
	v_readfirstlane_b32 s20, v1
	s_wait_alu 0xfffe
	s_delay_alu instid0(SALU_CYCLE_1) | instskip(NEXT) | instid1(SALU_CYCLE_1)
	s_mul_i32 s5, s5, s2
	s_mul_hi_u32 s5, s2, s5
	s_mul_f32 s20, s20, 0x4f7ffffe
	s_add_co_i32 s2, s2, s5
	s_wait_alu 0xfffe
	s_mul_u64 s[2:3], s[28:29], s[2:3]
	s_cvt_u32_f32 s23, s20
	s_sub_co_i32 s20, 0, s33
	s_and_saveexec_b32 s2, vcc_lo
; %bb.1:
	v_lshl_add_u32 v1, v55, 2, 0x100
	v_mov_b32_e32 v2, -1
	ds_store_b32 v1, v2
; %bb.2:
	s_wait_alu 0xfffe
	s_or_b32 exec_lo, exec_lo, s2
	s_mul_i32 s2, s3, s4
	s_add_co_i32 s5, s3, 1
	s_wait_alu 0xfffe
	s_sub_co_i32 s2, s28, s2
	v_mov_b32_e32 v3, 0
	s_wait_alu 0xfffe
	s_sub_co_i32 s21, s2, s4
	s_cmp_ge_u32 s2, s4
	s_mul_i32 s20, s20, s23
	s_cselect_b32 s3, s5, s3
	s_cselect_b32 s2, s21, s2
	s_wait_alu 0xfffe
	s_add_co_i32 s5, s3, 1
	s_cmp_ge_u32 s2, s4
	s_mov_b32 s2, s15
	s_cselect_b32 s5, s5, s3
	s_ashr_i32 s3, s15, 31
	s_lshl_b32 s24, s5, 2
	s_mul_i32 s5, s5, s4
	v_add_nc_u32_e32 v1, s24, v55
	s_ashr_i32 s25, s24, 31
	v_cmp_gt_i32_e64 s4, s10, v48
	s_wait_alu 0xfffe
	s_mul_u64 s[26:27], s[24:25], s[2:3]
	s_sub_co_i32 s36, s28, s5
	v_cmp_gt_i32_e64 s2, s9, v1
	s_lshl_b64 s[26:27], s[26:27], 2
	s_wait_kmcnt 0x0
	s_add_nc_u64 s[6:7], s[6:7], s[26:27]
	s_and_saveexec_b32 s21, s2
	s_cbranch_execz .LBB31_10
; %bb.3:
	v_mov_b32_e32 v3, 0
	s_and_saveexec_b32 s22, s4
	s_cbranch_execz .LBB31_9
; %bb.4:
	v_mul_lo_u32 v1, v55, s15
	v_lshl_add_u32 v4, v55, 2, 0x100
	v_mov_b32_e32 v3, 0
	v_mov_b32_e32 v7, v48
	s_lshl_b32 s27, s14, 5
	s_mov_b32 s26, 0
	s_delay_alu instid0(VALU_DEP_4) | instskip(NEXT) | instid1(VALU_DEP_1)
	v_ashrrev_i32_e32 v2, 31, v1
	v_lshlrev_b64_e32 v[5:6], 2, v[1:2]
	v_mul_lo_u32 v1, v48, s14
	s_delay_alu instid0(VALU_DEP_2) | instskip(SKIP_1) | instid1(VALU_DEP_3)
	v_add_co_u32 v5, s3, s6, v5
	s_wait_alu 0xf1ff
	v_add_co_ci_u32_e64 v6, null, s7, v6, s3
	s_branch .LBB31_6
.LBB31_5:                               ;   in Loop: Header=BB31_6 Depth=1
	s_or_b32 exec_lo, exec_lo, s28
	v_add_nc_u32_e32 v7, 32, v7
	s_xor_b32 s3, s3, -1
	v_add_nc_u32_e32 v1, s27, v1
	s_delay_alu instid0(VALU_DEP_2)
	v_cmp_le_i32_e64 s5, s10, v7
	s_wait_alu 0xfffe
	s_or_b32 s3, s3, s5
	s_wait_alu 0xfffe
	s_and_b32 s3, exec_lo, s3
	s_wait_alu 0xfffe
	s_or_b32 s26, s3, s26
	s_wait_alu 0xfffe
	s_and_not1_b32 exec_lo, exec_lo, s26
	s_cbranch_execz .LBB31_8
.LBB31_6:                               ; =>This Inner Loop Header: Depth=1
	s_delay_alu instid0(VALU_DEP_3) | instskip(SKIP_1) | instid1(VALU_DEP_1)
	v_ashrrev_i32_e32 v2, 31, v1
	s_mov_b32 s28, exec_lo
	v_lshlrev_b64_e32 v[8:9], 2, v[1:2]
	s_delay_alu instid0(VALU_DEP_1) | instskip(SKIP_1) | instid1(VALU_DEP_2)
	v_add_co_u32 v8, s3, v5, v8
	s_wait_alu 0xf1ff
	v_add_co_ci_u32_e64 v9, null, v6, v9, s3
	global_load_b32 v2, v[8:9], off
	s_wait_loadcnt 0x0
	v_cmp_ne_u32_e64 s3, s36, v2
	v_cmpx_eq_u32_e64 s36, v2
	s_cbranch_execz .LBB31_5
; %bb.7:                                ;   in Loop: Header=BB31_6 Depth=1
	v_mov_b32_e32 v3, 1
	ds_store_b32 v4, v7
	s_branch .LBB31_5
.LBB31_8:
	s_or_b32 exec_lo, exec_lo, s26
.LBB31_9:
	s_delay_alu instid0(SALU_CYCLE_1)
	s_or_b32 exec_lo, exec_lo, s22
.LBB31_10:
	s_delay_alu instid0(SALU_CYCLE_1)
	s_or_b32 exec_lo, exec_lo, s21
	s_lshr_b32 s26, ttmp7, 16
	s_mul_hi_u32 s5, s23, s20
	s_and_saveexec_b32 s3, vcc_lo
; %bb.11:
	v_lshl_add_u32 v1, v55, 2, 0x100
	v_mov_b32_e32 v2, -1
	ds_store_b32 v1, v2 offset:8
; %bb.12:
	s_wait_alu 0xfffe
	s_or_b32 exec_lo, exec_lo, s3
	s_load_b96 s[20:22], s[0:1], 0x54
	v_add_nc_u32_e32 v56, 2, v55
	s_abs_i32 s28, s26
	s_add_co_i32 s30, s23, s5
	s_add_nc_u64 s[34:35], s[0:1], 0x60
	s_delay_alu instid0(VALU_DEP_1) | instskip(NEXT) | instid1(VALU_DEP_1)
	v_add_nc_u32_e32 v1, s24, v56
	v_cmp_gt_i32_e64 s3, s9, v1
	s_and_saveexec_b32 s5, s3
	s_cbranch_execz .LBB31_20
; %bb.13:
	s_and_saveexec_b32 s23, s4
	s_cbranch_execz .LBB31_19
; %bb.14:
	v_mul_lo_u32 v1, v56, s15
	v_lshl_add_u32 v4, v55, 2, 0x100
	v_mov_b32_e32 v7, v48
	s_delay_alu instid0(VALU_DEP_3) | instskip(NEXT) | instid1(VALU_DEP_1)
	v_ashrrev_i32_e32 v2, 31, v1
	v_lshlrev_b64_e32 v[5:6], 2, v[1:2]
	v_mul_lo_u32 v1, v48, s14
	s_delay_alu instid0(VALU_DEP_2) | instskip(NEXT) | instid1(VALU_DEP_1)
	v_add_co_u32 v5, vcc_lo, s6, v5
	v_add_co_ci_u32_e64 v6, null, s7, v6, vcc_lo
	s_lshl_b32 s7, s14, 5
	s_mov_b32 s6, 0
	s_branch .LBB31_16
.LBB31_15:                              ;   in Loop: Header=BB31_16 Depth=1
	s_wait_alu 0xfffe
	s_or_b32 exec_lo, exec_lo, s14
	v_add_nc_u32_e32 v7, 32, v7
	s_xor_b32 s14, vcc_lo, -1
	v_add_nc_u32_e32 v1, s7, v1
	s_delay_alu instid0(VALU_DEP_2) | instskip(SKIP_2) | instid1(SALU_CYCLE_1)
	v_cmp_le_i32_e64 s4, s10, v7
	s_wait_alu 0xfffe
	s_or_b32 s4, s14, s4
	s_and_b32 s4, exec_lo, s4
	s_delay_alu instid0(SALU_CYCLE_1)
	s_or_b32 s6, s4, s6
	s_wait_alu 0xfffe
	s_and_not1_b32 exec_lo, exec_lo, s6
	s_cbranch_execz .LBB31_18
.LBB31_16:                              ; =>This Inner Loop Header: Depth=1
	v_ashrrev_i32_e32 v2, 31, v1
	s_mov_b32 s14, exec_lo
	s_delay_alu instid0(VALU_DEP_1) | instskip(NEXT) | instid1(VALU_DEP_1)
	v_lshlrev_b64_e32 v[8:9], 2, v[1:2]
	v_add_co_u32 v8, vcc_lo, v5, v8
	s_wait_alu 0xfffd
	s_delay_alu instid0(VALU_DEP_2)
	v_add_co_ci_u32_e64 v9, null, v6, v9, vcc_lo
	global_load_b32 v2, v[8:9], off
	s_wait_loadcnt 0x0
	v_cmp_ne_u32_e32 vcc_lo, s36, v2
	v_cmpx_eq_u32_e64 s36, v2
	s_cbranch_execz .LBB31_15
; %bb.17:                               ;   in Loop: Header=BB31_16 Depth=1
	v_mov_b32_e32 v3, 1
	ds_store_b32 v4, v7 offset:8
	s_branch .LBB31_15
.LBB31_18:
	s_or_b32 exec_lo, exec_lo, s6
.LBB31_19:
	s_delay_alu instid0(SALU_CYCLE_1)
	s_or_b32 exec_lo, exec_lo, s23
.LBB31_20:
	s_delay_alu instid0(SALU_CYCLE_1) | instskip(SKIP_3) | instid1(VALU_DEP_1)
	s_or_b32 exec_lo, exec_lo, s5
	v_or_b32_dpp v1, v3, v3 row_shl:1 row_mask:0xf bank_mask:0xf bound_ctrl:1
	s_load_b64 s[6:7], s[34:35], 0xc
	s_mov_b32 s31, s29
	v_or_b32_dpp v1, v1, v1 row_shl:2 row_mask:0xf bank_mask:0xf bound_ctrl:1
	s_delay_alu instid0(VALU_DEP_1) | instskip(NEXT) | instid1(VALU_DEP_1)
	v_or_b32_dpp v1, v1, v1 row_shl:4 row_mask:0xf bank_mask:0xf bound_ctrl:1
	v_or_b32_dpp v1, v1, v1 row_shl:8 row_mask:0xf bank_mask:0xf bound_ctrl:1
	s_delay_alu instid0(VALU_DEP_1)
	v_mov_b32_dpp v1, v1 row_share:0 row_mask:0xf bank_mask:0xf bound_ctrl:1
	s_wait_kmcnt 0x0
	s_lshr_b32 s5, s6, 16
	s_and_b32 s4, s6, 0xffff
	s_and_b32 s7, s7, 0xffff
	s_mul_i32 s6, s5, s4
	v_permlanex16_b32 v2, v1, 0, 0 op_sel:[0,1]
	s_wait_alu 0xfffe
	s_bfe_i32 s6, s6, 0x180000
	s_wait_alu 0xfffe
	s_mul_i32 s6, s6, s7
	s_wait_alu 0xfffe
	s_add_co_i32 s6, s6, 31
	v_or_b32_e32 v2, v2, v1
	s_wait_alu 0xfffe
	s_and_not1_b32 s6, s6, 31
	s_wait_alu 0xfffe
	s_cmp_lg_u32 s6, 32
	s_cbranch_scc0 .LBB31_29
; %bb.21:
	v_bfe_u32 v0, v0, 20, 10
	s_delay_alu instid0(VALU_DEP_1) | instskip(NEXT) | instid1(VALU_DEP_1)
	v_mad_u32_u24 v0, v0, s5, v55
	v_mad_co_u64_u32 v[0:1], null, v0, s4, v[48:49]
	v_mbcnt_lo_u32_b32 v1, -1, 0
	s_mov_b32 s4, exec_lo
	s_delay_alu instid0(VALU_DEP_2) | instskip(NEXT) | instid1(VALU_DEP_1)
	v_lshrrev_b32_e32 v3, 5, v0
	v_or_b32_e32 v3, v1, v3
	s_delay_alu instid0(VALU_DEP_1)
	v_cmpx_eq_u32_e32 0, v3
; %bb.22:
	v_mov_b32_e32 v3, 0
	ds_store_b32 v3, v2
; %bb.23:
	s_wait_alu 0xfffe
	s_or_b32 exec_lo, exec_lo, s4
	v_cmp_eq_u32_e32 vcc_lo, 0, v1
	v_cmp_lt_u32_e64 s4, 31, v0
	s_mov_b32 s5, 0
	s_wait_dscnt 0x0
	s_barrier_signal -1
	s_barrier_wait -1
	s_and_b32 s6, s4, vcc_lo
	global_inv scope:SCOPE_SE
	s_wait_alu 0xfffe
	s_and_saveexec_b32 s4, s6
	s_cbranch_execz .LBB31_28
; %bb.24:
	s_mov_b32 s6, exec_lo
.LBB31_25:                              ; =>This Inner Loop Header: Depth=1
	s_wait_alu 0xfffe
	s_ctz_i32_b32 s7, s6
	s_wait_alu 0xfffe
	v_readlane_b32 s10, v2, s7
	s_lshl_b32 s7, 1, s7
	s_wait_alu 0xfffe
	s_and_not1_b32 s6, s6, s7
	s_or_b32 s5, s5, s10
	s_wait_alu 0xfffe
	s_cmp_lg_u32 s6, 0
	s_cbranch_scc1 .LBB31_25
; %bb.26:
	v_mbcnt_lo_u32_b32 v0, exec_lo, 0
	s_mov_b32 s6, exec_lo
	s_delay_alu instid0(VALU_DEP_1)
	v_cmpx_eq_u32_e32 0, v0
	s_wait_alu 0xfffe
	s_xor_b32 s6, exec_lo, s6
; %bb.27:
	v_dual_mov_b32 v0, 0 :: v_dual_mov_b32 v1, s5
	ds_or_b32 v0, v1
.LBB31_28:
	s_wait_alu 0xfffe
	s_or_b32 exec_lo, exec_lo, s4
	v_mov_b32_e32 v0, 0
	s_wait_loadcnt_dscnt 0x0
	s_barrier_signal -1
	s_barrier_wait -1
	global_inv scope:SCOPE_SE
	ds_load_b32 v2, v0
	s_wait_loadcnt_dscnt 0x0
	s_barrier_signal -1
	s_barrier_wait -1
	global_inv scope:SCOPE_SE
.LBB31_29:
	s_clause 0x1
	s_load_b128 s[4:7], s[0:1], 0x0
	s_load_b64 s[14:15], s[0:1], 0x18
	s_mul_u64 s[0:1], s[28:29], s[30:31]
	s_ashr_i32 s0, s19, 31
	s_mov_b32 s27, 0
	s_mov_b32 s10, exec_lo
	v_cmpx_ne_u32_e32 0, v2
	s_cbranch_execz .LBB31_60
; %bb.30:
	v_lshlrev_b32_e32 v57, 5, v55
	v_and_b32_e32 v58, 15, v48
	s_mov_b32 s10, exec_lo
	s_delay_alu instid0(VALU_DEP_2) | instskip(NEXT) | instid1(VALU_DEP_1)
	v_add_nc_u32_e32 v60, v57, v48
	v_cmpx_le_i32_e64 s8, v60
	s_wait_alu 0xfffe
	s_xor_b32 s10, exec_lo, s10
; %bb.31:
	v_and_b32_e32 v58, 15, v48
                                        ; implicit-def: $vgpr60
; %bb.32:
	s_wait_alu 0xfffe
	s_or_saveexec_b32 s23, s10
	v_mov_b32_e32 v15, 0
	v_lshlrev_b32_e32 v59, 1, v48
	s_lshl_b32 s19, ttmp9, 5
	s_delay_alu instid0(VALU_DEP_2)
	v_dual_mov_b32 v14, v15 :: v_dual_mov_b32 v13, v15
	v_dual_mov_b32 v12, v15 :: v_dual_mov_b32 v11, v15
	;; [unrolled: 1-line block ×7, first 2 shown]
	v_mov_b32_e32 v0, v15
	s_xor_b32 exec_lo, exec_lo, s23
	s_cbranch_execz .LBB31_52
; %bb.33:
	s_mul_i32 s10, s1, s33
	s_add_co_i32 s29, s1, 1
	s_wait_alu 0xfffe
	s_sub_co_i32 s10, s28, s10
	s_mul_i32 s30, s36, s16
	s_wait_alu 0xfffe
	s_sub_co_i32 s31, s10, s33
	s_cmp_ge_u32 s10, s33
	s_mov_b32 s28, s20
	s_cselect_b32 s1, s29, s1
	s_cselect_b32 s10, s31, s10
	s_add_co_i32 s16, s1, 1
	s_wait_alu 0xfffe
	s_cmp_ge_u32 s10, s33
	s_mul_i32 s34, s11, s19
	s_cselect_b32 s1, s16, s1
	s_ashr_i32 s29, s20, 31
	s_xor_b32 s1, s1, s0
	s_ashr_i32 s31, s30, 31
	s_sub_co_i32 s0, s1, s0
	s_mov_b32 s36, s21
	s_ashr_i32 s1, s0, 31
	s_mov_b32 s38, s12
	s_mul_u64 s[0:1], s[0:1], s[28:29]
	s_ashr_i32 s35, s34, 31
	s_lshl_b64 s[64:65], s[0:1], 2
	s_ashr_i32 s37, s21, 31
	s_ashr_i32 s39, s12, 31
	s_lshl_b64 s[62:63], s[30:31], 2
	s_wait_kmcnt 0x0
	s_add_nc_u64 s[0:1], s[4:5], s[64:65]
	s_lshl_b64 s[66:67], s[34:35], 2
	s_mul_u64 s[28:29], s[38:39], s[24:25]
	s_add_nc_u64 s[0:1], s[0:1], s[62:63]
	s_wait_alu 0xfffe
	s_mul_u64 s[30:31], s[36:37], s[26:27]
	s_add_nc_u64 s[20:21], s[0:1], s[66:67]
	s_lshl_b64 s[28:29], s[28:29], 3
	s_lshl_b64 s[0:1], s[30:31], 2
	s_movk_i32 s10, 0x900
	s_cmp_lt_i32 s24, s9
	s_wait_alu 0xfffe
	v_mad_u32_u24 v0, v55, s10, 0x100
	s_add_nc_u64 s[6:7], s[6:7], s[0:1]
	s_cselect_b32 s1, -1, 0
	s_or_b32 s0, s24, 1
	v_mul_u32_u24_e32 v1, 0x90, v58
	v_dual_mov_b32 v63, 0 :: v_dual_and_b32 v2, 0x3f0, v48
	s_cmp_lt_i32 s0, s9
	s_add_nc_u64 s[64:65], s[64:65], s[66:67]
	s_cselect_b32 s16, -1, 0
	s_or_b32 s0, s24, 2
	v_lshl_add_u32 v61, v48, 2, v0
	v_add3_u32 v62, v0, v1, v2
	v_dual_mov_b32 v1, v63 :: v_dual_lshlrev_b32 v0, 2, v60
	s_cmp_lt_i32 s0, s9
	s_add_nc_u64 s[62:63], s[64:65], s[62:63]
	s_wait_alu 0xfffe
	s_add_nc_u64 s[6:7], s[6:7], s[28:29]
	s_cselect_b32 s28, -1, 0
	s_or_b32 s0, s24, 3
	s_add_nc_u64 s[4:5], s[4:5], s[62:63]
	s_lshl_b32 s29, s12, 2
	s_cmp_lt_i32 s0, s9
	s_wait_alu 0xfffe
	v_add_co_u32 v50, s0, s4, v0
	v_lshl_add_u32 v49, v55, 6, v59
	v_add_co_ci_u32_e64 v51, null, s5, 0, s0
	v_dual_mov_b32 v64, 0x100 :: v_dual_mov_b32 v3, v63
	v_dual_mov_b32 v0, 0 :: v_dual_mov_b32 v5, v63
	;; [unrolled: 1-line block ×7, first 2 shown]
	v_mov_b32_e32 v12, v63
	v_mov_b32_e32 v14, v63
	s_cselect_b32 s9, -1, 0
	s_ashr_i32 s69, s11, 31
	s_mov_b32 s68, s11
	s_add_co_i32 s30, s11, s11
	s_mul_i32 s31, s11, 3
	s_lshl_b32 s33, s11, 2
	s_mul_i32 s34, s11, 5
	s_mul_i32 s35, s11, 6
	;; [unrolled: 1-line block ×3, first 2 shown]
	s_lshl_b32 s37, s11, 3
	s_mul_i32 s38, s11, 9
	s_mul_i32 s39, s11, 10
	;; [unrolled: 1-line block ×7, first 2 shown]
	s_lshl_b32 s45, s11, 4
	s_mul_i32 s46, s11, 17
	s_mul_i32 s47, s11, 18
	;; [unrolled: 1-line block ×15, first 2 shown]
	s_lshl_b64 s[10:11], s[68:69], 2
	s_mul_i32 s4, s12, 6
	s_lshl_b32 s12, s12, 1
	s_mov_b32 s5, 0
	s_branch .LBB31_36
.LBB31_34:                              ;   in Loop: Header=BB31_36 Depth=1
	v_mul_lo_u32 v52, v52, s17
	s_delay_alu instid0(VALU_DEP_1) | instskip(NEXT) | instid1(VALU_DEP_1)
	v_add3_u32 v52, v52, s4, v49
	v_ashrrev_i32_e32 v53, 31, v52
	s_delay_alu instid0(VALU_DEP_1) | instskip(NEXT) | instid1(VALU_DEP_1)
	v_lshlrev_b64_e32 v[52:53], 2, v[52:53]
	v_add_co_u32 v52, vcc_lo, s6, v52
	s_wait_alu 0xfffd
	s_delay_alu instid0(VALU_DEP_2)
	v_add_co_ci_u32_e64 v53, null, s7, v53, vcc_lo
	global_load_b64 v[52:53], v[52:53], off
.LBB31_35:                              ;   in Loop: Header=BB31_36 Depth=1
	s_wait_loadcnt 0x0
	s_delay_alu instid0(VALU_DEP_1) | instskip(NEXT) | instid1(VALU_DEP_2)
	v_cvt_f16_f32_e32 v52, v52
	v_cvt_f16_f32_e32 v53, v53
	v_add_nc_u32_e32 v54, 0x400, v61
	v_add_nc_u32_e32 v65, 0x600, v61
	ds_store_2addr_b32 v61, v63, v63 offset0:196 offset1:232
	v_add_nc_u32_e32 v60, 64, v60
	v_pack_b32_f16 v52, v52, v53
	ds_store_2addr_b32 v54, v63, v63 offset0:12 offset1:48
	ds_store_2addr_b32 v54, v63, v63 offset0:84 offset1:120
	ds_store_2addr_b32 v54, v63, v63 offset0:156 offset1:192
	ds_store_2addr_b32 v65, v63, v63 offset0:100 offset1:136
	ds_store_2addr_b32 v61, v52, v63 offset0:124 offset1:160
	ds_store_b32 v61, v63 offset:2224
	ds_load_b128 v[65:68], v62 offset:64
	ds_load_b128 v[69:72], v62 offset:96
	;; [unrolled: 1-line block ×4, first 2 shown]
	v_add_co_u32 v50, s0, 0x100, v50
	v_cmp_le_i32_e32 vcc_lo, s8, v60
	v_add_nc_u32_e32 v49, 0x80, v49
	s_wait_alu 0xf1ff
	v_add_co_ci_u32_e64 v51, null, 0, v51, s0
	s_or_b32 s5, vcc_lo, s5
	s_wait_dscnt 0x3
	v_wmma_f32_16x16x16_f16 v[8:15], v[32:35], v[65:68], v[8:15]
	v_wmma_f32_16x16x16_f16 v[0:7], v[44:47], v[65:68], v[0:7]
	s_wait_dscnt 0x2
	s_delay_alu instid0(VALU_DEP_2) | instskip(NEXT) | instid1(VALU_DEP_2)
	v_wmma_f32_16x16x16_f16 v[8:15], v[28:31], v[69:72], v[8:15]
	v_wmma_f32_16x16x16_f16 v[0:7], v[40:43], v[69:72], v[0:7]
	s_wait_dscnt 0x1
	s_delay_alu instid0(VALU_DEP_2) | instskip(NEXT) | instid1(VALU_DEP_2)
	;; [unrolled: 4-line block ×3, first 2 shown]
	v_wmma_f32_16x16x16_f16 v[8:15], v[16:19], v[77:80], v[8:15]
	v_wmma_f32_16x16x16_f16 v[0:7], v[20:23], v[77:80], v[0:7]
	s_wait_alu 0xfffe
	s_and_not1_b32 exec_lo, exec_lo, s5
	s_cbranch_execz .LBB31_51
.LBB31_36:                              ; =>This Inner Loop Header: Depth=1
	v_add_nc_u32_e32 v22, s33, v60
	v_add_nc_u32_e32 v16, s30, v60
	s_wait_alu 0xfffe
	v_add_co_u32 v20, vcc_lo, v50, s10
	v_add_nc_u32_e32 v18, s31, v60
	s_wait_alu 0xfffd
	v_add_co_ci_u32_e64 v21, null, s11, v51, vcc_lo
	v_ashrrev_i32_e32 v23, 31, v22
	v_ashrrev_i32_e32 v17, 31, v16
	v_add_nc_u32_e32 v24, s34, v60
	v_ashrrev_i32_e32 v19, 31, v18
	s_clause 0x1
	global_load_b32 v38, v[50:51], off
	global_load_b32 v39, v[20:21], off
	v_lshlrev_b64_e32 v[20:21], 2, v[22:23]
	v_add_nc_u32_e32 v22, s35, v60
	v_lshlrev_b64_e32 v[16:17], 2, v[16:17]
	v_add_nc_u32_e32 v26, s36, v60
	v_ashrrev_i32_e32 v25, 31, v24
	v_lshlrev_b64_e32 v[18:19], 2, v[18:19]
	v_add_nc_u32_e32 v28, s37, v60
	v_ashrrev_i32_e32 v23, 31, v22
	v_add_nc_u32_e32 v30, s38, v60
	v_ashrrev_i32_e32 v27, 31, v26
	v_add_co_u32 v16, vcc_lo, s20, v16
	v_lshlrev_b64_e32 v[24:25], 2, v[24:25]
	v_ashrrev_i32_e32 v29, 31, v28
	s_wait_alu 0xfffd
	v_add_co_ci_u32_e64 v17, null, s21, v17, vcc_lo
	v_add_co_u32 v18, vcc_lo, s20, v18
	v_lshlrev_b64_e32 v[22:23], 2, v[22:23]
	v_ashrrev_i32_e32 v31, 31, v30
	s_wait_alu 0xfffd
	v_add_co_ci_u32_e64 v19, null, s21, v19, vcc_lo
	v_add_co_u32 v20, vcc_lo, s20, v20
	v_lshlrev_b64_e32 v[26:27], 2, v[26:27]
	s_wait_alu 0xfffd
	v_add_co_ci_u32_e64 v21, null, s21, v21, vcc_lo
	v_add_co_u32 v24, vcc_lo, s20, v24
	v_lshlrev_b64_e32 v[28:29], 2, v[28:29]
	;; [unrolled: 4-line block ×3, first 2 shown]
	s_wait_alu 0xfffd
	v_add_co_ci_u32_e64 v23, null, s21, v23, vcc_lo
	v_add_co_u32 v26, vcc_lo, s20, v26
	v_add_nc_u32_e32 v32, s39, v60
	s_wait_alu 0xfffd
	v_add_co_ci_u32_e64 v27, null, s21, v27, vcc_lo
	v_add_co_u32 v28, vcc_lo, s20, v28
	v_add_nc_u32_e32 v34, s40, v60
	;; [unrolled: 4-line block ×3, first 2 shown]
	v_ashrrev_i32_e32 v33, 31, v32
	s_wait_alu 0xfffd
	v_add_co_ci_u32_e64 v31, null, s21, v31, vcc_lo
	s_clause 0x7
	global_load_b32 v40, v[16:17], off
	global_load_b32 v41, v[18:19], off
	;; [unrolled: 1-line block ×8, first 2 shown]
	v_add_nc_u32_e32 v18, s42, v60
	v_ashrrev_i32_e32 v35, 31, v34
	v_add_nc_u32_e32 v24, s43, v60
	v_ashrrev_i32_e32 v37, 31, v36
	v_lshlrev_b64_e32 v[32:33], 2, v[32:33]
	v_add_nc_u32_e32 v26, s44, v60
	v_ashrrev_i32_e32 v19, 31, v18
	v_lshlrev_b64_e32 v[16:17], 2, v[34:35]
	;; [unrolled: 3-line block ×3, first 2 shown]
	v_add_nc_u32_e32 v30, s46, v60
	v_ashrrev_i32_e32 v27, 31, v26
	v_add_co_u32 v20, vcc_lo, s20, v32
	v_lshlrev_b64_e32 v[18:19], 2, v[18:19]
	v_ashrrev_i32_e32 v29, 31, v28
	s_wait_alu 0xfffd
	v_add_co_ci_u32_e64 v21, null, s21, v33, vcc_lo
	v_add_co_u32 v16, vcc_lo, s20, v16
	v_lshlrev_b64_e32 v[24:25], 2, v[24:25]
	v_ashrrev_i32_e32 v31, 31, v30
	s_wait_alu 0xfffd
	v_add_co_ci_u32_e64 v17, null, s21, v17, vcc_lo
	v_add_co_u32 v22, vcc_lo, s20, v22
	v_lshlrev_b64_e32 v[26:27], 2, v[26:27]
	s_wait_alu 0xfffd
	v_add_co_ci_u32_e64 v23, null, s21, v23, vcc_lo
	v_add_co_u32 v18, vcc_lo, s20, v18
	v_lshlrev_b64_e32 v[28:29], 2, v[28:29]
	;; [unrolled: 4-line block ×3, first 2 shown]
	s_wait_alu 0xfffd
	v_add_co_ci_u32_e64 v25, null, s21, v25, vcc_lo
	v_add_co_u32 v26, vcc_lo, s20, v26
	v_add_nc_u32_e32 v32, s47, v60
	s_wait_alu 0xfffd
	v_add_co_ci_u32_e64 v27, null, s21, v27, vcc_lo
	v_add_co_u32 v28, vcc_lo, s20, v28
	v_add_nc_u32_e32 v34, s48, v60
	;; [unrolled: 4-line block ×3, first 2 shown]
	v_ashrrev_i32_e32 v33, 31, v32
	s_wait_alu 0xfffd
	v_add_co_ci_u32_e64 v31, null, s21, v31, vcc_lo
	s_clause 0x7
	global_load_b32 v52, v[20:21], off
	global_load_b32 v53, v[16:17], off
	global_load_b32 v54, v[22:23], off
	global_load_b32 v65, v[18:19], off
	global_load_b32 v66, v[24:25], off
	global_load_b32 v67, v[26:27], off
	global_load_b32 v68, v[28:29], off
	global_load_b32 v69, v[30:31], off
	v_add_nc_u32_e32 v18, s50, v60
	v_ashrrev_i32_e32 v35, 31, v34
	v_add_nc_u32_e32 v24, s51, v60
	v_ashrrev_i32_e32 v37, 31, v36
	v_lshlrev_b64_e32 v[32:33], 2, v[32:33]
	v_add_nc_u32_e32 v26, s52, v60
	v_ashrrev_i32_e32 v19, 31, v18
	v_lshlrev_b64_e32 v[16:17], 2, v[34:35]
	;; [unrolled: 3-line block ×3, first 2 shown]
	v_add_nc_u32_e32 v30, s54, v60
	v_ashrrev_i32_e32 v27, 31, v26
	v_add_co_u32 v20, vcc_lo, s20, v32
	v_lshlrev_b64_e32 v[18:19], 2, v[18:19]
	v_ashrrev_i32_e32 v29, 31, v28
	s_wait_alu 0xfffd
	v_add_co_ci_u32_e64 v21, null, s21, v33, vcc_lo
	v_add_co_u32 v16, vcc_lo, s20, v16
	v_lshlrev_b64_e32 v[24:25], 2, v[24:25]
	v_ashrrev_i32_e32 v31, 31, v30
	s_wait_alu 0xfffd
	v_add_co_ci_u32_e64 v17, null, s21, v17, vcc_lo
	v_add_co_u32 v22, vcc_lo, s20, v22
	v_lshlrev_b64_e32 v[26:27], 2, v[26:27]
	s_wait_alu 0xfffd
	v_add_co_ci_u32_e64 v23, null, s21, v23, vcc_lo
	v_add_co_u32 v18, vcc_lo, s20, v18
	v_lshlrev_b64_e32 v[28:29], 2, v[28:29]
	;; [unrolled: 4-line block ×3, first 2 shown]
	s_wait_alu 0xfffd
	v_add_co_ci_u32_e64 v25, null, s21, v25, vcc_lo
	v_add_co_u32 v26, vcc_lo, s20, v26
	v_add_nc_u32_e32 v32, s55, v60
	s_wait_alu 0xfffd
	v_add_co_ci_u32_e64 v27, null, s21, v27, vcc_lo
	v_add_co_u32 v28, vcc_lo, s20, v28
	v_add_nc_u32_e32 v34, s56, v60
	;; [unrolled: 4-line block ×3, first 2 shown]
	v_ashrrev_i32_e32 v33, 31, v32
	s_wait_alu 0xfffd
	v_add_co_ci_u32_e64 v31, null, s21, v31, vcc_lo
	s_clause 0x7
	global_load_b32 v70, v[20:21], off
	global_load_b32 v71, v[16:17], off
	global_load_b32 v72, v[22:23], off
	global_load_b32 v73, v[18:19], off
	global_load_b32 v74, v[24:25], off
	global_load_b32 v75, v[26:27], off
	global_load_b32 v76, v[28:29], off
	global_load_b32 v77, v[30:31], off
	v_add_nc_u32_e32 v18, s58, v60
	v_ashrrev_i32_e32 v35, 31, v34
	v_add_nc_u32_e32 v24, s59, v60
	v_ashrrev_i32_e32 v37, 31, v36
	v_lshlrev_b64_e32 v[32:33], 2, v[32:33]
	v_add_nc_u32_e32 v26, s60, v60
	v_ashrrev_i32_e32 v19, 31, v18
	v_lshlrev_b64_e32 v[16:17], 2, v[34:35]
	v_ashrrev_i32_e32 v25, 31, v24
	v_lshlrev_b64_e32 v[22:23], 2, v[36:37]
	v_ashrrev_i32_e32 v27, 31, v26
	v_add_co_u32 v20, vcc_lo, s20, v32
	v_lshlrev_b64_e32 v[18:19], 2, v[18:19]
	s_wait_alu 0xfffd
	v_add_co_ci_u32_e64 v21, null, s21, v33, vcc_lo
	v_add_co_u32 v16, vcc_lo, s20, v16
	v_lshlrev_b64_e32 v[24:25], 2, v[24:25]
	s_wait_alu 0xfffd
	v_add_co_ci_u32_e64 v17, null, s21, v17, vcc_lo
	;; [unrolled: 4-line block ×3, first 2 shown]
	v_add_co_u32 v18, vcc_lo, s20, v18
	s_wait_alu 0xfffd
	v_add_co_ci_u32_e64 v19, null, s21, v19, vcc_lo
	v_add_co_u32 v24, vcc_lo, s20, v24
	s_wait_alu 0xfffd
	v_add_co_ci_u32_e64 v25, null, s21, v25, vcc_lo
	;; [unrolled: 3-line block ×3, first 2 shown]
	s_clause 0x5
	global_load_b32 v20, v[20:21], off
	global_load_b32 v21, v[16:17], off
	;; [unrolled: 1-line block ×6, first 2 shown]
	s_and_not1_b32 vcc_lo, exec_lo, s1
	s_wait_loadcnt 0x1f
	ds_store_b32 v61, v38 offset:64
	s_wait_loadcnt 0x1e
	ds_store_b32 v61, v39 offset:208
	;; [unrolled: 2-line block ×16, first 2 shown]
	ds_load_b128 v[32:35], v62 offset:64
	ds_load_b128 v[28:31], v62 offset:96
	;; [unrolled: 1-line block ×4, first 2 shown]
	s_wait_loadcnt 0xf
	ds_store_b32 v61, v68 offset:64
	s_wait_loadcnt 0xe
	ds_store_b32 v61, v69 offset:208
	;; [unrolled: 2-line block ×16, first 2 shown]
	ds_load_b128 v[44:47], v62 offset:64
	ds_load_b128 v[40:43], v62 offset:96
	;; [unrolled: 1-line block ×4, first 2 shown]
	v_dual_mov_b32 v52, 0 :: v_dual_mov_b32 v53, 0
	s_wait_alu 0xfffe
	s_cbranch_vccnz .LBB31_40
; %bb.37:                               ;   in Loop: Header=BB31_36 Depth=1
	ds_load_b32 v52, v64
	s_wait_dscnt 0x0
	v_cmp_gt_i32_e32 vcc_lo, 0, v52
	s_cbranch_vccnz .LBB31_39
; %bb.38:                               ;   in Loop: Header=BB31_36 Depth=1
	v_mad_co_u64_u32 v[52:53], null, v52, s17, v[49:50]
	s_delay_alu instid0(VALU_DEP_1) | instskip(NEXT) | instid1(VALU_DEP_1)
	v_ashrrev_i32_e32 v53, 31, v52
	v_lshlrev_b64_e32 v[52:53], 2, v[52:53]
	s_delay_alu instid0(VALU_DEP_1) | instskip(SKIP_1) | instid1(VALU_DEP_2)
	v_add_co_u32 v52, vcc_lo, s6, v52
	s_wait_alu 0xfffd
	v_add_co_ci_u32_e64 v53, null, s7, v53, vcc_lo
	global_load_b64 v[52:53], v[52:53], off
	s_branch .LBB31_40
.LBB31_39:                              ;   in Loop: Header=BB31_36 Depth=1
	v_dual_mov_b32 v52, 0 :: v_dual_mov_b32 v53, 0
.LBB31_40:                              ;   in Loop: Header=BB31_36 Depth=1
	s_wait_loadcnt 0x0
	s_delay_alu instid0(VALU_DEP_1) | instskip(NEXT) | instid1(VALU_DEP_2)
	v_cvt_f16_f32_e32 v52, v52
	v_cvt_f16_f32_e32 v53, v53
	v_mov_b32_e32 v54, 0
	s_and_not1_b32 vcc_lo, exec_lo, s16
	s_delay_alu instid0(VALU_DEP_2)
	v_pack_b32_f16 v65, v52, v53
	v_dual_mov_b32 v52, 0 :: v_dual_mov_b32 v53, 0
	ds_store_b32 v61, v65 offset:64
	s_wait_alu 0xfffe
	s_cbranch_vccnz .LBB31_44
; %bb.41:                               ;   in Loop: Header=BB31_36 Depth=1
	ds_load_b32 v53, v64 offset:4
	s_wait_dscnt 0x0
	v_cmp_gt_i32_e32 vcc_lo, 0, v53
	s_cbranch_vccnz .LBB31_43
; %bb.42:                               ;   in Loop: Header=BB31_36 Depth=1
	v_mul_lo_u32 v53, v53, s17
	s_delay_alu instid0(VALU_DEP_1) | instskip(NEXT) | instid1(VALU_DEP_1)
	v_add3_u32 v53, v53, s12, v49
	v_ashrrev_i32_e32 v54, 31, v53
	s_delay_alu instid0(VALU_DEP_1) | instskip(NEXT) | instid1(VALU_DEP_1)
	v_lshlrev_b64_e32 v[53:54], 2, v[53:54]
	v_add_co_u32 v53, vcc_lo, s6, v53
	s_wait_alu 0xfffd
	s_delay_alu instid0(VALU_DEP_2)
	v_add_co_ci_u32_e64 v54, null, s7, v54, vcc_lo
	global_load_b64 v[53:54], v[53:54], off
	s_branch .LBB31_44
.LBB31_43:                              ;   in Loop: Header=BB31_36 Depth=1
	v_dual_mov_b32 v53, 0 :: v_dual_mov_b32 v54, 0
.LBB31_44:                              ;   in Loop: Header=BB31_36 Depth=1
	s_wait_loadcnt 0x0
	s_delay_alu instid0(VALU_DEP_1) | instskip(NEXT) | instid1(VALU_DEP_2)
	v_cvt_f16_f32_e32 v53, v53
	v_cvt_f16_f32_e32 v54, v54
	s_and_not1_b32 vcc_lo, exec_lo, s28
	s_delay_alu instid0(VALU_DEP_1)
	v_pack_b32_f16 v54, v53, v54
	v_mov_b32_e32 v53, 0
	ds_store_b32 v61, v54 offset:208
	s_wait_alu 0xfffe
	s_cbranch_vccnz .LBB31_48
; %bb.45:                               ;   in Loop: Header=BB31_36 Depth=1
	ds_load_b32 v52, v64 offset:8
	s_wait_dscnt 0x0
	v_cmp_gt_i32_e32 vcc_lo, 0, v52
	s_cbranch_vccnz .LBB31_47
; %bb.46:                               ;   in Loop: Header=BB31_36 Depth=1
	v_mul_lo_u32 v52, v52, s17
	s_delay_alu instid0(VALU_DEP_1) | instskip(NEXT) | instid1(VALU_DEP_1)
	v_add3_u32 v52, v52, s29, v49
	v_ashrrev_i32_e32 v53, 31, v52
	s_delay_alu instid0(VALU_DEP_1) | instskip(NEXT) | instid1(VALU_DEP_1)
	v_lshlrev_b64_e32 v[52:53], 2, v[52:53]
	v_add_co_u32 v52, vcc_lo, s6, v52
	s_wait_alu 0xfffd
	s_delay_alu instid0(VALU_DEP_2)
	v_add_co_ci_u32_e64 v53, null, s7, v53, vcc_lo
	global_load_b64 v[52:53], v[52:53], off
	s_branch .LBB31_48
.LBB31_47:                              ;   in Loop: Header=BB31_36 Depth=1
	v_dual_mov_b32 v52, 0 :: v_dual_mov_b32 v53, 0
.LBB31_48:                              ;   in Loop: Header=BB31_36 Depth=1
	s_wait_loadcnt 0x0
	s_delay_alu instid0(VALU_DEP_1) | instskip(NEXT) | instid1(VALU_DEP_2)
	v_cvt_f16_f32_e32 v52, v52
	v_cvt_f16_f32_e32 v53, v53
	s_and_not1_b32 vcc_lo, exec_lo, s9
	s_delay_alu instid0(VALU_DEP_1)
	v_pack_b32_f16 v54, v52, v53
	v_dual_mov_b32 v52, 0 :: v_dual_mov_b32 v53, 0
	ds_store_b32 v61, v54 offset:352
	s_wait_alu 0xfffe
	s_cbranch_vccnz .LBB31_35
; %bb.49:                               ;   in Loop: Header=BB31_36 Depth=1
	ds_load_b32 v52, v64 offset:12
	s_wait_dscnt 0x0
	v_cmp_gt_i32_e32 vcc_lo, 0, v52
	s_cbranch_vccz .LBB31_34
; %bb.50:                               ;   in Loop: Header=BB31_36 Depth=1
	v_dual_mov_b32 v52, 0 :: v_dual_mov_b32 v53, 0
	s_branch .LBB31_35
.LBB31_51:
	s_or_b32 exec_lo, exec_lo, s5
.LBB31_52:
	s_delay_alu instid0(SALU_CYCLE_1)
	s_or_b32 exec_lo, exec_lo, s23
	v_lshl_add_u32 v16, v57, 2, 0x100
	v_mul_u32_u24_e32 v17, 0x110, v58
	v_and_b32_e32 v18, 0x7e0, v59
	s_wait_loadcnt_dscnt 0x0
	s_barrier_signal -1
	s_barrier_wait -1
	global_inv scope:SCOPE_SE
	v_add3_u32 v17, v16, v17, v18
	s_mov_b32 s0, exec_lo
	ds_store_2addr_b32 v17, v8, v9 offset0:16 offset1:17
	ds_store_2addr_b32 v17, v10, v11 offset0:18 offset1:19
	;; [unrolled: 1-line block ×4, first 2 shown]
	v_lshl_add_u32 v8, v48, 2, 0x100
	ds_store_2addr_b32 v17, v0, v1 offset0:32 offset1:33
	ds_store_2addr_b32 v17, v2, v3 offset0:34 offset1:35
	;; [unrolled: 1-line block ×4, first 2 shown]
	s_wait_loadcnt_dscnt 0x0
	s_barrier_signal -1
	s_barrier_wait -1
	v_mad_u32_u24 v0, 0x110, v55, v8
	global_inv scope:SCOPE_SE
	v_mov_b32_e32 v3, -1
	ds_load_2addr_b32 v[0:1], v0 offset0:16 offset1:48
	v_cmpx_gt_u32_e32 4, v55
; %bb.53:
	v_mad_i32_i24 v2, 0xffffff84, v55, v16
	ds_load_b32 v3, v2
; %bb.54:
	s_wait_alu 0xfffe
	s_or_b32 exec_lo, exec_lo, s0
	s_ashr_i32 s1, s22, 31
	s_mov_b32 s0, s22
	s_wait_kmcnt 0x0
	s_ashr_i32 s5, s13, 31
	s_wait_alu 0xfffe
	s_mul_u64 s[0:1], s[0:1], s[26:27]
	s_mov_b32 s4, s13
	s_wait_dscnt 0x0
	v_cmp_lt_i32_e32 vcc_lo, -1, v3
	s_wait_alu 0xfffe
	s_mul_u64 s[4:5], s[24:25], s[4:5]
	s_lshl_b64 s[0:1], s[0:1], 2
	v_mul_u32_u24_e32 v4, 0x110, v55
	v_add_nc_u32_e32 v2, s19, v48
	s_wait_alu 0xfffe
	s_add_nc_u64 s[0:1], s[14:15], s[0:1]
	s_lshl_b64 s[4:5], s[4:5], 2
	s_wait_alu 0xfffe
	s_add_nc_u64 s[0:1], s[0:1], s[4:5]
	s_and_b32 s4, vcc_lo, s2
	s_wait_alu 0xfffe
	s_and_saveexec_b32 s2, s4
	s_cbranch_execz .LBB31_56
; %bb.55:
	v_mul_lo_u32 v3, v3, s18
	v_mul_lo_u32 v5, v55, s13
	v_add_f32_e32 v0, 0, v0
	v_mov_b32_e32 v6, 0
	s_delay_alu instid0(VALU_DEP_3) | instskip(NEXT) | instid1(VALU_DEP_3)
	v_add3_u32 v5, v2, v5, v3
	v_add_f32_e32 v3, v0, v1
	s_delay_alu instid0(VALU_DEP_2) | instskip(NEXT) | instid1(VALU_DEP_1)
	v_lshlrev_b64_e32 v[5:6], 2, v[5:6]
	v_add_co_u32 v0, vcc_lo, s0, v5
	s_wait_alu 0xfffd
	s_delay_alu instid0(VALU_DEP_2)
	v_add_co_ci_u32_e64 v1, null, s1, v6, vcc_lo
	global_store_b32 v[0:1], v3, off
.LBB31_56:
	s_wait_alu 0xfffe
	s_or_b32 exec_lo, exec_lo, s2
	v_dual_mov_b32 v3, -1 :: v_dual_add_nc_u32 v0, v4, v8
	s_mov_b32 s2, exec_lo
	ds_load_2addr_b32 v[0:1], v0 offset0:152 offset1:184
	v_cmpx_gt_u32_e32 2, v55
; %bb.57:
	v_lshl_add_u32 v3, v55, 2, 0x100
	ds_load_b32 v3, v3 offset:8
; %bb.58:
	s_wait_alu 0xfffe
	s_or_b32 exec_lo, exec_lo, s2
	s_wait_dscnt 0x0
	v_cmp_lt_i32_e32 vcc_lo, -1, v3
	s_and_b32 s2, vcc_lo, s3
	s_wait_alu 0xfffe
	s_and_b32 exec_lo, exec_lo, s2
	s_cbranch_execz .LBB31_60
; %bb.59:
	v_mul_lo_u32 v4, v3, s18
	v_mul_lo_u32 v5, v56, s13
	v_dual_mov_b32 v3, 0 :: v_dual_add_f32 v0, 0, v0
	s_delay_alu instid0(VALU_DEP_2) | instskip(NEXT) | instid1(VALU_DEP_2)
	v_add3_u32 v2, v2, v5, v4
	v_add_f32_e32 v4, v0, v1
	s_delay_alu instid0(VALU_DEP_2) | instskip(NEXT) | instid1(VALU_DEP_1)
	v_lshlrev_b64_e32 v[2:3], 2, v[2:3]
	v_add_co_u32 v0, vcc_lo, s0, v2
	s_wait_alu 0xfffd
	s_delay_alu instid0(VALU_DEP_2)
	v_add_co_ci_u32_e64 v1, null, s1, v3, vcc_lo
	global_store_b32 v[0:1], v4, off
.LBB31_60:
	s_endpgm
	.section	.rodata,"a",@progbits
	.p2align	6, 0x0
	.amdhsa_kernel _ZL9mul_mat_fI7__half2Li32ELi4ELi2ELb1EEvPKT_PKfPKiPfiiiiiiiiiiiiiiii
		.amdhsa_group_segment_fixed_size 256
		.amdhsa_private_segment_fixed_size 0
		.amdhsa_kernarg_size 352
		.amdhsa_user_sgpr_count 2
		.amdhsa_user_sgpr_dispatch_ptr 0
		.amdhsa_user_sgpr_queue_ptr 0
		.amdhsa_user_sgpr_kernarg_segment_ptr 1
		.amdhsa_user_sgpr_dispatch_id 0
		.amdhsa_user_sgpr_private_segment_size 0
		.amdhsa_wavefront_size32 1
		.amdhsa_uses_dynamic_stack 0
		.amdhsa_enable_private_segment 0
		.amdhsa_system_sgpr_workgroup_id_x 1
		.amdhsa_system_sgpr_workgroup_id_y 1
		.amdhsa_system_sgpr_workgroup_id_z 1
		.amdhsa_system_sgpr_workgroup_info 0
		.amdhsa_system_vgpr_workitem_id 2
		.amdhsa_next_free_vgpr 81
		.amdhsa_next_free_sgpr 70
		.amdhsa_reserve_vcc 1
		.amdhsa_float_round_mode_32 0
		.amdhsa_float_round_mode_16_64 0
		.amdhsa_float_denorm_mode_32 3
		.amdhsa_float_denorm_mode_16_64 3
		.amdhsa_fp16_overflow 0
		.amdhsa_workgroup_processor_mode 1
		.amdhsa_memory_ordered 1
		.amdhsa_forward_progress 1
		.amdhsa_inst_pref_size 44
		.amdhsa_round_robin_scheduling 0
		.amdhsa_exception_fp_ieee_invalid_op 0
		.amdhsa_exception_fp_denorm_src 0
		.amdhsa_exception_fp_ieee_div_zero 0
		.amdhsa_exception_fp_ieee_overflow 0
		.amdhsa_exception_fp_ieee_underflow 0
		.amdhsa_exception_fp_ieee_inexact 0
		.amdhsa_exception_int_div_zero 0
	.end_amdhsa_kernel
	.section	.text._ZL9mul_mat_fI7__half2Li32ELi4ELi2ELb1EEvPKT_PKfPKiPfiiiiiiiiiiiiiiii,"axG",@progbits,_ZL9mul_mat_fI7__half2Li32ELi4ELi2ELb1EEvPKT_PKfPKiPfiiiiiiiiiiiiiiii,comdat
.Lfunc_end31:
	.size	_ZL9mul_mat_fI7__half2Li32ELi4ELi2ELb1EEvPKT_PKfPKiPfiiiiiiiiiiiiiiii, .Lfunc_end31-_ZL9mul_mat_fI7__half2Li32ELi4ELi2ELb1EEvPKT_PKfPKiPfiiiiiiiiiiiiiiii
                                        ; -- End function
	.set _ZL9mul_mat_fI7__half2Li32ELi4ELi2ELb1EEvPKT_PKfPKiPfiiiiiiiiiiiiiiii.num_vgpr, 81
	.set _ZL9mul_mat_fI7__half2Li32ELi4ELi2ELb1EEvPKT_PKfPKiPfiiiiiiiiiiiiiiii.num_agpr, 0
	.set _ZL9mul_mat_fI7__half2Li32ELi4ELi2ELb1EEvPKT_PKfPKiPfiiiiiiiiiiiiiiii.numbered_sgpr, 70
	.set _ZL9mul_mat_fI7__half2Li32ELi4ELi2ELb1EEvPKT_PKfPKiPfiiiiiiiiiiiiiiii.num_named_barrier, 0
	.set _ZL9mul_mat_fI7__half2Li32ELi4ELi2ELb1EEvPKT_PKfPKiPfiiiiiiiiiiiiiiii.private_seg_size, 0
	.set _ZL9mul_mat_fI7__half2Li32ELi4ELi2ELb1EEvPKT_PKfPKiPfiiiiiiiiiiiiiiii.uses_vcc, 1
	.set _ZL9mul_mat_fI7__half2Li32ELi4ELi2ELb1EEvPKT_PKfPKiPfiiiiiiiiiiiiiiii.uses_flat_scratch, 0
	.set _ZL9mul_mat_fI7__half2Li32ELi4ELi2ELb1EEvPKT_PKfPKiPfiiiiiiiiiiiiiiii.has_dyn_sized_stack, 0
	.set _ZL9mul_mat_fI7__half2Li32ELi4ELi2ELb1EEvPKT_PKfPKiPfiiiiiiiiiiiiiiii.has_recursion, 0
	.set _ZL9mul_mat_fI7__half2Li32ELi4ELi2ELb1EEvPKT_PKfPKiPfiiiiiiiiiiiiiiii.has_indirect_call, 0
	.section	.AMDGPU.csdata,"",@progbits
; Kernel info:
; codeLenInByte = 5552
; TotalNumSgprs: 72
; NumVgprs: 81
; ScratchSize: 0
; MemoryBound: 0
; FloatMode: 240
; IeeeMode: 1
; LDSByteSize: 256 bytes/workgroup (compile time only)
; SGPRBlocks: 0
; VGPRBlocks: 10
; NumSGPRsForWavesPerEU: 72
; NumVGPRsForWavesPerEU: 81
; Occupancy: 16
; WaveLimiterHint : 0
; COMPUTE_PGM_RSRC2:SCRATCH_EN: 0
; COMPUTE_PGM_RSRC2:USER_SGPR: 2
; COMPUTE_PGM_RSRC2:TRAP_HANDLER: 0
; COMPUTE_PGM_RSRC2:TGID_X_EN: 1
; COMPUTE_PGM_RSRC2:TGID_Y_EN: 1
; COMPUTE_PGM_RSRC2:TGID_Z_EN: 1
; COMPUTE_PGM_RSRC2:TIDIG_COMP_CNT: 2
	.section	.text._ZL9mul_mat_fI7__half2Li32ELi4ELi2ELb0EEvPKT_PKfPKiPfiiiiiiiiiiiiiiii,"axG",@progbits,_ZL9mul_mat_fI7__half2Li32ELi4ELi2ELb0EEvPKT_PKfPKiPfiiiiiiiiiiiiiiii,comdat
	.globl	_ZL9mul_mat_fI7__half2Li32ELi4ELi2ELb0EEvPKT_PKfPKiPfiiiiiiiiiiiiiiii ; -- Begin function _ZL9mul_mat_fI7__half2Li32ELi4ELi2ELb0EEvPKT_PKfPKiPfiiiiiiiiiiiiiiii
	.p2align	8
	.type	_ZL9mul_mat_fI7__half2Li32ELi4ELi2ELb0EEvPKT_PKfPKiPfiiiiiiiiiiiiiiii,@function
_ZL9mul_mat_fI7__half2Li32ELi4ELi2ELb0EEvPKT_PKfPKiPfiiiiiiiiiiiiiiii: ; @_ZL9mul_mat_fI7__half2Li32ELi4ELi2ELb0EEvPKT_PKfPKiPfiiiiiiiiiiiiiiii
; %bb.0:
	s_clause 0x1
	s_load_b256 s[4:11], s[0:1], 0x40
	s_load_b32 s21, s[0:1], 0x20
	v_bfe_u32 v36, v0, 10, 10
	v_and_b32_e32 v37, 0x3ff, v0
	s_mov_b32 s15, exec_lo
	s_delay_alu instid0(VALU_DEP_2) | instskip(NEXT) | instid1(VALU_DEP_2)
	v_lshlrev_b32_e32 v38, 5, v36
	v_and_b32_e32 v39, 15, v37
	s_delay_alu instid0(VALU_DEP_2)
	v_add_nc_u32_e32 v41, v38, v37
	s_wait_kmcnt 0x0
	s_abs_i32 s12, s4
	s_abs_i32 s23, s8
	s_cvt_f32_u32 s2, s12
	s_cvt_f32_u32 s3, s23
	s_delay_alu instid0(SALU_CYCLE_2) | instskip(NEXT) | instid1(SALU_CYCLE_2)
	v_rcp_iflag_f32_e32 v0, s2
	v_rcp_iflag_f32_e32 v1, s3
	s_mov_b32 s3, 0
	s_lshr_b32 s2, ttmp7, 16
	s_delay_alu instid0(TRANS32_DEP_2) | instskip(NEXT) | instid1(TRANS32_DEP_1)
	v_readfirstlane_b32 s13, v0
	v_readfirstlane_b32 s14, v1
	v_cmpx_le_i32_e64 s21, v41
	s_xor_b32 s15, exec_lo, s15
; %bb.1:
	v_and_b32_e32 v39, 15, v37
                                        ; implicit-def: $vgpr41
; %bb.2:
	s_or_saveexec_b32 s22, s15
	s_load_b96 s[16:18], s[0:1], 0x2c
	v_dual_mov_b32 v15, 0 :: v_dual_lshlrev_b32 v40, 2, v37
	s_and_b32 s19, ttmp7, 0xffff
	s_lshl_b32 s20, ttmp9, 5
	s_delay_alu instid0(VALU_DEP_1)
	v_dual_mov_b32 v14, v15 :: v_dual_mov_b32 v13, v15
	v_dual_mov_b32 v12, v15 :: v_dual_mov_b32 v11, v15
	;; [unrolled: 1-line block ×7, first 2 shown]
	v_mov_b32_e32 v0, v15
	s_xor_b32 exec_lo, exec_lo, s22
	s_cbranch_execz .LBB32_6
; %bb.3:
	s_mul_f32 s13, s13, 0x4f7ffffe
	s_mul_f32 s14, s14, 0x4f7ffffe
	s_sub_co_i32 s24, 0, s12
	s_sub_co_i32 s25, 0, s23
	s_cvt_u32_f32 s13, s13
	s_cvt_u32_f32 s27, s14
	s_abs_i32 s14, s19
	s_mov_b32 s15, s3
	s_mul_i32 s24, s24, s13
	s_mul_i32 s25, s25, s27
	s_mul_hi_u32 s24, s13, s24
	s_mul_hi_u32 s28, s27, s25
	s_add_co_i32 s24, s13, s24
	s_mov_b32 s25, s3
	s_abs_i32 s26, s2
	s_mul_u64 s[24:25], s[14:15], s[24:25]
	s_ashr_i32 s24, s8, 31
	s_mul_i32 s13, s25, s12
	s_add_co_i32 s28, s27, s28
	s_sub_co_i32 s8, s14, s13
	s_ashr_i32 s4, s4, 31
	s_add_co_i32 s13, s25, 1
	s_sub_co_i32 s14, s8, s12
	s_cmp_ge_u32 s8, s12
	s_mov_b32 s27, s3
	s_cselect_b32 s13, s13, s25
	s_mov_b32 s29, s3
	s_cselect_b32 s8, s14, s8
	s_add_co_i32 s14, s13, 1
	s_mul_u64 s[28:29], s[26:27], s[28:29]
	s_cmp_ge_u32 s8, s12
	s_mul_i32 s12, s29, s23
	s_cselect_b32 s8, s14, s13
	s_sub_co_i32 s25, s26, s12
	s_xor_b32 s8, s8, s4
	s_load_b128 s[12:15], s[0:1], 0x0
	s_sub_co_i32 s26, s8, s4
	s_add_co_i32 s4, s29, 1
	s_sub_co_i32 s8, s25, s23
	s_cmp_ge_u32 s25, s23
	v_mad_u32_u24 v0, 0x900, v36, 0
	s_cselect_b32 s4, s4, s29
	s_cselect_b32 s8, s8, s25
	s_add_co_i32 s25, s4, 1
	s_cmp_ge_u32 s8, s23
	s_mov_b32 s8, s9
	s_cselect_b32 s4, s25, s4
	s_ashr_i32 s9, s9, 31
	s_xor_b32 s4, s4, s24
	v_mul_u32_u24_e32 v1, 0x90, v39
	s_sub_co_i32 s24, s4, s24
	v_and_b32_e32 v2, 0x3f0, v37
	s_ashr_i32 s25, s24, 31
	v_add_nc_u32_e32 v42, v0, v40
	s_mul_u64 s[8:9], s[24:25], s[8:9]
	s_mul_i32 s24, s26, s5
	s_lshl_b64 s[54:55], s[8:9], 2
	s_ashr_i32 s25, s24, 31
	s_wait_kmcnt 0x0
	s_add_nc_u64 s[8:9], s[12:13], s[54:55]
	s_lshl_b64 s[56:57], s[24:25], 2
	s_mul_i32 s24, s16, s20
	v_add3_u32 v43, v0, v1, v2
	s_ashr_i32 s25, s24, 31
	v_dual_mov_b32 v0, 0 :: v_dual_lshlrev_b32 v1, 7, v36
	s_lshl_b64 s[60:61], s[24:25], 2
	s_add_nc_u64 s[8:9], s[8:9], s[56:57]
	s_add_nc_u64 s[56:57], s[56:57], s[60:61]
	s_mov_b32 s4, s10
	s_add_nc_u64 s[54:55], s[56:57], s[54:55]
	s_ashr_i32 s5, s10, 31
	v_add_co_u32 v1, s53, s54, v1
	s_delay_alu instid0(VALU_DEP_1) | instskip(SKIP_2) | instid1(VALU_DEP_3)
	v_add_co_ci_u32_e64 v2, null, s55, 0, s53
	v_dual_mov_b32 v44, 0 :: v_dual_lshlrev_b32 v3, 8, v36
	s_mul_u64 s[4:5], s[4:5], s[2:3]
	v_add_co_u32 v1, vcc_lo, v1, v40
	s_lshl_b64 s[58:59], s[4:5], 2
	v_add_co_ci_u32_e64 v2, null, 0, v2, vcc_lo
	v_add_co_u32 v3, s53, s58, v3
	v_lshlrev_b32_e32 v5, 3, v37
	s_mul_i32 s4, s6, s19
	s_wait_alu 0xf1ff
	v_add_co_ci_u32_e64 v4, null, s59, 0, s53
	v_add_co_u32 v32, vcc_lo, s12, v1
	s_ashr_i32 s5, s4, 31
	s_wait_alu 0xfffd
	v_add_co_ci_u32_e64 v33, null, s13, v2, vcc_lo
	v_add_co_u32 v1, vcc_lo, v3, v5
	s_lshl_b64 s[62:63], s[4:5], 2
	s_wait_alu 0xfffd
	v_add_co_ci_u32_e64 v2, null, 0, v4, vcc_lo
	s_add_nc_u64 s[12:13], s[14:15], s[62:63]
	v_dual_mov_b32 v3, v0 :: v_dual_mov_b32 v4, v0
	s_wait_alu 0xfffe
	v_add_co_u32 v34, vcc_lo, s12, v1
	s_wait_alu 0xfffd
	v_add_co_ci_u32_e64 v35, null, s13, v2, vcc_lo
	v_dual_mov_b32 v1, v0 :: v_dual_mov_b32 v2, v0
	v_dual_mov_b32 v5, v0 :: v_dual_mov_b32 v6, v0
	;; [unrolled: 1-line block ×6, first 2 shown]
	v_mov_b32_e32 v15, v0
	s_add_nc_u64 s[26:27], s[14:15], s[58:59]
	s_ashr_i32 s65, s16, 31
	s_mov_b32 s64, s16
	s_ashr_i32 s67, s17, 31
	s_mov_b32 s66, s17
	s_add_nc_u64 s[4:5], s[8:9], s[60:61]
	s_add_nc_u64 s[8:9], s[26:27], s[62:63]
	s_mov_b32 s6, 0
	s_add_co_i32 s10, s16, s16
	s_add_co_i32 s23, s17, s17
	s_mul_i32 s17, s17, 3
	s_mul_i32 s24, s16, 3
	s_lshl_b32 s25, s16, 2
	s_mul_i32 s26, s16, 5
	s_mul_i32 s27, s16, 6
	;; [unrolled: 1-line block ×3, first 2 shown]
	s_lshl_b32 s29, s16, 3
	s_mul_i32 s30, s16, 9
	s_mul_i32 s31, s16, 10
	s_mul_i32 s33, s16, 11
	s_mul_i32 s34, s16, 12
	s_mul_i32 s35, s16, 13
	s_mul_i32 s36, s16, 14
	s_mul_i32 s37, s16, 15
	s_lshl_b32 s38, s16, 4
	s_mul_i32 s39, s16, 17
	s_mul_i32 s40, s16, 18
	;; [unrolled: 1-line block ×15, first 2 shown]
	s_lshl_b64 s[12:13], s[64:65], 2
	s_lshl_b64 s[14:15], s[66:67], 3
.LBB32_4:                               ; =>This Inner Loop Header: Depth=1
	global_load_b32 v16, v[32:33], off
	v_add_nc_u32_e32 v45, s38, v41
	s_delay_alu instid0(VALU_DEP_1) | instskip(NEXT) | instid1(VALU_DEP_1)
	v_ashrrev_i32_e32 v46, 31, v45
	v_lshlrev_b64_e32 v[45:46], 2, v[45:46]
	s_wait_loadcnt 0x0
	ds_store_b32 v42, v16
	s_wait_alu 0xfffe
	v_add_co_u32 v16, vcc_lo, v32, s12
	s_wait_alu 0xfffd
	v_add_co_ci_u32_e64 v17, null, s13, v33, vcc_lo
	global_load_b32 v16, v[16:17], off
	s_wait_loadcnt 0x0
	ds_store_b32 v42, v16 offset:144
	v_add_nc_u32_e32 v16, s10, v41
	s_delay_alu instid0(VALU_DEP_1) | instskip(NEXT) | instid1(VALU_DEP_1)
	v_ashrrev_i32_e32 v17, 31, v16
	v_lshlrev_b64_e32 v[16:17], 2, v[16:17]
	s_delay_alu instid0(VALU_DEP_1) | instskip(SKIP_1) | instid1(VALU_DEP_2)
	v_add_co_u32 v16, vcc_lo, s4, v16
	s_wait_alu 0xfffd
	v_add_co_ci_u32_e64 v17, null, s5, v17, vcc_lo
	global_load_b32 v16, v[16:17], off
	s_wait_loadcnt 0x0
	ds_store_b32 v42, v16 offset:288
	v_add_nc_u32_e32 v16, s24, v41
	s_delay_alu instid0(VALU_DEP_1) | instskip(NEXT) | instid1(VALU_DEP_1)
	v_ashrrev_i32_e32 v17, 31, v16
	v_lshlrev_b64_e32 v[16:17], 2, v[16:17]
	s_delay_alu instid0(VALU_DEP_1) | instskip(SKIP_1) | instid1(VALU_DEP_2)
	;; [unrolled: 11-line block ×14, first 2 shown]
	v_add_co_u32 v16, vcc_lo, s4, v16
	s_wait_alu 0xfffd
	v_add_co_ci_u32_e64 v17, null, s5, v17, vcc_lo
	v_add_co_u32 v45, vcc_lo, s4, v45
	s_wait_alu 0xfffd
	v_add_co_ci_u32_e64 v46, null, s5, v46, vcc_lo
	global_load_b32 v16, v[16:17], off
	s_wait_loadcnt 0x0
	ds_store_b32 v42, v16 offset:2160
	ds_load_b128 v[28:31], v43
	ds_load_b128 v[24:27], v43 offset:32
	ds_load_b128 v[20:23], v43 offset:64
	;; [unrolled: 1-line block ×3, first 2 shown]
	global_load_b32 v45, v[45:46], off
	s_wait_loadcnt 0x0
	ds_store_b32 v42, v45
	v_add_nc_u32_e32 v45, s39, v41
	s_delay_alu instid0(VALU_DEP_1) | instskip(NEXT) | instid1(VALU_DEP_1)
	v_ashrrev_i32_e32 v46, 31, v45
	v_lshlrev_b64_e32 v[45:46], 2, v[45:46]
	s_delay_alu instid0(VALU_DEP_1) | instskip(SKIP_1) | instid1(VALU_DEP_2)
	v_add_co_u32 v45, vcc_lo, s4, v45
	s_wait_alu 0xfffd
	v_add_co_ci_u32_e64 v46, null, s5, v46, vcc_lo
	global_load_b32 v45, v[45:46], off
	s_wait_loadcnt 0x0
	ds_store_b32 v42, v45 offset:144
	v_add_nc_u32_e32 v45, s40, v41
	s_delay_alu instid0(VALU_DEP_1) | instskip(NEXT) | instid1(VALU_DEP_1)
	v_ashrrev_i32_e32 v46, 31, v45
	v_lshlrev_b64_e32 v[45:46], 2, v[45:46]
	s_delay_alu instid0(VALU_DEP_1) | instskip(SKIP_1) | instid1(VALU_DEP_2)
	v_add_co_u32 v45, vcc_lo, s4, v45
	s_wait_alu 0xfffd
	v_add_co_ci_u32_e64 v46, null, s5, v46, vcc_lo
	global_load_b32 v45, v[45:46], off
	s_wait_loadcnt 0x0
	ds_store_b32 v42, v45 offset:288
	;; [unrolled: 11-line block ×15, first 2 shown]
	ds_load_b128 v[45:48], v43
	ds_load_b128 v[49:52], v43 offset:32
	ds_load_b128 v[53:56], v43 offset:64
	;; [unrolled: 1-line block ×3, first 2 shown]
	global_load_b64 v[61:62], v[34:35], off
	s_wait_loadcnt 0x0
	v_cvt_f16_f32_e32 v61, v61
	v_cvt_f16_f32_e32 v62, v62
	s_delay_alu instid0(VALU_DEP_1)
	v_pack_b32_f16 v61, v61, v62
	ds_store_b32 v42, v61
	v_add_co_u32 v61, vcc_lo, v34, s14
	s_wait_alu 0xfffd
	v_add_co_ci_u32_e64 v62, null, s15, v35, vcc_lo
	global_load_b64 v[61:62], v[61:62], off
	s_wait_loadcnt 0x0
	v_cvt_f16_f32_e32 v61, v61
	v_cvt_f16_f32_e32 v62, v62
	s_delay_alu instid0(VALU_DEP_1) | instskip(SKIP_2) | instid1(VALU_DEP_1)
	v_pack_b32_f16 v61, v61, v62
	ds_store_b32 v42, v61 offset:144
	v_add_nc_u32_e32 v61, s23, v41
	v_ashrrev_i32_e32 v62, 31, v61
	s_delay_alu instid0(VALU_DEP_1) | instskip(NEXT) | instid1(VALU_DEP_1)
	v_lshlrev_b64_e32 v[61:62], 3, v[61:62]
	v_add_co_u32 v61, vcc_lo, s8, v61
	s_wait_alu 0xfffd
	s_delay_alu instid0(VALU_DEP_2) | instskip(SKIP_4) | instid1(VALU_DEP_1)
	v_add_co_ci_u32_e64 v62, null, s9, v62, vcc_lo
	global_load_b64 v[61:62], v[61:62], off
	s_wait_loadcnt 0x0
	v_cvt_f16_f32_e32 v61, v61
	v_cvt_f16_f32_e32 v62, v62
	v_pack_b32_f16 v61, v61, v62
	ds_store_b32 v42, v61 offset:288
	v_add_nc_u32_e32 v61, s17, v41
	v_add_nc_u32_e32 v41, 64, v41
	s_delay_alu instid0(VALU_DEP_2) | instskip(NEXT) | instid1(VALU_DEP_1)
	v_ashrrev_i32_e32 v62, 31, v61
	v_lshlrev_b64_e32 v[61:62], 3, v[61:62]
	s_delay_alu instid0(VALU_DEP_1) | instskip(SKIP_1) | instid1(VALU_DEP_2)
	v_add_co_u32 v61, vcc_lo, s8, v61
	s_wait_alu 0xfffd
	v_add_co_ci_u32_e64 v62, null, s9, v62, vcc_lo
	v_add_co_u32 v32, vcc_lo, 0x100, v32
	s_wait_alu 0xfffd
	v_add_co_ci_u32_e64 v33, null, 0, v33, vcc_lo
	global_load_b64 v[61:62], v[61:62], off
	v_add_co_u32 v34, vcc_lo, 0x200, v34
	s_wait_alu 0xfffd
	v_add_co_ci_u32_e64 v35, null, 0, v35, vcc_lo
	v_cmp_le_i32_e32 vcc_lo, s21, v41
	s_or_b32 s6, vcc_lo, s6
	s_wait_loadcnt 0x0
	v_cvt_f16_f32_e32 v61, v61
	v_cvt_f16_f32_e32 v62, v62
	s_delay_alu instid0(VALU_DEP_1)
	v_pack_b32_f16 v61, v61, v62
	ds_store_b32 v42, v61 offset:432
	ds_store_b32 v42, v44 offset:576
	;; [unrolled: 1-line block ×13, first 2 shown]
	ds_load_b128 v[61:64], v43
	ds_load_b128 v[65:68], v43 offset:32
	s_wait_dscnt 0x1
	v_wmma_f32_16x16x16_f16 v[8:15], v[28:31], v[61:64], v[8:15]
	v_wmma_f32_16x16x16_f16 v[0:7], v[45:48], v[61:64], v[0:7]
	s_wait_dscnt 0x0
	s_delay_alu instid0(VALU_DEP_2)
	v_wmma_f32_16x16x16_f16 v[8:15], v[24:27], v[65:68], v[8:15]
	ds_load_b128 v[24:27], v43 offset:64
	v_wmma_f32_16x16x16_f16 v[0:7], v[49:52], v[65:68], v[0:7]
	s_wait_dscnt 0x0
	v_wmma_f32_16x16x16_f16 v[8:15], v[20:23], v[24:27], v[8:15]
	ds_load_b128 v[20:23], v43 offset:96
	v_wmma_f32_16x16x16_f16 v[0:7], v[53:56], v[24:27], v[0:7]
	s_wait_dscnt 0x0
	v_wmma_f32_16x16x16_f16 v[8:15], v[16:19], v[20:23], v[8:15]
	s_delay_alu instid0(VALU_DEP_2)
	v_wmma_f32_16x16x16_f16 v[0:7], v[57:60], v[20:23], v[0:7]
	s_and_not1_b32 exec_lo, exec_lo, s6
	s_cbranch_execnz .LBB32_4
; %bb.5:
	s_or_b32 exec_lo, exec_lo, s6
.LBB32_6:
	s_delay_alu instid0(SALU_CYCLE_1) | instskip(SKIP_4) | instid1(VALU_DEP_3)
	s_or_b32 exec_lo, exec_lo, s22
	v_lshlrev_b32_e32 v16, 1, v37
	v_lshl_add_u32 v17, v38, 2, 0
	v_mul_u32_u24_e32 v18, 0x110, v39
	s_barrier_signal -1
	v_and_b32_e32 v16, 0x7e0, v16
	s_barrier_wait -1
	global_inv scope:SCOPE_SE
	s_load_b64 s[0:1], s[0:1], 0x18
	s_ashr_i32 s5, s11, 31
	v_add3_u32 v16, v17, v18, v16
	v_mul_u32_u24_e32 v17, 0x110, v36
	s_mov_b32 s4, s11
	ds_store_2addr_b32 v16, v8, v9 offset1:1
	ds_store_2addr_b32 v16, v10, v11 offset0:2 offset1:3
	ds_store_2addr_b32 v16, v12, v13 offset0:4 offset1:5
	;; [unrolled: 1-line block ×7, first 2 shown]
	v_add3_u32 v2, 0, v40, v17
	s_wait_loadcnt_dscnt 0x0
	s_barrier_signal -1
	s_barrier_wait -1
	global_inv scope:SCOPE_SE
	ds_load_2addr_b32 v[0:1], v2 offset1:32
	s_wait_kmcnt 0x0
	v_mul_lo_u32 v4, v36, s18
	ds_load_2addr_b32 v[2:3], v2 offset0:136 offset1:168
	v_mov_b32_e32 v5, 0
	s_wait_alu 0xfffe
	s_mul_u64 s[2:3], s[4:5], s[2:3]
	s_mul_i32 s4, s7, s19
	s_wait_alu 0xfffe
	s_lshl_b64 s[2:3], s[2:3], 2
	s_ashr_i32 s5, s4, 31
	s_wait_alu 0xfffe
	s_add_nc_u64 s[0:1], s[0:1], s[2:3]
	v_add3_u32 v4, s20, v37, v4
	s_lshl_b64 s[2:3], s[4:5], 2
	s_wait_alu 0xfffe
	s_add_nc_u64 s[0:1], s[0:1], s[2:3]
	s_delay_alu instid0(VALU_DEP_1)
	v_lshlrev_b64_e32 v[6:7], 2, v[4:5]
	v_lshl_add_u32 v4, s18, 1, v4
	s_wait_dscnt 0x1
	v_add_f32_e32 v0, 0, v0
	s_wait_dscnt 0x0
	v_add_f32_e32 v2, 0, v2
	s_delay_alu instid0(VALU_DEP_2)
	v_add_f32_e32 v8, v0, v1
	v_lshlrev_b64_e32 v[0:1], 2, v[4:5]
	v_add_co_u32 v4, vcc_lo, s0, v6
	s_wait_alu 0xfffd
	v_add_co_ci_u32_e64 v5, null, s1, v7, vcc_lo
	v_add_f32_e32 v2, v2, v3
	s_delay_alu instid0(VALU_DEP_4)
	v_add_co_u32 v0, vcc_lo, s0, v0
	s_wait_alu 0xfffd
	v_add_co_ci_u32_e64 v1, null, s1, v1, vcc_lo
	s_clause 0x1
	global_store_b32 v[4:5], v8, off
	global_store_b32 v[0:1], v2, off
	s_endpgm
	.section	.rodata,"a",@progbits
	.p2align	6, 0x0
	.amdhsa_kernel _ZL9mul_mat_fI7__half2Li32ELi4ELi2ELb0EEvPKT_PKfPKiPfiiiiiiiiiiiiiiii
		.amdhsa_group_segment_fixed_size 0
		.amdhsa_private_segment_fixed_size 0
		.amdhsa_kernarg_size 96
		.amdhsa_user_sgpr_count 2
		.amdhsa_user_sgpr_dispatch_ptr 0
		.amdhsa_user_sgpr_queue_ptr 0
		.amdhsa_user_sgpr_kernarg_segment_ptr 1
		.amdhsa_user_sgpr_dispatch_id 0
		.amdhsa_user_sgpr_private_segment_size 0
		.amdhsa_wavefront_size32 1
		.amdhsa_uses_dynamic_stack 0
		.amdhsa_enable_private_segment 0
		.amdhsa_system_sgpr_workgroup_id_x 1
		.amdhsa_system_sgpr_workgroup_id_y 1
		.amdhsa_system_sgpr_workgroup_id_z 1
		.amdhsa_system_sgpr_workgroup_info 0
		.amdhsa_system_vgpr_workitem_id 1
		.amdhsa_next_free_vgpr 69
		.amdhsa_next_free_sgpr 68
		.amdhsa_reserve_vcc 1
		.amdhsa_float_round_mode_32 0
		.amdhsa_float_round_mode_16_64 0
		.amdhsa_float_denorm_mode_32 3
		.amdhsa_float_denorm_mode_16_64 3
		.amdhsa_fp16_overflow 0
		.amdhsa_workgroup_processor_mode 1
		.amdhsa_memory_ordered 1
		.amdhsa_forward_progress 1
		.amdhsa_inst_pref_size 31
		.amdhsa_round_robin_scheduling 0
		.amdhsa_exception_fp_ieee_invalid_op 0
		.amdhsa_exception_fp_denorm_src 0
		.amdhsa_exception_fp_ieee_div_zero 0
		.amdhsa_exception_fp_ieee_overflow 0
		.amdhsa_exception_fp_ieee_underflow 0
		.amdhsa_exception_fp_ieee_inexact 0
		.amdhsa_exception_int_div_zero 0
	.end_amdhsa_kernel
	.section	.text._ZL9mul_mat_fI7__half2Li32ELi4ELi2ELb0EEvPKT_PKfPKiPfiiiiiiiiiiiiiiii,"axG",@progbits,_ZL9mul_mat_fI7__half2Li32ELi4ELi2ELb0EEvPKT_PKfPKiPfiiiiiiiiiiiiiiii,comdat
.Lfunc_end32:
	.size	_ZL9mul_mat_fI7__half2Li32ELi4ELi2ELb0EEvPKT_PKfPKiPfiiiiiiiiiiiiiiii, .Lfunc_end32-_ZL9mul_mat_fI7__half2Li32ELi4ELi2ELb0EEvPKT_PKfPKiPfiiiiiiiiiiiiiiii
                                        ; -- End function
	.set _ZL9mul_mat_fI7__half2Li32ELi4ELi2ELb0EEvPKT_PKfPKiPfiiiiiiiiiiiiiiii.num_vgpr, 69
	.set _ZL9mul_mat_fI7__half2Li32ELi4ELi2ELb0EEvPKT_PKfPKiPfiiiiiiiiiiiiiiii.num_agpr, 0
	.set _ZL9mul_mat_fI7__half2Li32ELi4ELi2ELb0EEvPKT_PKfPKiPfiiiiiiiiiiiiiiii.numbered_sgpr, 68
	.set _ZL9mul_mat_fI7__half2Li32ELi4ELi2ELb0EEvPKT_PKfPKiPfiiiiiiiiiiiiiiii.num_named_barrier, 0
	.set _ZL9mul_mat_fI7__half2Li32ELi4ELi2ELb0EEvPKT_PKfPKiPfiiiiiiiiiiiiiiii.private_seg_size, 0
	.set _ZL9mul_mat_fI7__half2Li32ELi4ELi2ELb0EEvPKT_PKfPKiPfiiiiiiiiiiiiiiii.uses_vcc, 1
	.set _ZL9mul_mat_fI7__half2Li32ELi4ELi2ELb0EEvPKT_PKfPKiPfiiiiiiiiiiiiiiii.uses_flat_scratch, 0
	.set _ZL9mul_mat_fI7__half2Li32ELi4ELi2ELb0EEvPKT_PKfPKiPfiiiiiiiiiiiiiiii.has_dyn_sized_stack, 0
	.set _ZL9mul_mat_fI7__half2Li32ELi4ELi2ELb0EEvPKT_PKfPKiPfiiiiiiiiiiiiiiii.has_recursion, 0
	.set _ZL9mul_mat_fI7__half2Li32ELi4ELi2ELb0EEvPKT_PKfPKiPfiiiiiiiiiiiiiiii.has_indirect_call, 0
	.section	.AMDGPU.csdata,"",@progbits
; Kernel info:
; codeLenInByte = 3940
; TotalNumSgprs: 70
; NumVgprs: 69
; ScratchSize: 0
; MemoryBound: 0
; FloatMode: 240
; IeeeMode: 1
; LDSByteSize: 0 bytes/workgroup (compile time only)
; SGPRBlocks: 0
; VGPRBlocks: 8
; NumSGPRsForWavesPerEU: 70
; NumVGPRsForWavesPerEU: 69
; Occupancy: 16
; WaveLimiterHint : 0
; COMPUTE_PGM_RSRC2:SCRATCH_EN: 0
; COMPUTE_PGM_RSRC2:USER_SGPR: 2
; COMPUTE_PGM_RSRC2:TRAP_HANDLER: 0
; COMPUTE_PGM_RSRC2:TGID_X_EN: 1
; COMPUTE_PGM_RSRC2:TGID_Y_EN: 1
; COMPUTE_PGM_RSRC2:TGID_Z_EN: 1
; COMPUTE_PGM_RSRC2:TIDIG_COMP_CNT: 1
	.section	.text._ZL13mul_mat_f_idsI7__half2Li32ELi4ELi3EEvPKT_PKfPKiS7_S7_Pfiiiiiiiiiiiiii15HIP_vector_typeIjLj3EESA_,"axG",@progbits,_ZL13mul_mat_f_idsI7__half2Li32ELi4ELi3EEvPKT_PKfPKiS7_S7_Pfiiiiiiiiiiiiii15HIP_vector_typeIjLj3EESA_,comdat
	.globl	_ZL13mul_mat_f_idsI7__half2Li32ELi4ELi3EEvPKT_PKfPKiS7_S7_Pfiiiiiiiiiiiiii15HIP_vector_typeIjLj3EESA_ ; -- Begin function _ZL13mul_mat_f_idsI7__half2Li32ELi4ELi3EEvPKT_PKfPKiS7_S7_Pfiiiiiiiiiiiiii15HIP_vector_typeIjLj3EESA_
	.p2align	8
	.type	_ZL13mul_mat_f_idsI7__half2Li32ELi4ELi3EEvPKT_PKfPKiS7_S7_Pfiiiiiiiiiiiiii15HIP_vector_typeIjLj3EESA_,@function
_ZL13mul_mat_f_idsI7__half2Li32ELi4ELi3EEvPKT_PKfPKiS7_S7_Pfiiiiiiiiiiiiii15HIP_vector_typeIjLj3EESA_: ; @_ZL13mul_mat_f_idsI7__half2Li32ELi4ELi3EEvPKT_PKfPKiS7_S7_Pfiiiiiiiiiiiiii15HIP_vector_typeIjLj3EESA_
; %bb.0:
	s_load_b64 s[4:5], s[0:1], 0x20
	s_and_b32 s2, ttmp7, 0xffff
	s_delay_alu instid0(SALU_CYCLE_1) | instskip(SKIP_4) | instid1(SALU_CYCLE_1)
	s_lshl_b32 s3, s2, 2
	s_wait_kmcnt 0x0
	s_load_b64 s[26:27], s[4:5], s3 offset:0x0
	s_wait_kmcnt 0x0
	s_sub_co_i32 s19, s27, s26
	s_add_co_i32 s3, s19, 3
	s_delay_alu instid0(SALU_CYCLE_1) | instskip(NEXT) | instid1(SALU_CYCLE_1)
	s_ashr_i32 s4, s3, 31
	s_lshr_b32 s4, s4, 30
	s_delay_alu instid0(SALU_CYCLE_1) | instskip(NEXT) | instid1(SALU_CYCLE_1)
	s_add_co_i32 s3, s3, s4
	s_ashr_i32 s4, s3, 2
	s_lshr_b32 s3, ttmp7, 16
	s_delay_alu instid0(SALU_CYCLE_1)
	s_cmp_ge_i32 s3, s4
	s_cbranch_scc1 .LBB33_26
; %bb.1:
	s_clause 0x3
	s_load_b128 s[4:7], s[0:1], 0x30
	s_load_b64 s[20:21], s[0:1], 0x40
	s_load_b128 s[8:11], s[0:1], 0x68
	s_load_b64 s[22:23], s[0:1], 0x78
	v_bfe_u32 v51, v0, 10, 10
	v_and_b32_e32 v52, 0x3ff, v0
	s_ashr_i32 s27, s26, 31
	s_mov_b32 s12, exec_lo
	s_delay_alu instid0(VALU_DEP_2) | instskip(NEXT) | instid1(VALU_DEP_2)
	v_lshlrev_b32_e32 v53, 5, v51
	v_and_b32_e32 v54, 15, v52
	s_delay_alu instid0(VALU_DEP_2) | instskip(SKIP_1) | instid1(VALU_DEP_1)
	v_add_nc_u32_e32 v48, v53, v52
	s_wait_kmcnt 0x0
	v_cmpx_le_i32_e64 s4, v48
	s_xor_b32 s12, exec_lo, s12
; %bb.2:
	v_and_b32_e32 v54, 15, v52
                                        ; implicit-def: $vgpr48
; %bb.3:
	s_or_saveexec_b32 s37, s12
	s_clause 0x1
	s_load_b64 s[24:25], s[0:1], 0x28
	s_load_b96 s[16:18], s[0:1], 0x4c
	v_mov_b32_e32 v7, 0
	s_lshl_b32 s36, ttmp9, 5
	s_lshl_b32 s33, s3, 2
	s_delay_alu instid0(VALU_DEP_1)
	v_dual_mov_b32 v6, v7 :: v_dual_mov_b32 v5, v7
	v_dual_mov_b32 v4, v7 :: v_dual_mov_b32 v3, v7
	;; [unrolled: 1-line block ×7, first 2 shown]
	v_mov_b32_e32 v8, v7
	s_xor_b32 exec_lo, exec_lo, s37
	s_cbranch_execz .LBB33_19
; %bb.4:
	s_clause 0x1
	s_load_b128 s[12:15], s[0:1], 0x0
	s_load_b64 s[28:29], s[0:1], 0x10
	s_wait_kmcnt 0x0
	s_mul_i32 s30, s16, s2
	s_mul_i32 s34, s7, s36
	s_ashr_i32 s31, s30, 31
	s_ashr_i32 s35, s34, 31
	s_lshl_b64 s[38:39], s[26:27], 2
	s_lshl_b64 s[68:69], s[30:31], 2
	;; [unrolled: 1-line block ×3, first 2 shown]
	s_cmp_lt_i32 s33, s19
	v_mad_u32_u24 v0, 0x900, v51, 0
	v_dual_mov_b32 v8, 0 :: v_dual_lshlrev_b32 v1, 2, v52
	v_mul_u32_u24_e32 v2, 0x90, v54
	s_cselect_b32 s16, -1, 0
	s_or_b32 s30, s33, 1
	v_mov_b32_e32 v57, 0
	v_and_b32_e32 v3, 0x3f0, v52
	s_lshl_b32 s2, s33, 2
	s_cmp_lt_i32 s30, s19
	s_add_nc_u64 s[30:31], s[12:13], s[68:69]
	s_add_nc_u64 s[34:35], s[28:29], s[38:39]
	;; [unrolled: 1-line block ×3, first 2 shown]
	s_cselect_b32 s38, -1, 0
	s_or_b32 s30, s33, 2
	v_dual_mov_b32 v10, v57 :: v_dual_add_nc_u32 v55, v0, v1
	v_add3_u32 v56, v0, v2, v3
	v_dual_mov_b32 v9, v57 :: v_dual_lshlrev_b32 v0, 7, v51
	s_mov_b32 s3, 0
	s_cmp_lt_i32 s30, s19
	s_add_nc_u64 s[30:31], s[34:35], s[2:3]
	s_cselect_b32 s39, -1, 0
	s_or_b32 s2, s33, 3
	s_add_nc_u64 s[68:69], s[68:69], s[70:71]
	s_cmp_lt_i32 s2, s19
	v_add_co_u32 v0, s2, s68, v0
	s_delay_alu instid0(VALU_DEP_1) | instskip(SKIP_2) | instid1(VALU_DEP_1)
	v_add_co_ci_u32_e64 v2, null, s69, 0, s2
	s_mov_b32 s34, s8
	v_add_co_u32 v0, vcc_lo, v0, v1
	v_add_co_ci_u32_e64 v1, null, 0, v2, vcc_lo
	s_cselect_b32 s8, -1, 0
	v_add_co_u32 v49, vcc_lo, s12, v0
	s_wait_alu 0xfffd
	v_add_co_ci_u32_e64 v50, null, s13, v1, vcc_lo
	v_dual_mov_b32 v0, 0 :: v_dual_mov_b32 v11, v57
	v_mov_b32_e32 v14, v57
	v_dual_mov_b32 v12, v57 :: v_dual_mov_b32 v13, v57
	v_dual_mov_b32 v2, v57 :: v_dual_mov_b32 v15, v57
	v_dual_mov_b32 v4, v57 :: v_dual_mov_b32 v1, v57
	v_dual_mov_b32 v6, v57 :: v_dual_mov_b32 v3, v57
	v_mov_b32_e32 v5, v57
	v_mov_b32_e32 v7, v57
	s_ashr_i32 s73, s7, 31
	s_mov_b32 s72, s7
	s_mov_b32 s35, s3
	s_add_co_i32 s40, s7, s7
	s_mul_i32 s41, s7, 3
	s_lshl_b32 s42, s7, 2
	s_mul_i32 s43, s7, 5
	s_mul_i32 s44, s7, 6
	;; [unrolled: 1-line block ×3, first 2 shown]
	s_lshl_b32 s46, s7, 3
	s_mul_i32 s47, s7, 9
	s_mul_i32 s48, s7, 10
	s_mul_i32 s49, s7, 11
	s_mul_i32 s50, s7, 12
	s_mul_i32 s51, s7, 13
	s_mul_i32 s52, s7, 14
	s_mul_i32 s53, s7, 15
	s_lshl_b32 s54, s7, 4
	s_mul_i32 s55, s7, 17
	s_mul_i32 s56, s7, 18
	;; [unrolled: 1-line block ×15, first 2 shown]
	s_lshl_b64 s[12:13], s[72:73], 2
	s_mov_b32 s69, 0
	s_branch .LBB33_6
.LBB33_5:                               ;   in Loop: Header=BB33_6 Depth=1
	v_perm_b32 v58, v58, v59, 0x5040100
	v_perm_b32 v59, v61, v62, 0x5040100
	;; [unrolled: 1-line block ×4, first 2 shown]
	v_add_nc_u32_e32 v62, 0x400, v55
	ds_store_2addr_b32 v55, v58, v59 offset1:36
	ds_store_2addr_b32 v55, v60, v61 offset0:72 offset1:108
	ds_store_2addr_b32 v55, v57, v57 offset0:144 offset1:180
	v_add_nc_u32_e32 v58, 0x600, v55
	ds_store_2addr_b32 v55, v57, v57 offset0:216 offset1:252
	ds_store_2addr_b32 v62, v57, v57 offset0:32 offset1:68
	ds_store_2addr_b32 v62, v57, v57 offset0:104 offset1:140
	ds_store_2addr_b32 v62, v57, v57 offset0:176 offset1:212
	ds_store_2addr_b32 v58, v57, v57 offset0:120 offset1:156
	ds_load_b128 v[58:61], v56
	ds_load_b128 v[62:65], v56 offset:32
	ds_load_b128 v[66:69], v56 offset:64
	;; [unrolled: 1-line block ×3, first 2 shown]
	v_add_nc_u32_e32 v48, 0x60, v48
	v_add_co_u32 v49, s2, 0x180, v49
	s_wait_alu 0xf1ff
	v_add_co_ci_u32_e64 v50, null, 0, v50, s2
	s_delay_alu instid0(VALU_DEP_3)
	v_cmp_le_i32_e32 vcc_lo, s4, v48
	s_or_b32 s69, vcc_lo, s69
	s_wait_dscnt 0x3
	v_wmma_f32_16x16x16_f16 v[8:15], v[32:35], v[58:61], v[8:15]
	v_wmma_f32_16x16x16_f16 v[0:7], v[44:47], v[58:61], v[0:7]
	s_wait_dscnt 0x2
	s_delay_alu instid0(VALU_DEP_2) | instskip(NEXT) | instid1(VALU_DEP_2)
	v_wmma_f32_16x16x16_f16 v[8:15], v[28:31], v[62:65], v[8:15]
	v_wmma_f32_16x16x16_f16 v[0:7], v[40:43], v[62:65], v[0:7]
	s_wait_dscnt 0x1
	s_delay_alu instid0(VALU_DEP_2) | instskip(NEXT) | instid1(VALU_DEP_2)
	;; [unrolled: 4-line block ×3, first 2 shown]
	v_wmma_f32_16x16x16_f16 v[8:15], v[16:19], v[70:73], v[8:15]
	v_wmma_f32_16x16x16_f16 v[0:7], v[20:23], v[70:73], v[0:7]
	s_wait_alu 0xfffe
	s_and_not1_b32 exec_lo, exec_lo, s69
	s_cbranch_execz .LBB33_18
.LBB33_6:                               ; =>This Inner Loop Header: Depth=1
	v_add_nc_u32_e32 v22, s42, v48
	v_add_nc_u32_e32 v16, s40, v48
	s_wait_alu 0xfffe
	v_add_co_u32 v20, vcc_lo, v49, s12
	v_add_nc_u32_e32 v18, s41, v48
	s_wait_alu 0xfffd
	v_add_co_ci_u32_e64 v21, null, s13, v50, vcc_lo
	v_ashrrev_i32_e32 v23, 31, v22
	v_ashrrev_i32_e32 v17, 31, v16
	v_add_nc_u32_e32 v24, s43, v48
	v_ashrrev_i32_e32 v19, 31, v18
	s_clause 0x1
	global_load_b32 v38, v[49:50], off
	global_load_b32 v39, v[20:21], off
	v_lshlrev_b64_e32 v[20:21], 2, v[22:23]
	v_add_nc_u32_e32 v22, s44, v48
	v_lshlrev_b64_e32 v[16:17], 2, v[16:17]
	v_add_nc_u32_e32 v26, s45, v48
	v_ashrrev_i32_e32 v25, 31, v24
	v_lshlrev_b64_e32 v[18:19], 2, v[18:19]
	v_add_nc_u32_e32 v28, s46, v48
	v_ashrrev_i32_e32 v23, 31, v22
	v_add_nc_u32_e32 v30, s47, v48
	v_ashrrev_i32_e32 v27, 31, v26
	v_add_co_u32 v16, vcc_lo, s28, v16
	v_lshlrev_b64_e32 v[24:25], 2, v[24:25]
	v_ashrrev_i32_e32 v29, 31, v28
	s_wait_alu 0xfffd
	v_add_co_ci_u32_e64 v17, null, s29, v17, vcc_lo
	v_add_co_u32 v18, vcc_lo, s28, v18
	v_lshlrev_b64_e32 v[22:23], 2, v[22:23]
	v_ashrrev_i32_e32 v31, 31, v30
	s_wait_alu 0xfffd
	v_add_co_ci_u32_e64 v19, null, s29, v19, vcc_lo
	v_add_co_u32 v20, vcc_lo, s28, v20
	v_lshlrev_b64_e32 v[26:27], 2, v[26:27]
	s_wait_alu 0xfffd
	v_add_co_ci_u32_e64 v21, null, s29, v21, vcc_lo
	v_add_co_u32 v24, vcc_lo, s28, v24
	v_lshlrev_b64_e32 v[28:29], 2, v[28:29]
	;; [unrolled: 4-line block ×3, first 2 shown]
	s_wait_alu 0xfffd
	v_add_co_ci_u32_e64 v23, null, s29, v23, vcc_lo
	v_add_co_u32 v26, vcc_lo, s28, v26
	v_add_nc_u32_e32 v32, s48, v48
	s_wait_alu 0xfffd
	v_add_co_ci_u32_e64 v27, null, s29, v27, vcc_lo
	v_add_co_u32 v28, vcc_lo, s28, v28
	v_add_nc_u32_e32 v34, s49, v48
	;; [unrolled: 4-line block ×3, first 2 shown]
	v_ashrrev_i32_e32 v33, 31, v32
	s_wait_alu 0xfffd
	v_add_co_ci_u32_e64 v31, null, s29, v31, vcc_lo
	s_clause 0x7
	global_load_b32 v40, v[16:17], off
	global_load_b32 v41, v[18:19], off
	;; [unrolled: 1-line block ×8, first 2 shown]
	v_add_nc_u32_e32 v18, s51, v48
	v_ashrrev_i32_e32 v35, 31, v34
	v_add_nc_u32_e32 v24, s52, v48
	v_ashrrev_i32_e32 v37, 31, v36
	v_lshlrev_b64_e32 v[32:33], 2, v[32:33]
	v_add_nc_u32_e32 v26, s53, v48
	v_ashrrev_i32_e32 v19, 31, v18
	v_lshlrev_b64_e32 v[16:17], 2, v[34:35]
	;; [unrolled: 3-line block ×3, first 2 shown]
	v_add_nc_u32_e32 v30, s55, v48
	v_ashrrev_i32_e32 v27, 31, v26
	v_add_co_u32 v20, vcc_lo, s28, v32
	v_lshlrev_b64_e32 v[18:19], 2, v[18:19]
	v_ashrrev_i32_e32 v29, 31, v28
	s_wait_alu 0xfffd
	v_add_co_ci_u32_e64 v21, null, s29, v33, vcc_lo
	v_add_co_u32 v16, vcc_lo, s28, v16
	v_lshlrev_b64_e32 v[24:25], 2, v[24:25]
	v_ashrrev_i32_e32 v31, 31, v30
	s_wait_alu 0xfffd
	v_add_co_ci_u32_e64 v17, null, s29, v17, vcc_lo
	v_add_co_u32 v22, vcc_lo, s28, v22
	v_lshlrev_b64_e32 v[26:27], 2, v[26:27]
	s_wait_alu 0xfffd
	v_add_co_ci_u32_e64 v23, null, s29, v23, vcc_lo
	v_add_co_u32 v18, vcc_lo, s28, v18
	v_lshlrev_b64_e32 v[28:29], 2, v[28:29]
	;; [unrolled: 4-line block ×3, first 2 shown]
	s_wait_alu 0xfffd
	v_add_co_ci_u32_e64 v25, null, s29, v25, vcc_lo
	v_add_co_u32 v26, vcc_lo, s28, v26
	v_add_nc_u32_e32 v32, s56, v48
	s_wait_alu 0xfffd
	v_add_co_ci_u32_e64 v27, null, s29, v27, vcc_lo
	v_add_co_u32 v28, vcc_lo, s28, v28
	v_add_nc_u32_e32 v34, s57, v48
	;; [unrolled: 4-line block ×3, first 2 shown]
	v_ashrrev_i32_e32 v33, 31, v32
	s_wait_alu 0xfffd
	v_add_co_ci_u32_e64 v31, null, s29, v31, vcc_lo
	s_clause 0x7
	global_load_b32 v58, v[20:21], off
	global_load_b32 v59, v[16:17], off
	;; [unrolled: 1-line block ×8, first 2 shown]
	v_add_nc_u32_e32 v18, s59, v48
	v_ashrrev_i32_e32 v35, 31, v34
	v_add_nc_u32_e32 v24, s60, v48
	v_ashrrev_i32_e32 v37, 31, v36
	v_lshlrev_b64_e32 v[32:33], 2, v[32:33]
	v_add_nc_u32_e32 v26, s61, v48
	v_ashrrev_i32_e32 v19, 31, v18
	v_lshlrev_b64_e32 v[16:17], 2, v[34:35]
	;; [unrolled: 3-line block ×3, first 2 shown]
	v_add_nc_u32_e32 v30, s63, v48
	v_ashrrev_i32_e32 v27, 31, v26
	v_add_co_u32 v20, vcc_lo, s28, v32
	v_lshlrev_b64_e32 v[18:19], 2, v[18:19]
	v_ashrrev_i32_e32 v29, 31, v28
	s_wait_alu 0xfffd
	v_add_co_ci_u32_e64 v21, null, s29, v33, vcc_lo
	v_add_co_u32 v16, vcc_lo, s28, v16
	v_lshlrev_b64_e32 v[24:25], 2, v[24:25]
	v_ashrrev_i32_e32 v31, 31, v30
	s_wait_alu 0xfffd
	v_add_co_ci_u32_e64 v17, null, s29, v17, vcc_lo
	v_add_co_u32 v22, vcc_lo, s28, v22
	v_lshlrev_b64_e32 v[26:27], 2, v[26:27]
	s_wait_alu 0xfffd
	v_add_co_ci_u32_e64 v23, null, s29, v23, vcc_lo
	v_add_co_u32 v18, vcc_lo, s28, v18
	v_lshlrev_b64_e32 v[28:29], 2, v[28:29]
	;; [unrolled: 4-line block ×3, first 2 shown]
	s_wait_alu 0xfffd
	v_add_co_ci_u32_e64 v25, null, s29, v25, vcc_lo
	v_add_co_u32 v26, vcc_lo, s28, v26
	v_add_nc_u32_e32 v32, s64, v48
	s_wait_alu 0xfffd
	v_add_co_ci_u32_e64 v27, null, s29, v27, vcc_lo
	v_add_co_u32 v28, vcc_lo, s28, v28
	v_add_nc_u32_e32 v34, s65, v48
	;; [unrolled: 4-line block ×3, first 2 shown]
	v_ashrrev_i32_e32 v33, 31, v32
	s_wait_alu 0xfffd
	v_add_co_ci_u32_e64 v31, null, s29, v31, vcc_lo
	s_clause 0x7
	global_load_b32 v66, v[20:21], off
	global_load_b32 v67, v[16:17], off
	;; [unrolled: 1-line block ×8, first 2 shown]
	v_add_nc_u32_e32 v18, s67, v48
	v_ashrrev_i32_e32 v35, 31, v34
	v_add_nc_u32_e32 v24, s68, v48
	v_ashrrev_i32_e32 v37, 31, v36
	v_lshlrev_b64_e32 v[32:33], 2, v[32:33]
	v_add_nc_u32_e32 v26, s7, v48
	v_ashrrev_i32_e32 v19, 31, v18
	v_lshlrev_b64_e32 v[16:17], 2, v[34:35]
	v_ashrrev_i32_e32 v25, 31, v24
	v_lshlrev_b64_e32 v[22:23], 2, v[36:37]
	v_ashrrev_i32_e32 v27, 31, v26
	v_add_co_u32 v20, vcc_lo, s28, v32
	v_lshlrev_b64_e32 v[18:19], 2, v[18:19]
	s_wait_alu 0xfffd
	v_add_co_ci_u32_e64 v21, null, s29, v33, vcc_lo
	v_add_co_u32 v16, vcc_lo, s28, v16
	v_lshlrev_b64_e32 v[24:25], 2, v[24:25]
	s_wait_alu 0xfffd
	v_add_co_ci_u32_e64 v17, null, s29, v17, vcc_lo
	;; [unrolled: 4-line block ×3, first 2 shown]
	v_add_co_u32 v18, vcc_lo, s28, v18
	s_wait_alu 0xfffd
	v_add_co_ci_u32_e64 v19, null, s29, v19, vcc_lo
	v_add_co_u32 v24, vcc_lo, s28, v24
	s_wait_alu 0xfffd
	v_add_co_ci_u32_e64 v25, null, s29, v25, vcc_lo
	;; [unrolled: 3-line block ×3, first 2 shown]
	s_clause 0x5
	global_load_b32 v20, v[20:21], off
	global_load_b32 v21, v[16:17], off
	;; [unrolled: 1-line block ×6, first 2 shown]
	s_and_not1_b32 vcc_lo, exec_lo, s16
	s_wait_loadcnt 0x1f
	ds_store_b32 v55, v38
	s_wait_loadcnt 0x1e
	ds_store_b32 v55, v39 offset:144
	s_wait_loadcnt 0x1d
	ds_store_b32 v55, v40 offset:288
	;; [unrolled: 2-line block ×15, first 2 shown]
	ds_load_b128 v[32:35], v56
	ds_load_b128 v[28:31], v56 offset:32
	ds_load_b128 v[24:27], v56 offset:64
	ds_load_b128 v[16:19], v56 offset:96
	s_wait_loadcnt 0xf
	ds_store_b32 v55, v64
	s_wait_loadcnt 0xe
	ds_store_b32 v55, v65 offset:144
	s_wait_loadcnt 0xd
	ds_store_b32 v55, v66 offset:288
	;; [unrolled: 2-line block ×15, first 2 shown]
	ds_load_b128 v[44:47], v56
	ds_load_b128 v[40:43], v56 offset:32
	ds_load_b128 v[36:39], v56 offset:64
	ds_load_b128 v[20:23], v56 offset:96
	v_dual_mov_b32 v59, 0 :: v_dual_mov_b32 v58, 0
	s_wait_alu 0xfffe
	s_cbranch_vccnz .LBB33_9
; %bb.7:                                ;   in Loop: Header=BB33_6 Depth=1
	s_load_b32 s2, s[30:31], 0x0
	v_dual_mov_b32 v58, 0 :: v_dual_mov_b32 v59, 0
	s_wait_kmcnt 0x0
	s_mul_u64 s[70:71], s[2:3], s[34:35]
	s_wait_alu 0xfffe
	s_add_co_i32 s70, s2, s71
	s_wait_alu 0xfffe
	s_lshr_b32 s70, s70, s9
	s_wait_alu 0xfffe
	s_cmp_ge_i32 s70, s5
	s_cbranch_scc1 .LBB33_9
; %bb.8:                                ;   in Loop: Header=BB33_6 Depth=1
	v_mad_co_u64_u32 v[58:59], null, s70, s20, v[48:49]
	s_mul_i32 s70, s70, s10
	s_wait_alu 0xfffe
	s_sub_co_i32 s2, s2, s70
	s_wait_alu 0xfffe
	s_mul_i32 s2, s2, s17
	s_wait_alu 0xfffe
	v_lshl_add_u32 v58, v58, 1, s2
	s_delay_alu instid0(VALU_DEP_1) | instskip(NEXT) | instid1(VALU_DEP_1)
	v_ashrrev_i32_e32 v59, 31, v58
	v_lshlrev_b64_e32 v[58:59], 2, v[58:59]
	s_delay_alu instid0(VALU_DEP_1) | instskip(SKIP_1) | instid1(VALU_DEP_2)
	v_add_co_u32 v58, vcc_lo, s14, v58
	s_wait_alu 0xfffd
	v_add_co_ci_u32_e64 v59, null, s15, v59, vcc_lo
	global_load_b64 v[59:60], v[58:59], off
	s_wait_loadcnt 0x0
	v_cvt_f16_f32_e32 v59, v59
	v_cvt_f16_f32_e32 v58, v60
.LBB33_9:                               ;   in Loop: Header=BB33_6 Depth=1
	v_dual_mov_b32 v60, 0 :: v_dual_mov_b32 v61, 0
	v_mov_b32_e32 v62, 0
	s_and_not1_b32 vcc_lo, exec_lo, s38
	s_wait_alu 0xfffe
	s_cbranch_vccnz .LBB33_12
; %bb.10:                               ;   in Loop: Header=BB33_6 Depth=1
	s_load_b32 s2, s[30:31], 0x4
	v_dual_mov_b32 v61, 0 :: v_dual_mov_b32 v62, 0
	s_wait_kmcnt 0x0
	s_mul_u64 s[70:71], s[2:3], s[34:35]
	s_wait_alu 0xfffe
	s_add_co_i32 s70, s2, s71
	s_wait_alu 0xfffe
	s_lshr_b32 s70, s70, s9
	s_wait_alu 0xfffe
	s_cmp_ge_i32 s70, s5
	s_cbranch_scc1 .LBB33_12
; %bb.11:                               ;   in Loop: Header=BB33_6 Depth=1
	v_mad_co_u64_u32 v[61:62], null, s70, s20, v[48:49]
	s_mul_i32 s70, s70, s10
	s_wait_alu 0xfffe
	s_sub_co_i32 s2, s2, s70
	s_wait_alu 0xfffe
	s_mul_i32 s2, s2, s17
	s_wait_alu 0xfffe
	v_lshl_add_u32 v61, v61, 1, s2
	s_delay_alu instid0(VALU_DEP_1) | instskip(NEXT) | instid1(VALU_DEP_1)
	v_ashrrev_i32_e32 v62, 31, v61
	v_lshlrev_b64_e32 v[61:62], 2, v[61:62]
	s_delay_alu instid0(VALU_DEP_1) | instskip(SKIP_1) | instid1(VALU_DEP_2)
	v_add_co_u32 v61, vcc_lo, s14, v61
	s_wait_alu 0xfffd
	v_add_co_ci_u32_e64 v62, null, s15, v62, vcc_lo
	global_load_b64 v[62:63], v[61:62], off
	s_wait_loadcnt 0x0
	v_cvt_f16_f32_e32 v62, v62
	v_cvt_f16_f32_e32 v61, v63
.LBB33_12:                              ;   in Loop: Header=BB33_6 Depth=1
	v_mov_b32_e32 v63, 0
	s_and_not1_b32 vcc_lo, exec_lo, s39
	s_wait_alu 0xfffe
	s_cbranch_vccnz .LBB33_15
; %bb.13:                               ;   in Loop: Header=BB33_6 Depth=1
	s_load_b32 s2, s[30:31], 0x8
	v_dual_mov_b32 v63, 0 :: v_dual_mov_b32 v60, 0
	s_wait_kmcnt 0x0
	s_mul_u64 s[70:71], s[2:3], s[34:35]
	s_wait_alu 0xfffe
	s_add_co_i32 s70, s2, s71
	s_wait_alu 0xfffe
	s_lshr_b32 s70, s70, s9
	s_wait_alu 0xfffe
	s_cmp_ge_i32 s70, s5
	s_cbranch_scc1 .LBB33_15
; %bb.14:                               ;   in Loop: Header=BB33_6 Depth=1
	v_mad_co_u64_u32 v[63:64], null, s70, s20, v[48:49]
	s_mul_i32 s70, s70, s10
	s_wait_alu 0xfffe
	s_sub_co_i32 s2, s2, s70
	s_wait_alu 0xfffe
	s_mul_i32 s2, s2, s17
	s_wait_alu 0xfffe
	v_lshl_add_u32 v63, v63, 1, s2
	s_delay_alu instid0(VALU_DEP_1) | instskip(NEXT) | instid1(VALU_DEP_1)
	v_ashrrev_i32_e32 v64, 31, v63
	v_lshlrev_b64_e32 v[63:64], 2, v[63:64]
	s_delay_alu instid0(VALU_DEP_1) | instskip(SKIP_1) | instid1(VALU_DEP_2)
	v_add_co_u32 v63, vcc_lo, s14, v63
	s_wait_alu 0xfffd
	v_add_co_ci_u32_e64 v64, null, s15, v64, vcc_lo
	global_load_b64 v[63:64], v[63:64], off
	s_wait_loadcnt 0x0
	v_cvt_f16_f32_e32 v60, v63
	v_cvt_f16_f32_e32 v63, v64
.LBB33_15:                              ;   in Loop: Header=BB33_6 Depth=1
	v_dual_mov_b32 v64, 0 :: v_dual_mov_b32 v65, 0
	s_and_not1_b32 vcc_lo, exec_lo, s8
	s_wait_alu 0xfffe
	s_cbranch_vccnz .LBB33_5
; %bb.16:                               ;   in Loop: Header=BB33_6 Depth=1
	s_load_b32 s2, s[30:31], 0xc
	v_dual_mov_b32 v65, 0 :: v_dual_mov_b32 v64, 0
	s_wait_kmcnt 0x0
	s_mul_u64 s[70:71], s[2:3], s[34:35]
	s_wait_alu 0xfffe
	s_add_co_i32 s70, s2, s71
	s_wait_alu 0xfffe
	s_lshr_b32 s70, s70, s9
	s_wait_alu 0xfffe
	s_cmp_ge_i32 s70, s5
	s_cbranch_scc1 .LBB33_5
; %bb.17:                               ;   in Loop: Header=BB33_6 Depth=1
	v_mad_co_u64_u32 v[64:65], null, s70, s20, v[48:49]
	s_mul_i32 s70, s70, s10
	s_wait_alu 0xfffe
	s_sub_co_i32 s2, s2, s70
	s_wait_alu 0xfffe
	s_mul_i32 s2, s2, s17
	s_wait_alu 0xfffe
	v_lshl_add_u32 v64, v64, 1, s2
	s_delay_alu instid0(VALU_DEP_1) | instskip(NEXT) | instid1(VALU_DEP_1)
	v_ashrrev_i32_e32 v65, 31, v64
	v_lshlrev_b64_e32 v[64:65], 2, v[64:65]
	s_delay_alu instid0(VALU_DEP_1) | instskip(SKIP_1) | instid1(VALU_DEP_2)
	v_add_co_u32 v64, vcc_lo, s14, v64
	s_wait_alu 0xfffd
	v_add_co_ci_u32_e64 v65, null, s15, v65, vcc_lo
	global_load_b64 v[64:65], v[64:65], off
	s_wait_loadcnt 0x0
	v_cvt_f16_f32_e32 v64, v64
	v_cvt_f16_f32_e32 v65, v65
	s_branch .LBB33_5
.LBB33_18:
	s_or_b32 exec_lo, exec_lo, s69
.LBB33_19:
	s_delay_alu instid0(SALU_CYCLE_1) | instskip(SKIP_4) | instid1(VALU_DEP_3)
	s_or_b32 exec_lo, exec_lo, s37
	v_lshlrev_b32_e32 v16, 1, v52
	s_load_b64 s[0:1], s[0:1], 0x18
	v_lshl_add_u32 v17, v53, 2, 0
	v_mul_u32_u24_e32 v18, 0x190, v54
	v_and_b32_e32 v16, 0x7e0, v16
	s_barrier_signal -1
	s_barrier_wait -1
	global_inv scope:SCOPE_SE
	s_lshl_b64 s[8:9], s[26:27], 2
	v_add3_u32 v16, v17, v18, v16
	s_cmp_gt_i32 s6, 0
	s_mov_b32 s3, 0
	s_mov_b32 s2, s11
	ds_store_2addr_b32 v16, v8, v9 offset1:1
	ds_store_2addr_b32 v16, v10, v11 offset0:2 offset1:3
	ds_store_2addr_b32 v16, v12, v13 offset0:4 offset1:5
	;; [unrolled: 1-line block ×7, first 2 shown]
	v_add_nc_u32_e32 v0, s33, v51
	v_lshl_add_u32 v3, v52, 2, 0
	v_add_nc_u32_e32 v2, s36, v52
	s_wait_loadcnt_dscnt 0x0
	s_barrier_signal -1
	v_cmp_gt_i32_e32 vcc_lo, s19, v0
	s_wait_kmcnt 0x0
	s_add_nc_u64 s[8:9], s[0:1], s[8:9]
	v_cmp_gt_u32_e64 s0, 4, v51
	s_cselect_b32 s1, -1, 0
	s_barrier_wait -1
	s_and_b32 s4, s1, vcc_lo
	global_inv scope:SCOPE_SE
	s_wait_alu 0xfffe
	s_and_b32 s4, s0, s4
	s_wait_alu 0xfffe
	s_and_saveexec_b32 s0, s4
	s_cbranch_execz .LBB33_22
; %bb.20:
	v_ashrrev_i32_e32 v1, 31, v0
	s_delay_alu instid0(VALU_DEP_1) | instskip(NEXT) | instid1(VALU_DEP_1)
	v_lshlrev_b64_e32 v[0:1], 2, v[0:1]
	v_add_co_u32 v0, vcc_lo, s8, v0
	s_wait_alu 0xfffd
	s_delay_alu instid0(VALU_DEP_2) | instskip(SKIP_3) | instid1(VALU_DEP_1)
	v_add_co_ci_u32_e64 v1, null, s9, v1, vcc_lo
	global_load_b32 v0, v[0:1], off
	s_wait_loadcnt 0x0
	v_mul_hi_u32 v1, v0, s2
	v_add_nc_u32_e32 v1, v0, v1
	s_delay_alu instid0(VALU_DEP_1) | instskip(NEXT) | instid1(VALU_DEP_1)
	v_lshrrev_b32_e32 v1, s22, v1
	v_cmp_gt_i32_e32 vcc_lo, s5, v1
	s_and_b32 exec_lo, exec_lo, vcc_lo
	s_cbranch_execz .LBB33_22
; %bb.21:
	v_mad_u32_u24 v6, 0x190, v51, v3
	v_mul_lo_u32 v7, v1, s23
	ds_load_2addr_b32 v[4:5], v6 offset1:32
	ds_load_b32 v6, v6 offset:256
	v_sub_nc_u32_e32 v0, v0, v7
	v_mul_lo_u32 v7, v1, s21
	v_mov_b32_e32 v1, 0
	s_delay_alu instid0(VALU_DEP_3) | instskip(NEXT) | instid1(VALU_DEP_1)
	v_mul_lo_u32 v0, v0, s18
	v_add3_u32 v0, v2, v7, v0
	s_wait_dscnt 0x1
	v_add_f32_e32 v4, 0, v4
	s_delay_alu instid0(VALU_DEP_2) | instskip(NEXT) | instid1(VALU_DEP_2)
	v_lshlrev_b64_e32 v[0:1], 2, v[0:1]
	v_add_f32_e32 v4, v4, v5
	s_delay_alu instid0(VALU_DEP_2) | instskip(SKIP_1) | instid1(VALU_DEP_2)
	v_add_co_u32 v0, vcc_lo, s24, v0
	s_wait_dscnt 0x0
	v_add_f32_e32 v4, v4, v6
	s_wait_alu 0xfffd
	v_add_co_ci_u32_e64 v1, null, s25, v1, vcc_lo
	global_store_b32 v[0:1], v4, off
.LBB33_22:
	s_or_b32 exec_lo, exec_lo, s0
	s_delay_alu instid0(SALU_CYCLE_1)
	s_mov_b32 s0, exec_lo
	v_cmpx_eq_u32_e32 0, v51
	s_cbranch_execz .LBB33_26
; %bb.23:
	s_or_b32 s0, s33, 3
	s_delay_alu instid0(SALU_CYCLE_1) | instskip(SKIP_2) | instid1(SALU_CYCLE_1)
	s_cmp_ge_i32 s0, s19
	s_cselect_b32 s0, -1, 0
	s_xor_b32 s1, s1, -1
	s_or_b32 s0, s1, s0
	s_delay_alu instid0(SALU_CYCLE_1)
	s_and_b32 vcc_lo, exec_lo, s0
	s_wait_alu 0xfffe
	s_cbranch_vccnz .LBB33_26
; %bb.24:
	s_lshl_b32 s0, s33, 2
	s_mov_b32 s1, 0
	s_load_b32 s0, s[8:9], s0 offset:0xc
	s_wait_kmcnt 0x0
	s_mul_u64 s[2:3], s[0:1], s[2:3]
	s_wait_alu 0xfffe
	s_add_co_i32 s1, s0, s3
	s_delay_alu instid0(SALU_CYCLE_1) | instskip(NEXT) | instid1(SALU_CYCLE_1)
	s_lshr_b32 s1, s1, s22
	s_cmp_ge_i32 s1, s5
	s_cbranch_scc1 .LBB33_26
; %bb.25:
	v_add_nc_u32_e32 v0, 0x400, v3
	s_mul_i32 s2, s1, s23
	s_mul_i32 s1, s1, s21
	s_wait_alu 0xfffe
	s_sub_co_i32 s0, s0, s2
	ds_load_2addr_b32 v[0:1], v0 offset0:44 offset1:76
	ds_load_b32 v4, v3 offset:1456
	s_mul_i32 s0, s0, s18
	v_mov_b32_e32 v3, 0
	v_add3_u32 v2, s0, s1, v2
	s_wait_dscnt 0x1
	v_add_f32_e32 v0, 0, v0
	s_delay_alu instid0(VALU_DEP_1) | instskip(NEXT) | instid1(VALU_DEP_3)
	v_add_f32_e32 v5, v0, v1
	v_lshlrev_b64_e32 v[0:1], 2, v[2:3]
	s_wait_dscnt 0x0
	s_delay_alu instid0(VALU_DEP_2) | instskip(NEXT) | instid1(VALU_DEP_2)
	v_add_f32_e32 v2, v5, v4
	v_add_co_u32 v0, vcc_lo, s24, v0
	s_wait_alu 0xfffd
	s_delay_alu instid0(VALU_DEP_3)
	v_add_co_ci_u32_e64 v1, null, s25, v1, vcc_lo
	global_store_b32 v[0:1], v2, off
.LBB33_26:
	s_endpgm
	.section	.rodata,"a",@progbits
	.p2align	6, 0x0
	.amdhsa_kernel _ZL13mul_mat_f_idsI7__half2Li32ELi4ELi3EEvPKT_PKfPKiS7_S7_Pfiiiiiiiiiiiiii15HIP_vector_typeIjLj3EESA_
		.amdhsa_group_segment_fixed_size 0
		.amdhsa_private_segment_fixed_size 0
		.amdhsa_kernarg_size 128
		.amdhsa_user_sgpr_count 2
		.amdhsa_user_sgpr_dispatch_ptr 0
		.amdhsa_user_sgpr_queue_ptr 0
		.amdhsa_user_sgpr_kernarg_segment_ptr 1
		.amdhsa_user_sgpr_dispatch_id 0
		.amdhsa_user_sgpr_private_segment_size 0
		.amdhsa_wavefront_size32 1
		.amdhsa_uses_dynamic_stack 0
		.amdhsa_enable_private_segment 0
		.amdhsa_system_sgpr_workgroup_id_x 1
		.amdhsa_system_sgpr_workgroup_id_y 1
		.amdhsa_system_sgpr_workgroup_id_z 1
		.amdhsa_system_sgpr_workgroup_info 0
		.amdhsa_system_vgpr_workitem_id 1
		.amdhsa_next_free_vgpr 74
		.amdhsa_next_free_sgpr 74
		.amdhsa_reserve_vcc 1
		.amdhsa_float_round_mode_32 0
		.amdhsa_float_round_mode_16_64 0
		.amdhsa_float_denorm_mode_32 3
		.amdhsa_float_denorm_mode_16_64 3
		.amdhsa_fp16_overflow 0
		.amdhsa_workgroup_processor_mode 1
		.amdhsa_memory_ordered 1
		.amdhsa_forward_progress 1
		.amdhsa_inst_pref_size 34
		.amdhsa_round_robin_scheduling 0
		.amdhsa_exception_fp_ieee_invalid_op 0
		.amdhsa_exception_fp_denorm_src 0
		.amdhsa_exception_fp_ieee_div_zero 0
		.amdhsa_exception_fp_ieee_overflow 0
		.amdhsa_exception_fp_ieee_underflow 0
		.amdhsa_exception_fp_ieee_inexact 0
		.amdhsa_exception_int_div_zero 0
	.end_amdhsa_kernel
	.section	.text._ZL13mul_mat_f_idsI7__half2Li32ELi4ELi3EEvPKT_PKfPKiS7_S7_Pfiiiiiiiiiiiiii15HIP_vector_typeIjLj3EESA_,"axG",@progbits,_ZL13mul_mat_f_idsI7__half2Li32ELi4ELi3EEvPKT_PKfPKiS7_S7_Pfiiiiiiiiiiiiii15HIP_vector_typeIjLj3EESA_,comdat
.Lfunc_end33:
	.size	_ZL13mul_mat_f_idsI7__half2Li32ELi4ELi3EEvPKT_PKfPKiS7_S7_Pfiiiiiiiiiiiiii15HIP_vector_typeIjLj3EESA_, .Lfunc_end33-_ZL13mul_mat_f_idsI7__half2Li32ELi4ELi3EEvPKT_PKfPKiS7_S7_Pfiiiiiiiiiiiiii15HIP_vector_typeIjLj3EESA_
                                        ; -- End function
	.set _ZL13mul_mat_f_idsI7__half2Li32ELi4ELi3EEvPKT_PKfPKiS7_S7_Pfiiiiiiiiiiiiii15HIP_vector_typeIjLj3EESA_.num_vgpr, 74
	.set _ZL13mul_mat_f_idsI7__half2Li32ELi4ELi3EEvPKT_PKfPKiS7_S7_Pfiiiiiiiiiiiiii15HIP_vector_typeIjLj3EESA_.num_agpr, 0
	.set _ZL13mul_mat_f_idsI7__half2Li32ELi4ELi3EEvPKT_PKfPKiS7_S7_Pfiiiiiiiiiiiiii15HIP_vector_typeIjLj3EESA_.numbered_sgpr, 74
	.set _ZL13mul_mat_f_idsI7__half2Li32ELi4ELi3EEvPKT_PKfPKiS7_S7_Pfiiiiiiiiiiiiii15HIP_vector_typeIjLj3EESA_.num_named_barrier, 0
	.set _ZL13mul_mat_f_idsI7__half2Li32ELi4ELi3EEvPKT_PKfPKiS7_S7_Pfiiiiiiiiiiiiii15HIP_vector_typeIjLj3EESA_.private_seg_size, 0
	.set _ZL13mul_mat_f_idsI7__half2Li32ELi4ELi3EEvPKT_PKfPKiS7_S7_Pfiiiiiiiiiiiiii15HIP_vector_typeIjLj3EESA_.uses_vcc, 1
	.set _ZL13mul_mat_f_idsI7__half2Li32ELi4ELi3EEvPKT_PKfPKiS7_S7_Pfiiiiiiiiiiiiii15HIP_vector_typeIjLj3EESA_.uses_flat_scratch, 0
	.set _ZL13mul_mat_f_idsI7__half2Li32ELi4ELi3EEvPKT_PKfPKiS7_S7_Pfiiiiiiiiiiiiii15HIP_vector_typeIjLj3EESA_.has_dyn_sized_stack, 0
	.set _ZL13mul_mat_f_idsI7__half2Li32ELi4ELi3EEvPKT_PKfPKiS7_S7_Pfiiiiiiiiiiiiii15HIP_vector_typeIjLj3EESA_.has_recursion, 0
	.set _ZL13mul_mat_f_idsI7__half2Li32ELi4ELi3EEvPKT_PKfPKiS7_S7_Pfiiiiiiiiiiiiii15HIP_vector_typeIjLj3EESA_.has_indirect_call, 0
	.section	.AMDGPU.csdata,"",@progbits
; Kernel info:
; codeLenInByte = 4276
; TotalNumSgprs: 76
; NumVgprs: 74
; ScratchSize: 0
; MemoryBound: 0
; FloatMode: 240
; IeeeMode: 1
; LDSByteSize: 0 bytes/workgroup (compile time only)
; SGPRBlocks: 0
; VGPRBlocks: 9
; NumSGPRsForWavesPerEU: 76
; NumVGPRsForWavesPerEU: 74
; Occupancy: 16
; WaveLimiterHint : 1
; COMPUTE_PGM_RSRC2:SCRATCH_EN: 0
; COMPUTE_PGM_RSRC2:USER_SGPR: 2
; COMPUTE_PGM_RSRC2:TRAP_HANDLER: 0
; COMPUTE_PGM_RSRC2:TGID_X_EN: 1
; COMPUTE_PGM_RSRC2:TGID_Y_EN: 1
; COMPUTE_PGM_RSRC2:TGID_Z_EN: 1
; COMPUTE_PGM_RSRC2:TIDIG_COMP_CNT: 1
	.section	.text._ZL9mul_mat_fI7__half2Li32ELi4ELi3ELb1EEvPKT_PKfPKiPfiiiiiiiiiiiiiiii,"axG",@progbits,_ZL9mul_mat_fI7__half2Li32ELi4ELi3ELb1EEvPKT_PKfPKiPfiiiiiiiiiiiiiiii,comdat
	.globl	_ZL9mul_mat_fI7__half2Li32ELi4ELi3ELb1EEvPKT_PKfPKiPfiiiiiiiiiiiiiiii ; -- Begin function _ZL9mul_mat_fI7__half2Li32ELi4ELi3ELb1EEvPKT_PKfPKiPfiiiiiiiiiiiiiiii
	.p2align	8
	.type	_ZL9mul_mat_fI7__half2Li32ELi4ELi3ELb1EEvPKT_PKfPKiPfiiiiiiiiiiiiiiii,@function
_ZL9mul_mat_fI7__half2Li32ELi4ELi3ELb1EEvPKT_PKfPKiPfiiiiiiiiiiiiiiii: ; @_ZL9mul_mat_fI7__half2Li32ELi4ELi3ELb1EEvPKT_PKfPKiPfiiiiiiiiiiiiiiii
; %bb.0:
	s_clause 0x1
	s_load_b256 s[8:15], s[0:1], 0x20
	s_load_b128 s[16:19], s[0:1], 0x44
	v_and_b32_e32 v48, 0x3ff, v0
	s_mov_b32 s29, 0
	v_bfe_u32 v55, v0, 10, 10
	s_delay_alu instid0(VALU_DEP_2) | instskip(SKIP_2) | instid1(SALU_CYCLE_1)
	v_cmp_eq_u32_e32 vcc_lo, 0, v48
	s_wait_kmcnt 0x0
	s_add_co_i32 s2, s9, 3
	s_ashr_i32 s3, s2, 31
	s_delay_alu instid0(SALU_CYCLE_1) | instskip(NEXT) | instid1(SALU_CYCLE_1)
	s_lshr_b32 s3, s3, 30
	s_add_co_i32 s2, s2, s3
	s_delay_alu instid0(SALU_CYCLE_1) | instskip(NEXT) | instid1(SALU_CYCLE_1)
	s_ashr_i32 s2, s2, 2
	s_cvt_f32_u32 s3, s2
	s_sub_co_i32 s5, 0, s2
	s_delay_alu instid0(SALU_CYCLE_2) | instskip(SKIP_1) | instid1(TRANS32_DEP_1)
	v_rcp_iflag_f32_e32 v1, s3
	s_load_b32 s3, s[0:1], 0x64
	v_readfirstlane_b32 s4, v1
	s_mul_f32 s4, s4, 0x4f7ffffe
	s_delay_alu instid0(SALU_CYCLE_3) | instskip(NEXT) | instid1(SALU_CYCLE_3)
	s_cvt_u32_f32 s4, s4
	s_mul_i32 s5, s5, s4
	s_delay_alu instid0(SALU_CYCLE_1) | instskip(NEXT) | instid1(SALU_CYCLE_1)
	s_mul_hi_u32 s5, s4, s5
	s_add_co_i32 s4, s4, s5
	s_wait_kmcnt 0x0
	s_mul_hi_u32 s4, s3, s4
	s_delay_alu instid0(SALU_CYCLE_1) | instskip(NEXT) | instid1(SALU_CYCLE_1)
	s_mul_i32 s5, s4, s2
	s_sub_co_i32 s3, s3, s5
	s_add_co_i32 s5, s4, 1
	s_wait_alu 0xfffe
	s_sub_co_i32 s6, s3, s2
	s_cmp_ge_u32 s3, s2
	s_cselect_b32 s4, s5, s4
	s_cselect_b32 s3, s6, s3
	s_add_co_i32 s5, s4, 1
	s_wait_alu 0xfffe
	s_cmp_ge_u32 s3, s2
	s_load_b64 s[6:7], s[0:1], 0x10
	s_cselect_b32 s4, s5, s4
	s_abs_i32 s33, s19
	s_cvt_f32_u32 s2, s4
	s_sub_co_i32 s5, 0, s4
	s_and_b32 s28, ttmp7, 0xffff
	s_wait_alu 0xfffe
	v_rcp_iflag_f32_e32 v1, s2
	s_cvt_f32_u32 s2, s33
	s_delay_alu instid0(TRANS32_DEP_1) | instskip(SKIP_1) | instid1(SALU_CYCLE_1)
	v_readfirstlane_b32 s3, v1
	s_wait_alu 0xfffe
	v_rcp_iflag_f32_e32 v1, s2
	s_mul_f32 s2, s3, 0x4f7ffffe
	s_mov_b32 s3, s29
	s_wait_alu 0xfffe
	s_delay_alu instid0(SALU_CYCLE_1) | instskip(NEXT) | instid1(TRANS32_DEP_1)
	s_cvt_u32_f32 s2, s2
	v_readfirstlane_b32 s20, v1
	s_wait_alu 0xfffe
	s_delay_alu instid0(SALU_CYCLE_1) | instskip(NEXT) | instid1(SALU_CYCLE_1)
	s_mul_i32 s5, s5, s2
	s_mul_hi_u32 s5, s2, s5
	s_mul_f32 s20, s20, 0x4f7ffffe
	s_add_co_i32 s2, s2, s5
	s_wait_alu 0xfffe
	s_mul_u64 s[2:3], s[28:29], s[2:3]
	s_cvt_u32_f32 s23, s20
	s_sub_co_i32 s20, 0, s33
	s_and_saveexec_b32 s2, vcc_lo
; %bb.1:
	v_lshl_add_u32 v1, v55, 2, 0x100
	v_mov_b32_e32 v2, -1
	ds_store_b32 v1, v2
; %bb.2:
	s_wait_alu 0xfffe
	s_or_b32 exec_lo, exec_lo, s2
	s_mul_i32 s2, s3, s4
	s_add_co_i32 s5, s3, 1
	s_wait_alu 0xfffe
	s_sub_co_i32 s2, s28, s2
	v_mov_b32_e32 v3, 0
	s_wait_alu 0xfffe
	s_sub_co_i32 s21, s2, s4
	s_cmp_ge_u32 s2, s4
	s_mul_i32 s20, s20, s23
	s_cselect_b32 s3, s5, s3
	s_cselect_b32 s2, s21, s2
	s_wait_alu 0xfffe
	s_add_co_i32 s5, s3, 1
	s_cmp_ge_u32 s2, s4
	s_mov_b32 s2, s15
	s_cselect_b32 s5, s5, s3
	s_ashr_i32 s3, s15, 31
	s_lshl_b32 s24, s5, 2
	s_mul_i32 s5, s5, s4
	v_add_nc_u32_e32 v1, s24, v55
	s_ashr_i32 s25, s24, 31
	v_cmp_gt_i32_e64 s4, s10, v48
	s_wait_alu 0xfffe
	s_mul_u64 s[26:27], s[24:25], s[2:3]
	s_sub_co_i32 s36, s28, s5
	v_cmp_gt_i32_e64 s2, s9, v1
	s_lshl_b64 s[26:27], s[26:27], 2
	s_wait_kmcnt 0x0
	s_add_nc_u64 s[6:7], s[6:7], s[26:27]
	s_and_saveexec_b32 s21, s2
	s_cbranch_execz .LBB34_10
; %bb.3:
	v_mov_b32_e32 v3, 0
	s_and_saveexec_b32 s22, s4
	s_cbranch_execz .LBB34_9
; %bb.4:
	v_mul_lo_u32 v1, v55, s15
	v_lshl_add_u32 v4, v55, 2, 0x100
	v_mov_b32_e32 v3, 0
	v_mov_b32_e32 v7, v48
	s_lshl_b32 s27, s14, 5
	s_mov_b32 s26, 0
	s_delay_alu instid0(VALU_DEP_4) | instskip(NEXT) | instid1(VALU_DEP_1)
	v_ashrrev_i32_e32 v2, 31, v1
	v_lshlrev_b64_e32 v[5:6], 2, v[1:2]
	v_mul_lo_u32 v1, v48, s14
	s_delay_alu instid0(VALU_DEP_2) | instskip(SKIP_1) | instid1(VALU_DEP_3)
	v_add_co_u32 v5, s3, s6, v5
	s_wait_alu 0xf1ff
	v_add_co_ci_u32_e64 v6, null, s7, v6, s3
	s_branch .LBB34_6
.LBB34_5:                               ;   in Loop: Header=BB34_6 Depth=1
	s_or_b32 exec_lo, exec_lo, s28
	v_add_nc_u32_e32 v7, 32, v7
	s_xor_b32 s3, s3, -1
	v_add_nc_u32_e32 v1, s27, v1
	s_delay_alu instid0(VALU_DEP_2)
	v_cmp_le_i32_e64 s5, s10, v7
	s_wait_alu 0xfffe
	s_or_b32 s3, s3, s5
	s_wait_alu 0xfffe
	s_and_b32 s3, exec_lo, s3
	s_wait_alu 0xfffe
	s_or_b32 s26, s3, s26
	s_wait_alu 0xfffe
	s_and_not1_b32 exec_lo, exec_lo, s26
	s_cbranch_execz .LBB34_8
.LBB34_6:                               ; =>This Inner Loop Header: Depth=1
	s_delay_alu instid0(VALU_DEP_3) | instskip(SKIP_1) | instid1(VALU_DEP_1)
	v_ashrrev_i32_e32 v2, 31, v1
	s_mov_b32 s28, exec_lo
	v_lshlrev_b64_e32 v[8:9], 2, v[1:2]
	s_delay_alu instid0(VALU_DEP_1) | instskip(SKIP_1) | instid1(VALU_DEP_2)
	v_add_co_u32 v8, s3, v5, v8
	s_wait_alu 0xf1ff
	v_add_co_ci_u32_e64 v9, null, v6, v9, s3
	global_load_b32 v2, v[8:9], off
	s_wait_loadcnt 0x0
	v_cmp_ne_u32_e64 s3, s36, v2
	v_cmpx_eq_u32_e64 s36, v2
	s_cbranch_execz .LBB34_5
; %bb.7:                                ;   in Loop: Header=BB34_6 Depth=1
	v_mov_b32_e32 v3, 1
	ds_store_b32 v4, v7
	s_branch .LBB34_5
.LBB34_8:
	s_or_b32 exec_lo, exec_lo, s26
.LBB34_9:
	s_delay_alu instid0(SALU_CYCLE_1)
	s_or_b32 exec_lo, exec_lo, s22
.LBB34_10:
	s_delay_alu instid0(SALU_CYCLE_1)
	s_or_b32 exec_lo, exec_lo, s21
	s_lshr_b32 s26, ttmp7, 16
	s_mul_hi_u32 s5, s23, s20
	s_and_saveexec_b32 s3, vcc_lo
; %bb.11:
	v_lshl_add_u32 v1, v55, 2, 0x100
	v_mov_b32_e32 v2, -1
	ds_store_b32 v1, v2 offset:12
; %bb.12:
	s_wait_alu 0xfffe
	s_or_b32 exec_lo, exec_lo, s3
	s_load_b96 s[20:22], s[0:1], 0x54
	v_add_nc_u32_e32 v1, 3, v55
	s_abs_i32 s28, s26
	s_add_co_i32 s30, s23, s5
	s_add_nc_u64 s[34:35], s[0:1], 0x60
	s_delay_alu instid0(VALU_DEP_1) | instskip(NEXT) | instid1(VALU_DEP_1)
	v_add_nc_u32_e32 v2, s24, v1
	v_cmp_gt_i32_e64 s3, s9, v2
	s_and_saveexec_b32 s5, s3
	s_cbranch_execz .LBB34_20
; %bb.13:
	s_and_saveexec_b32 s23, s4
	s_cbranch_execz .LBB34_19
; %bb.14:
	v_mul_lo_u32 v1, v1, s15
	v_lshl_add_u32 v4, v55, 2, 0x100
	v_mov_b32_e32 v7, v48
	s_delay_alu instid0(VALU_DEP_3) | instskip(NEXT) | instid1(VALU_DEP_1)
	v_ashrrev_i32_e32 v2, 31, v1
	v_lshlrev_b64_e32 v[5:6], 2, v[1:2]
	v_mul_lo_u32 v1, v48, s14
	s_delay_alu instid0(VALU_DEP_2) | instskip(NEXT) | instid1(VALU_DEP_1)
	v_add_co_u32 v5, vcc_lo, s6, v5
	v_add_co_ci_u32_e64 v6, null, s7, v6, vcc_lo
	s_lshl_b32 s7, s14, 5
	s_mov_b32 s6, 0
	s_branch .LBB34_16
.LBB34_15:                              ;   in Loop: Header=BB34_16 Depth=1
	s_wait_alu 0xfffe
	s_or_b32 exec_lo, exec_lo, s14
	v_add_nc_u32_e32 v7, 32, v7
	s_xor_b32 s14, vcc_lo, -1
	v_add_nc_u32_e32 v1, s7, v1
	s_delay_alu instid0(VALU_DEP_2) | instskip(SKIP_2) | instid1(SALU_CYCLE_1)
	v_cmp_le_i32_e64 s4, s10, v7
	s_wait_alu 0xfffe
	s_or_b32 s4, s14, s4
	s_and_b32 s4, exec_lo, s4
	s_delay_alu instid0(SALU_CYCLE_1)
	s_or_b32 s6, s4, s6
	s_wait_alu 0xfffe
	s_and_not1_b32 exec_lo, exec_lo, s6
	s_cbranch_execz .LBB34_18
.LBB34_16:                              ; =>This Inner Loop Header: Depth=1
	v_ashrrev_i32_e32 v2, 31, v1
	s_mov_b32 s14, exec_lo
	s_delay_alu instid0(VALU_DEP_1) | instskip(NEXT) | instid1(VALU_DEP_1)
	v_lshlrev_b64_e32 v[8:9], 2, v[1:2]
	v_add_co_u32 v8, vcc_lo, v5, v8
	s_wait_alu 0xfffd
	s_delay_alu instid0(VALU_DEP_2)
	v_add_co_ci_u32_e64 v9, null, v6, v9, vcc_lo
	global_load_b32 v2, v[8:9], off
	s_wait_loadcnt 0x0
	v_cmp_ne_u32_e32 vcc_lo, s36, v2
	v_cmpx_eq_u32_e64 s36, v2
	s_cbranch_execz .LBB34_15
; %bb.17:                               ;   in Loop: Header=BB34_16 Depth=1
	v_mov_b32_e32 v3, 1
	ds_store_b32 v4, v7 offset:12
	s_branch .LBB34_15
.LBB34_18:
	s_or_b32 exec_lo, exec_lo, s6
.LBB34_19:
	s_delay_alu instid0(SALU_CYCLE_1)
	s_or_b32 exec_lo, exec_lo, s23
.LBB34_20:
	s_delay_alu instid0(SALU_CYCLE_1) | instskip(SKIP_3) | instid1(VALU_DEP_1)
	s_or_b32 exec_lo, exec_lo, s5
	v_or_b32_dpp v1, v3, v3 row_shl:1 row_mask:0xf bank_mask:0xf bound_ctrl:1
	s_load_b64 s[6:7], s[34:35], 0xc
	s_mov_b32 s31, s29
	v_or_b32_dpp v1, v1, v1 row_shl:2 row_mask:0xf bank_mask:0xf bound_ctrl:1
	s_delay_alu instid0(VALU_DEP_1) | instskip(NEXT) | instid1(VALU_DEP_1)
	v_or_b32_dpp v1, v1, v1 row_shl:4 row_mask:0xf bank_mask:0xf bound_ctrl:1
	v_or_b32_dpp v1, v1, v1 row_shl:8 row_mask:0xf bank_mask:0xf bound_ctrl:1
	s_delay_alu instid0(VALU_DEP_1)
	v_mov_b32_dpp v1, v1 row_share:0 row_mask:0xf bank_mask:0xf bound_ctrl:1
	s_wait_kmcnt 0x0
	s_lshr_b32 s5, s6, 16
	s_and_b32 s4, s6, 0xffff
	s_and_b32 s7, s7, 0xffff
	s_mul_i32 s6, s5, s4
	v_permlanex16_b32 v2, v1, 0, 0 op_sel:[0,1]
	s_wait_alu 0xfffe
	s_bfe_i32 s6, s6, 0x180000
	s_wait_alu 0xfffe
	s_mul_i32 s6, s6, s7
	s_wait_alu 0xfffe
	s_add_co_i32 s6, s6, 31
	v_or_b32_e32 v2, v2, v1
	s_wait_alu 0xfffe
	s_and_not1_b32 s6, s6, 31
	s_wait_alu 0xfffe
	s_cmp_lg_u32 s6, 32
	s_cbranch_scc0 .LBB34_29
; %bb.21:
	v_bfe_u32 v0, v0, 20, 10
	s_delay_alu instid0(VALU_DEP_1) | instskip(NEXT) | instid1(VALU_DEP_1)
	v_mad_u32_u24 v0, v0, s5, v55
	v_mad_co_u64_u32 v[0:1], null, v0, s4, v[48:49]
	v_mbcnt_lo_u32_b32 v1, -1, 0
	s_mov_b32 s4, exec_lo
	s_delay_alu instid0(VALU_DEP_2) | instskip(NEXT) | instid1(VALU_DEP_1)
	v_lshrrev_b32_e32 v3, 5, v0
	v_or_b32_e32 v3, v1, v3
	s_delay_alu instid0(VALU_DEP_1)
	v_cmpx_eq_u32_e32 0, v3
; %bb.22:
	v_mov_b32_e32 v3, 0
	ds_store_b32 v3, v2
; %bb.23:
	s_wait_alu 0xfffe
	s_or_b32 exec_lo, exec_lo, s4
	v_cmp_eq_u32_e32 vcc_lo, 0, v1
	v_cmp_lt_u32_e64 s4, 31, v0
	s_mov_b32 s5, 0
	s_wait_dscnt 0x0
	s_barrier_signal -1
	s_barrier_wait -1
	s_and_b32 s6, s4, vcc_lo
	global_inv scope:SCOPE_SE
	s_wait_alu 0xfffe
	s_and_saveexec_b32 s4, s6
	s_cbranch_execz .LBB34_28
; %bb.24:
	s_mov_b32 s6, exec_lo
.LBB34_25:                              ; =>This Inner Loop Header: Depth=1
	s_wait_alu 0xfffe
	s_ctz_i32_b32 s7, s6
	s_wait_alu 0xfffe
	v_readlane_b32 s10, v2, s7
	s_lshl_b32 s7, 1, s7
	s_wait_alu 0xfffe
	s_and_not1_b32 s6, s6, s7
	s_or_b32 s5, s5, s10
	s_wait_alu 0xfffe
	s_cmp_lg_u32 s6, 0
	s_cbranch_scc1 .LBB34_25
; %bb.26:
	v_mbcnt_lo_u32_b32 v0, exec_lo, 0
	s_mov_b32 s6, exec_lo
	s_delay_alu instid0(VALU_DEP_1)
	v_cmpx_eq_u32_e32 0, v0
	s_wait_alu 0xfffe
	s_xor_b32 s6, exec_lo, s6
; %bb.27:
	v_dual_mov_b32 v0, 0 :: v_dual_mov_b32 v1, s5
	ds_or_b32 v0, v1
.LBB34_28:
	s_wait_alu 0xfffe
	s_or_b32 exec_lo, exec_lo, s4
	v_mov_b32_e32 v0, 0
	s_wait_loadcnt_dscnt 0x0
	s_barrier_signal -1
	s_barrier_wait -1
	global_inv scope:SCOPE_SE
	ds_load_b32 v2, v0
	s_wait_loadcnt_dscnt 0x0
	s_barrier_signal -1
	s_barrier_wait -1
	global_inv scope:SCOPE_SE
.LBB34_29:
	s_clause 0x1
	s_load_b128 s[4:7], s[0:1], 0x0
	s_load_b64 s[14:15], s[0:1], 0x18
	s_mul_u64 s[0:1], s[28:29], s[30:31]
	s_ashr_i32 s0, s19, 31
	s_mov_b32 s27, 0
	s_mov_b32 s10, exec_lo
	v_cmpx_ne_u32_e32 0, v2
	s_cbranch_execz .LBB34_59
; %bb.30:
	v_lshlrev_b32_e32 v56, 5, v55
	v_and_b32_e32 v57, 15, v48
	s_mov_b32 s10, exec_lo
	s_delay_alu instid0(VALU_DEP_2) | instskip(NEXT) | instid1(VALU_DEP_1)
	v_add_nc_u32_e32 v59, v56, v48
	v_cmpx_le_i32_e64 s8, v59
	s_wait_alu 0xfffe
	s_xor_b32 s10, exec_lo, s10
; %bb.31:
	v_and_b32_e32 v57, 15, v48
                                        ; implicit-def: $vgpr59
; %bb.32:
	s_wait_alu 0xfffe
	s_or_saveexec_b32 s23, s10
	v_dual_mov_b32 v15, 0 :: v_dual_lshlrev_b32 v58, 1, v48
	s_lshl_b32 s19, ttmp9, 5
	s_delay_alu instid0(VALU_DEP_1)
	v_dual_mov_b32 v14, v15 :: v_dual_mov_b32 v13, v15
	v_dual_mov_b32 v12, v15 :: v_dual_mov_b32 v11, v15
	;; [unrolled: 1-line block ×7, first 2 shown]
	v_mov_b32_e32 v0, v15
	s_xor_b32 exec_lo, exec_lo, s23
	s_cbranch_execz .LBB34_52
; %bb.33:
	s_mul_i32 s10, s1, s33
	s_add_co_i32 s29, s1, 1
	s_wait_alu 0xfffe
	s_sub_co_i32 s10, s28, s10
	s_mul_i32 s30, s36, s16
	s_wait_alu 0xfffe
	s_sub_co_i32 s31, s10, s33
	s_cmp_ge_u32 s10, s33
	s_mov_b32 s28, s20
	s_cselect_b32 s1, s29, s1
	s_cselect_b32 s10, s31, s10
	s_add_co_i32 s16, s1, 1
	s_wait_alu 0xfffe
	s_cmp_ge_u32 s10, s33
	s_mul_i32 s34, s11, s19
	s_cselect_b32 s1, s16, s1
	s_ashr_i32 s29, s20, 31
	s_xor_b32 s1, s1, s0
	s_ashr_i32 s31, s30, 31
	s_sub_co_i32 s0, s1, s0
	s_mov_b32 s36, s21
	s_ashr_i32 s1, s0, 31
	s_mov_b32 s38, s12
	s_mul_u64 s[0:1], s[0:1], s[28:29]
	s_ashr_i32 s35, s34, 31
	s_lshl_b64 s[64:65], s[0:1], 2
	s_ashr_i32 s37, s21, 31
	s_ashr_i32 s39, s12, 31
	s_lshl_b64 s[62:63], s[30:31], 2
	s_wait_kmcnt 0x0
	s_add_nc_u64 s[0:1], s[4:5], s[64:65]
	s_lshl_b64 s[66:67], s[34:35], 2
	s_mul_u64 s[28:29], s[38:39], s[24:25]
	s_add_nc_u64 s[0:1], s[0:1], s[62:63]
	s_wait_alu 0xfffe
	s_mul_u64 s[30:31], s[36:37], s[26:27]
	s_add_nc_u64 s[20:21], s[0:1], s[66:67]
	s_lshl_b64 s[28:29], s[28:29], 3
	s_lshl_b64 s[0:1], s[30:31], 2
	s_movk_i32 s10, 0x900
	s_cmp_lt_i32 s24, s9
	s_wait_alu 0xfffe
	v_mad_u32_u24 v0, v55, s10, 0x100
	s_add_nc_u64 s[6:7], s[6:7], s[0:1]
	s_cselect_b32 s1, -1, 0
	s_or_b32 s0, s24, 1
	v_mul_u32_u24_e32 v1, 0x90, v57
	v_mov_b32_e32 v62, 0
	v_and_b32_e32 v2, 0x3f0, v48
	s_cmp_lt_i32 s0, s9
	s_add_nc_u64 s[64:65], s[64:65], s[66:67]
	s_cselect_b32 s16, -1, 0
	s_or_b32 s0, s24, 2
	v_lshl_add_u32 v60, v48, 2, v0
	v_add3_u32 v61, v0, v1, v2
	v_dual_mov_b32 v63, 0x100 :: v_dual_lshlrev_b32 v0, 2, v59
	s_cmp_lt_i32 s0, s9
	s_add_nc_u64 s[62:63], s[64:65], s[62:63]
	s_wait_alu 0xfffe
	s_add_nc_u64 s[6:7], s[6:7], s[28:29]
	s_cselect_b32 s28, -1, 0
	s_or_b32 s0, s24, 3
	s_add_nc_u64 s[4:5], s[4:5], s[62:63]
	s_lshl_b32 s29, s12, 2
	s_cmp_lt_i32 s0, s9
	s_wait_alu 0xfffe
	v_add_co_u32 v50, s0, s4, v0
	v_lshl_add_u32 v49, v55, 6, v58
	v_add_co_ci_u32_e64 v51, null, s5, 0, s0
	v_dual_mov_b32 v0, 0 :: v_dual_mov_b32 v3, v62
	v_dual_mov_b32 v1, v62 :: v_dual_mov_b32 v2, v62
	;; [unrolled: 1-line block ×8, first 2 shown]
	s_cselect_b32 s9, -1, 0
	s_ashr_i32 s69, s11, 31
	s_mov_b32 s68, s11
	s_add_co_i32 s30, s11, s11
	s_mul_i32 s31, s11, 3
	s_lshl_b32 s33, s11, 2
	s_mul_i32 s34, s11, 5
	s_mul_i32 s35, s11, 6
	s_mul_i32 s36, s11, 7
	s_lshl_b32 s37, s11, 3
	s_mul_i32 s38, s11, 9
	s_mul_i32 s39, s11, 10
	;; [unrolled: 1-line block ×7, first 2 shown]
	s_lshl_b32 s45, s11, 4
	s_mul_i32 s46, s11, 17
	s_mul_i32 s47, s11, 18
	;; [unrolled: 1-line block ×15, first 2 shown]
	s_lshl_b64 s[10:11], s[68:69], 2
	s_mul_i32 s4, s12, 6
	s_lshl_b32 s12, s12, 1
	s_mov_b32 s5, 0
	s_branch .LBB34_36
.LBB34_34:                              ;   in Loop: Header=BB34_36 Depth=1
	v_mul_lo_u32 v52, v52, s17
	s_delay_alu instid0(VALU_DEP_1) | instskip(NEXT) | instid1(VALU_DEP_1)
	v_add3_u32 v52, v52, s4, v49
	v_ashrrev_i32_e32 v53, 31, v52
	s_delay_alu instid0(VALU_DEP_1) | instskip(NEXT) | instid1(VALU_DEP_1)
	v_lshlrev_b64_e32 v[52:53], 2, v[52:53]
	v_add_co_u32 v52, vcc_lo, s6, v52
	s_wait_alu 0xfffd
	s_delay_alu instid0(VALU_DEP_2)
	v_add_co_ci_u32_e64 v53, null, s7, v53, vcc_lo
	global_load_b64 v[52:53], v[52:53], off
.LBB34_35:                              ;   in Loop: Header=BB34_36 Depth=1
	s_wait_loadcnt 0x0
	s_delay_alu instid0(VALU_DEP_1) | instskip(NEXT) | instid1(VALU_DEP_2)
	v_cvt_f16_f32_e32 v52, v52
	v_cvt_f16_f32_e32 v53, v53
	v_add_nc_u32_e32 v54, 0x400, v60
	v_add_nc_u32_e32 v64, 0x600, v60
	ds_store_2addr_b32 v60, v62, v62 offset0:196 offset1:232
	v_add_nc_u32_e32 v59, 0x60, v59
	v_pack_b32_f16 v52, v52, v53
	ds_store_2addr_b32 v54, v62, v62 offset0:12 offset1:48
	ds_store_2addr_b32 v54, v62, v62 offset0:84 offset1:120
	;; [unrolled: 1-line block ×5, first 2 shown]
	ds_store_b32 v60, v62 offset:2224
	ds_load_b128 v[64:67], v61 offset:64
	ds_load_b128 v[68:71], v61 offset:96
	;; [unrolled: 1-line block ×4, first 2 shown]
	v_add_co_u32 v50, s0, 0x180, v50
	v_cmp_le_i32_e32 vcc_lo, s8, v59
	v_add_nc_u32_e32 v49, 0xc0, v49
	s_wait_alu 0xf1ff
	v_add_co_ci_u32_e64 v51, null, 0, v51, s0
	s_or_b32 s5, vcc_lo, s5
	s_wait_dscnt 0x3
	v_wmma_f32_16x16x16_f16 v[8:15], v[32:35], v[64:67], v[8:15]
	v_wmma_f32_16x16x16_f16 v[0:7], v[44:47], v[64:67], v[0:7]
	s_wait_dscnt 0x2
	s_delay_alu instid0(VALU_DEP_2) | instskip(NEXT) | instid1(VALU_DEP_2)
	v_wmma_f32_16x16x16_f16 v[8:15], v[28:31], v[68:71], v[8:15]
	v_wmma_f32_16x16x16_f16 v[0:7], v[40:43], v[68:71], v[0:7]
	s_wait_dscnt 0x1
	s_delay_alu instid0(VALU_DEP_2) | instskip(NEXT) | instid1(VALU_DEP_2)
	;; [unrolled: 4-line block ×3, first 2 shown]
	v_wmma_f32_16x16x16_f16 v[8:15], v[16:19], v[76:79], v[8:15]
	v_wmma_f32_16x16x16_f16 v[0:7], v[20:23], v[76:79], v[0:7]
	s_wait_alu 0xfffe
	s_and_not1_b32 exec_lo, exec_lo, s5
	s_cbranch_execz .LBB34_51
.LBB34_36:                              ; =>This Inner Loop Header: Depth=1
	v_add_nc_u32_e32 v22, s33, v59
	v_add_nc_u32_e32 v16, s30, v59
	s_wait_alu 0xfffe
	v_add_co_u32 v20, vcc_lo, v50, s10
	v_add_nc_u32_e32 v18, s31, v59
	s_wait_alu 0xfffd
	v_add_co_ci_u32_e64 v21, null, s11, v51, vcc_lo
	v_ashrrev_i32_e32 v23, 31, v22
	v_ashrrev_i32_e32 v17, 31, v16
	v_add_nc_u32_e32 v24, s34, v59
	v_ashrrev_i32_e32 v19, 31, v18
	s_clause 0x1
	global_load_b32 v38, v[50:51], off
	global_load_b32 v39, v[20:21], off
	v_lshlrev_b64_e32 v[20:21], 2, v[22:23]
	v_add_nc_u32_e32 v22, s35, v59
	v_lshlrev_b64_e32 v[16:17], 2, v[16:17]
	v_add_nc_u32_e32 v26, s36, v59
	v_ashrrev_i32_e32 v25, 31, v24
	v_lshlrev_b64_e32 v[18:19], 2, v[18:19]
	v_add_nc_u32_e32 v28, s37, v59
	v_ashrrev_i32_e32 v23, 31, v22
	v_add_nc_u32_e32 v30, s38, v59
	v_ashrrev_i32_e32 v27, 31, v26
	v_add_co_u32 v16, vcc_lo, s20, v16
	v_lshlrev_b64_e32 v[24:25], 2, v[24:25]
	v_ashrrev_i32_e32 v29, 31, v28
	s_wait_alu 0xfffd
	v_add_co_ci_u32_e64 v17, null, s21, v17, vcc_lo
	v_add_co_u32 v18, vcc_lo, s20, v18
	v_lshlrev_b64_e32 v[22:23], 2, v[22:23]
	v_ashrrev_i32_e32 v31, 31, v30
	s_wait_alu 0xfffd
	v_add_co_ci_u32_e64 v19, null, s21, v19, vcc_lo
	v_add_co_u32 v20, vcc_lo, s20, v20
	v_lshlrev_b64_e32 v[26:27], 2, v[26:27]
	s_wait_alu 0xfffd
	v_add_co_ci_u32_e64 v21, null, s21, v21, vcc_lo
	v_add_co_u32 v24, vcc_lo, s20, v24
	v_lshlrev_b64_e32 v[28:29], 2, v[28:29]
	;; [unrolled: 4-line block ×3, first 2 shown]
	s_wait_alu 0xfffd
	v_add_co_ci_u32_e64 v23, null, s21, v23, vcc_lo
	v_add_co_u32 v26, vcc_lo, s20, v26
	v_add_nc_u32_e32 v32, s39, v59
	s_wait_alu 0xfffd
	v_add_co_ci_u32_e64 v27, null, s21, v27, vcc_lo
	v_add_co_u32 v28, vcc_lo, s20, v28
	v_add_nc_u32_e32 v34, s40, v59
	;; [unrolled: 4-line block ×3, first 2 shown]
	v_ashrrev_i32_e32 v33, 31, v32
	s_wait_alu 0xfffd
	v_add_co_ci_u32_e64 v31, null, s21, v31, vcc_lo
	s_clause 0x7
	global_load_b32 v40, v[16:17], off
	global_load_b32 v41, v[18:19], off
	;; [unrolled: 1-line block ×8, first 2 shown]
	v_add_nc_u32_e32 v18, s42, v59
	v_ashrrev_i32_e32 v35, 31, v34
	v_add_nc_u32_e32 v24, s43, v59
	v_ashrrev_i32_e32 v37, 31, v36
	v_lshlrev_b64_e32 v[32:33], 2, v[32:33]
	v_add_nc_u32_e32 v26, s44, v59
	v_ashrrev_i32_e32 v19, 31, v18
	v_lshlrev_b64_e32 v[16:17], 2, v[34:35]
	;; [unrolled: 3-line block ×3, first 2 shown]
	v_add_nc_u32_e32 v30, s46, v59
	v_ashrrev_i32_e32 v27, 31, v26
	v_add_co_u32 v20, vcc_lo, s20, v32
	v_lshlrev_b64_e32 v[18:19], 2, v[18:19]
	v_ashrrev_i32_e32 v29, 31, v28
	s_wait_alu 0xfffd
	v_add_co_ci_u32_e64 v21, null, s21, v33, vcc_lo
	v_add_co_u32 v16, vcc_lo, s20, v16
	v_lshlrev_b64_e32 v[24:25], 2, v[24:25]
	v_ashrrev_i32_e32 v31, 31, v30
	s_wait_alu 0xfffd
	v_add_co_ci_u32_e64 v17, null, s21, v17, vcc_lo
	v_add_co_u32 v22, vcc_lo, s20, v22
	v_lshlrev_b64_e32 v[26:27], 2, v[26:27]
	s_wait_alu 0xfffd
	v_add_co_ci_u32_e64 v23, null, s21, v23, vcc_lo
	v_add_co_u32 v18, vcc_lo, s20, v18
	v_lshlrev_b64_e32 v[28:29], 2, v[28:29]
	s_wait_alu 0xfffd
	v_add_co_ci_u32_e64 v19, null, s21, v19, vcc_lo
	v_add_co_u32 v24, vcc_lo, s20, v24
	v_lshlrev_b64_e32 v[30:31], 2, v[30:31]
	s_wait_alu 0xfffd
	v_add_co_ci_u32_e64 v25, null, s21, v25, vcc_lo
	v_add_co_u32 v26, vcc_lo, s20, v26
	v_add_nc_u32_e32 v32, s47, v59
	s_wait_alu 0xfffd
	v_add_co_ci_u32_e64 v27, null, s21, v27, vcc_lo
	v_add_co_u32 v28, vcc_lo, s20, v28
	v_add_nc_u32_e32 v34, s48, v59
	;; [unrolled: 4-line block ×3, first 2 shown]
	v_ashrrev_i32_e32 v33, 31, v32
	s_wait_alu 0xfffd
	v_add_co_ci_u32_e64 v31, null, s21, v31, vcc_lo
	s_clause 0x7
	global_load_b32 v52, v[20:21], off
	global_load_b32 v53, v[16:17], off
	;; [unrolled: 1-line block ×8, first 2 shown]
	v_add_nc_u32_e32 v18, s50, v59
	v_ashrrev_i32_e32 v35, 31, v34
	v_add_nc_u32_e32 v24, s51, v59
	v_ashrrev_i32_e32 v37, 31, v36
	v_lshlrev_b64_e32 v[32:33], 2, v[32:33]
	v_add_nc_u32_e32 v26, s52, v59
	v_ashrrev_i32_e32 v19, 31, v18
	v_lshlrev_b64_e32 v[16:17], 2, v[34:35]
	;; [unrolled: 3-line block ×3, first 2 shown]
	v_add_nc_u32_e32 v30, s54, v59
	v_ashrrev_i32_e32 v27, 31, v26
	v_add_co_u32 v20, vcc_lo, s20, v32
	v_lshlrev_b64_e32 v[18:19], 2, v[18:19]
	v_ashrrev_i32_e32 v29, 31, v28
	s_wait_alu 0xfffd
	v_add_co_ci_u32_e64 v21, null, s21, v33, vcc_lo
	v_add_co_u32 v16, vcc_lo, s20, v16
	v_lshlrev_b64_e32 v[24:25], 2, v[24:25]
	v_ashrrev_i32_e32 v31, 31, v30
	s_wait_alu 0xfffd
	v_add_co_ci_u32_e64 v17, null, s21, v17, vcc_lo
	v_add_co_u32 v22, vcc_lo, s20, v22
	v_lshlrev_b64_e32 v[26:27], 2, v[26:27]
	s_wait_alu 0xfffd
	v_add_co_ci_u32_e64 v23, null, s21, v23, vcc_lo
	v_add_co_u32 v18, vcc_lo, s20, v18
	v_lshlrev_b64_e32 v[28:29], 2, v[28:29]
	;; [unrolled: 4-line block ×3, first 2 shown]
	s_wait_alu 0xfffd
	v_add_co_ci_u32_e64 v25, null, s21, v25, vcc_lo
	v_add_co_u32 v26, vcc_lo, s20, v26
	v_add_nc_u32_e32 v32, s55, v59
	s_wait_alu 0xfffd
	v_add_co_ci_u32_e64 v27, null, s21, v27, vcc_lo
	v_add_co_u32 v28, vcc_lo, s20, v28
	v_add_nc_u32_e32 v34, s56, v59
	;; [unrolled: 4-line block ×3, first 2 shown]
	v_ashrrev_i32_e32 v33, 31, v32
	s_wait_alu 0xfffd
	v_add_co_ci_u32_e64 v31, null, s21, v31, vcc_lo
	s_clause 0x7
	global_load_b32 v69, v[20:21], off
	global_load_b32 v70, v[16:17], off
	;; [unrolled: 1-line block ×8, first 2 shown]
	v_add_nc_u32_e32 v18, s58, v59
	v_ashrrev_i32_e32 v35, 31, v34
	v_add_nc_u32_e32 v24, s59, v59
	v_ashrrev_i32_e32 v37, 31, v36
	v_lshlrev_b64_e32 v[32:33], 2, v[32:33]
	v_add_nc_u32_e32 v26, s60, v59
	v_ashrrev_i32_e32 v19, 31, v18
	v_lshlrev_b64_e32 v[16:17], 2, v[34:35]
	v_ashrrev_i32_e32 v25, 31, v24
	v_lshlrev_b64_e32 v[22:23], 2, v[36:37]
	v_ashrrev_i32_e32 v27, 31, v26
	v_add_co_u32 v20, vcc_lo, s20, v32
	v_lshlrev_b64_e32 v[18:19], 2, v[18:19]
	s_wait_alu 0xfffd
	v_add_co_ci_u32_e64 v21, null, s21, v33, vcc_lo
	v_add_co_u32 v16, vcc_lo, s20, v16
	v_lshlrev_b64_e32 v[24:25], 2, v[24:25]
	s_wait_alu 0xfffd
	v_add_co_ci_u32_e64 v17, null, s21, v17, vcc_lo
	;; [unrolled: 4-line block ×3, first 2 shown]
	v_add_co_u32 v18, vcc_lo, s20, v18
	s_wait_alu 0xfffd
	v_add_co_ci_u32_e64 v19, null, s21, v19, vcc_lo
	v_add_co_u32 v24, vcc_lo, s20, v24
	s_wait_alu 0xfffd
	v_add_co_ci_u32_e64 v25, null, s21, v25, vcc_lo
	;; [unrolled: 3-line block ×3, first 2 shown]
	s_clause 0x5
	global_load_b32 v20, v[20:21], off
	global_load_b32 v21, v[16:17], off
	;; [unrolled: 1-line block ×6, first 2 shown]
	s_and_not1_b32 vcc_lo, exec_lo, s1
	s_wait_loadcnt 0x1f
	ds_store_b32 v60, v38 offset:64
	s_wait_loadcnt 0x1e
	ds_store_b32 v60, v39 offset:208
	;; [unrolled: 2-line block ×16, first 2 shown]
	ds_load_b128 v[32:35], v61 offset:64
	ds_load_b128 v[28:31], v61 offset:96
	;; [unrolled: 1-line block ×4, first 2 shown]
	s_wait_loadcnt 0xf
	ds_store_b32 v60, v67 offset:64
	s_wait_loadcnt 0xe
	ds_store_b32 v60, v68 offset:208
	;; [unrolled: 2-line block ×16, first 2 shown]
	ds_load_b128 v[44:47], v61 offset:64
	ds_load_b128 v[40:43], v61 offset:96
	;; [unrolled: 1-line block ×4, first 2 shown]
	v_dual_mov_b32 v52, 0 :: v_dual_mov_b32 v53, 0
	s_wait_alu 0xfffe
	s_cbranch_vccnz .LBB34_40
; %bb.37:                               ;   in Loop: Header=BB34_36 Depth=1
	ds_load_b32 v52, v63
	s_wait_dscnt 0x0
	v_cmp_gt_i32_e32 vcc_lo, 0, v52
	s_cbranch_vccnz .LBB34_39
; %bb.38:                               ;   in Loop: Header=BB34_36 Depth=1
	v_mad_co_u64_u32 v[52:53], null, v52, s17, v[49:50]
	s_delay_alu instid0(VALU_DEP_1) | instskip(NEXT) | instid1(VALU_DEP_1)
	v_ashrrev_i32_e32 v53, 31, v52
	v_lshlrev_b64_e32 v[52:53], 2, v[52:53]
	s_delay_alu instid0(VALU_DEP_1) | instskip(SKIP_1) | instid1(VALU_DEP_2)
	v_add_co_u32 v52, vcc_lo, s6, v52
	s_wait_alu 0xfffd
	v_add_co_ci_u32_e64 v53, null, s7, v53, vcc_lo
	global_load_b64 v[52:53], v[52:53], off
	s_branch .LBB34_40
.LBB34_39:                              ;   in Loop: Header=BB34_36 Depth=1
	v_dual_mov_b32 v52, 0 :: v_dual_mov_b32 v53, 0
.LBB34_40:                              ;   in Loop: Header=BB34_36 Depth=1
	s_wait_loadcnt 0x0
	s_delay_alu instid0(VALU_DEP_1) | instskip(NEXT) | instid1(VALU_DEP_2)
	v_cvt_f16_f32_e32 v52, v52
	v_cvt_f16_f32_e32 v53, v53
	v_mov_b32_e32 v54, 0
	s_and_not1_b32 vcc_lo, exec_lo, s16
	s_delay_alu instid0(VALU_DEP_2)
	v_pack_b32_f16 v64, v52, v53
	v_dual_mov_b32 v52, 0 :: v_dual_mov_b32 v53, 0
	ds_store_b32 v60, v64 offset:64
	s_wait_alu 0xfffe
	s_cbranch_vccnz .LBB34_44
; %bb.41:                               ;   in Loop: Header=BB34_36 Depth=1
	ds_load_b32 v53, v63 offset:4
	s_wait_dscnt 0x0
	v_cmp_gt_i32_e32 vcc_lo, 0, v53
	s_cbranch_vccnz .LBB34_43
; %bb.42:                               ;   in Loop: Header=BB34_36 Depth=1
	v_mul_lo_u32 v53, v53, s17
	s_delay_alu instid0(VALU_DEP_1) | instskip(NEXT) | instid1(VALU_DEP_1)
	v_add3_u32 v53, v53, s12, v49
	v_ashrrev_i32_e32 v54, 31, v53
	s_delay_alu instid0(VALU_DEP_1) | instskip(NEXT) | instid1(VALU_DEP_1)
	v_lshlrev_b64_e32 v[53:54], 2, v[53:54]
	v_add_co_u32 v53, vcc_lo, s6, v53
	s_wait_alu 0xfffd
	s_delay_alu instid0(VALU_DEP_2)
	v_add_co_ci_u32_e64 v54, null, s7, v54, vcc_lo
	global_load_b64 v[53:54], v[53:54], off
	s_branch .LBB34_44
.LBB34_43:                              ;   in Loop: Header=BB34_36 Depth=1
	v_dual_mov_b32 v53, 0 :: v_dual_mov_b32 v54, 0
.LBB34_44:                              ;   in Loop: Header=BB34_36 Depth=1
	s_wait_loadcnt 0x0
	s_delay_alu instid0(VALU_DEP_1) | instskip(NEXT) | instid1(VALU_DEP_2)
	v_cvt_f16_f32_e32 v53, v53
	v_cvt_f16_f32_e32 v54, v54
	s_and_not1_b32 vcc_lo, exec_lo, s28
	s_delay_alu instid0(VALU_DEP_1)
	v_pack_b32_f16 v54, v53, v54
	v_mov_b32_e32 v53, 0
	ds_store_b32 v60, v54 offset:208
	s_wait_alu 0xfffe
	s_cbranch_vccnz .LBB34_48
; %bb.45:                               ;   in Loop: Header=BB34_36 Depth=1
	ds_load_b32 v52, v63 offset:8
	s_wait_dscnt 0x0
	v_cmp_gt_i32_e32 vcc_lo, 0, v52
	s_cbranch_vccnz .LBB34_47
; %bb.46:                               ;   in Loop: Header=BB34_36 Depth=1
	v_mul_lo_u32 v52, v52, s17
	s_delay_alu instid0(VALU_DEP_1) | instskip(NEXT) | instid1(VALU_DEP_1)
	v_add3_u32 v52, v52, s29, v49
	v_ashrrev_i32_e32 v53, 31, v52
	s_delay_alu instid0(VALU_DEP_1) | instskip(NEXT) | instid1(VALU_DEP_1)
	v_lshlrev_b64_e32 v[52:53], 2, v[52:53]
	v_add_co_u32 v52, vcc_lo, s6, v52
	s_wait_alu 0xfffd
	s_delay_alu instid0(VALU_DEP_2)
	v_add_co_ci_u32_e64 v53, null, s7, v53, vcc_lo
	global_load_b64 v[52:53], v[52:53], off
	s_branch .LBB34_48
.LBB34_47:                              ;   in Loop: Header=BB34_36 Depth=1
	v_dual_mov_b32 v52, 0 :: v_dual_mov_b32 v53, 0
.LBB34_48:                              ;   in Loop: Header=BB34_36 Depth=1
	s_wait_loadcnt 0x0
	s_delay_alu instid0(VALU_DEP_1) | instskip(NEXT) | instid1(VALU_DEP_2)
	v_cvt_f16_f32_e32 v52, v52
	v_cvt_f16_f32_e32 v53, v53
	s_and_not1_b32 vcc_lo, exec_lo, s9
	s_delay_alu instid0(VALU_DEP_1)
	v_pack_b32_f16 v54, v52, v53
	v_dual_mov_b32 v52, 0 :: v_dual_mov_b32 v53, 0
	ds_store_b32 v60, v54 offset:352
	s_wait_alu 0xfffe
	s_cbranch_vccnz .LBB34_35
; %bb.49:                               ;   in Loop: Header=BB34_36 Depth=1
	ds_load_b32 v52, v63 offset:12
	s_wait_dscnt 0x0
	v_cmp_gt_i32_e32 vcc_lo, 0, v52
	s_cbranch_vccz .LBB34_34
; %bb.50:                               ;   in Loop: Header=BB34_36 Depth=1
	v_dual_mov_b32 v52, 0 :: v_dual_mov_b32 v53, 0
	s_branch .LBB34_35
.LBB34_51:
	s_or_b32 exec_lo, exec_lo, s5
.LBB34_52:
	s_delay_alu instid0(SALU_CYCLE_1)
	s_or_b32 exec_lo, exec_lo, s23
	v_lshl_add_u32 v16, v56, 2, 0x100
	v_mul_u32_u24_e32 v17, 0x190, v57
	v_and_b32_e32 v18, 0x7e0, v58
	s_wait_loadcnt_dscnt 0x0
	s_barrier_signal -1
	s_barrier_wait -1
	global_inv scope:SCOPE_SE
	v_add3_u32 v17, v16, v17, v18
	s_mov_b32 s0, exec_lo
	ds_store_2addr_b32 v17, v8, v9 offset0:16 offset1:17
	ds_store_2addr_b32 v17, v10, v11 offset0:18 offset1:19
	ds_store_2addr_b32 v17, v12, v13 offset0:20 offset1:21
	ds_store_2addr_b32 v17, v14, v15 offset0:22 offset1:23
	v_lshl_add_u32 v8, v48, 2, 0x100
	ds_store_2addr_b32 v17, v0, v1 offset0:32 offset1:33
	ds_store_2addr_b32 v17, v2, v3 offset0:34 offset1:35
	;; [unrolled: 1-line block ×4, first 2 shown]
	s_wait_loadcnt_dscnt 0x0
	s_barrier_signal -1
	s_barrier_wait -1
	v_mad_u32_u24 v2, 0x190, v55, v8
	global_inv scope:SCOPE_SE
	ds_load_2addr_b32 v[0:1], v2 offset0:16 offset1:48
	ds_load_b32 v3, v2 offset:320
	v_mov_b32_e32 v4, -1
	v_cmpx_gt_u32_e32 4, v55
; %bb.53:
	v_mad_i32_i24 v2, 0xffffff84, v55, v16
	ds_load_b32 v4, v2
; %bb.54:
	s_wait_alu 0xfffe
	s_or_b32 exec_lo, exec_lo, s0
	s_ashr_i32 s1, s22, 31
	s_mov_b32 s0, s22
	s_wait_kmcnt 0x0
	s_ashr_i32 s5, s13, 31
	s_wait_alu 0xfffe
	s_mul_u64 s[0:1], s[0:1], s[26:27]
	s_mov_b32 s4, s13
	s_wait_dscnt 0x0
	v_cmp_lt_i32_e32 vcc_lo, -1, v4
	s_wait_alu 0xfffe
	s_mul_u64 s[4:5], s[24:25], s[4:5]
	s_lshl_b64 s[0:1], s[0:1], 2
	v_add_nc_u32_e32 v2, s19, v48
	s_wait_alu 0xfffe
	s_lshl_b64 s[4:5], s[4:5], 2
	s_add_nc_u64 s[0:1], s[14:15], s[0:1]
	s_wait_alu 0xfffe
	s_add_nc_u64 s[0:1], s[0:1], s[4:5]
	s_and_b32 s4, vcc_lo, s2
	s_wait_alu 0xfffe
	s_and_saveexec_b32 s2, s4
	s_cbranch_execz .LBB34_56
; %bb.55:
	v_mul_lo_u32 v4, v4, s18
	v_mul_lo_u32 v6, v55, s13
	v_dual_add_f32 v0, 0, v0 :: v_dual_mov_b32 v5, 0
	s_delay_alu instid0(VALU_DEP_2) | instskip(NEXT) | instid1(VALU_DEP_2)
	v_add3_u32 v4, v2, v6, v4
	v_add_f32_e32 v6, v0, v1
	s_delay_alu instid0(VALU_DEP_2) | instskip(NEXT) | instid1(VALU_DEP_2)
	v_lshlrev_b64_e32 v[0:1], 2, v[4:5]
	v_add_f32_e32 v3, v6, v3
	s_delay_alu instid0(VALU_DEP_2) | instskip(SKIP_1) | instid1(VALU_DEP_3)
	v_add_co_u32 v0, vcc_lo, s0, v0
	s_wait_alu 0xfffd
	v_add_co_ci_u32_e64 v1, null, s1, v1, vcc_lo
	global_store_b32 v[0:1], v3, off
.LBB34_56:
	s_wait_alu 0xfffe
	s_or_b32 exec_lo, exec_lo, s2
	v_cmp_eq_u32_e32 vcc_lo, 0, v55
	s_and_b32 exec_lo, exec_lo, vcc_lo
	s_cbranch_execz .LBB34_59
; %bb.57:
	v_mov_b32_e32 v0, 0x100
	ds_load_b32 v0, v0 offset:12
	s_wait_dscnt 0x0
	v_readfirstlane_b32 s2, v0
	s_cmp_gt_i32 s2, -1
	s_cselect_b32 s2, -1, 0
	s_wait_alu 0xfffe
	s_and_b32 s2, s2, s3
	s_wait_alu 0xfffe
	s_and_b32 exec_lo, exec_lo, s2
	s_cbranch_execz .LBB34_59
; %bb.58:
	v_add_nc_u32_e32 v1, 0x400, v8
	v_mul_lo_u32 v0, v0, s18
	s_mul_i32 s2, s13, 3
	ds_load_2addr_b32 v[3:4], v1 offset0:60 offset1:92
	ds_load_b32 v5, v8 offset:1520
	s_wait_alu 0xfffe
	v_add3_u32 v0, v0, s2, v2
	s_wait_dscnt 0x1
	v_add_f32_e32 v3, 0, v3
	s_delay_alu instid0(VALU_DEP_1) | instskip(NEXT) | instid1(VALU_DEP_1)
	v_dual_mov_b32 v1, 0 :: v_dual_add_f32 v2, v3, v4
	v_lshlrev_b64_e32 v[0:1], 2, v[0:1]
	s_wait_dscnt 0x0
	s_delay_alu instid0(VALU_DEP_2) | instskip(NEXT) | instid1(VALU_DEP_2)
	v_add_f32_e32 v2, v2, v5
	v_add_co_u32 v0, vcc_lo, s0, v0
	s_wait_alu 0xfffd
	s_delay_alu instid0(VALU_DEP_3)
	v_add_co_ci_u32_e64 v1, null, s1, v1, vcc_lo
	global_store_b32 v[0:1], v2, off
.LBB34_59:
	s_endpgm
	.section	.rodata,"a",@progbits
	.p2align	6, 0x0
	.amdhsa_kernel _ZL9mul_mat_fI7__half2Li32ELi4ELi3ELb1EEvPKT_PKfPKiPfiiiiiiiiiiiiiiii
		.amdhsa_group_segment_fixed_size 256
		.amdhsa_private_segment_fixed_size 0
		.amdhsa_kernarg_size 352
		.amdhsa_user_sgpr_count 2
		.amdhsa_user_sgpr_dispatch_ptr 0
		.amdhsa_user_sgpr_queue_ptr 0
		.amdhsa_user_sgpr_kernarg_segment_ptr 1
		.amdhsa_user_sgpr_dispatch_id 0
		.amdhsa_user_sgpr_private_segment_size 0
		.amdhsa_wavefront_size32 1
		.amdhsa_uses_dynamic_stack 0
		.amdhsa_enable_private_segment 0
		.amdhsa_system_sgpr_workgroup_id_x 1
		.amdhsa_system_sgpr_workgroup_id_y 1
		.amdhsa_system_sgpr_workgroup_id_z 1
		.amdhsa_system_sgpr_workgroup_info 0
		.amdhsa_system_vgpr_workitem_id 2
		.amdhsa_next_free_vgpr 80
		.amdhsa_next_free_sgpr 70
		.amdhsa_reserve_vcc 1
		.amdhsa_float_round_mode_32 0
		.amdhsa_float_round_mode_16_64 0
		.amdhsa_float_denorm_mode_32 3
		.amdhsa_float_denorm_mode_16_64 3
		.amdhsa_fp16_overflow 0
		.amdhsa_workgroup_processor_mode 1
		.amdhsa_memory_ordered 1
		.amdhsa_forward_progress 1
		.amdhsa_inst_pref_size 44
		.amdhsa_round_robin_scheduling 0
		.amdhsa_exception_fp_ieee_invalid_op 0
		.amdhsa_exception_fp_denorm_src 0
		.amdhsa_exception_fp_ieee_div_zero 0
		.amdhsa_exception_fp_ieee_overflow 0
		.amdhsa_exception_fp_ieee_underflow 0
		.amdhsa_exception_fp_ieee_inexact 0
		.amdhsa_exception_int_div_zero 0
	.end_amdhsa_kernel
	.section	.text._ZL9mul_mat_fI7__half2Li32ELi4ELi3ELb1EEvPKT_PKfPKiPfiiiiiiiiiiiiiiii,"axG",@progbits,_ZL9mul_mat_fI7__half2Li32ELi4ELi3ELb1EEvPKT_PKfPKiPfiiiiiiiiiiiiiiii,comdat
.Lfunc_end34:
	.size	_ZL9mul_mat_fI7__half2Li32ELi4ELi3ELb1EEvPKT_PKfPKiPfiiiiiiiiiiiiiiii, .Lfunc_end34-_ZL9mul_mat_fI7__half2Li32ELi4ELi3ELb1EEvPKT_PKfPKiPfiiiiiiiiiiiiiiii
                                        ; -- End function
	.set _ZL9mul_mat_fI7__half2Li32ELi4ELi3ELb1EEvPKT_PKfPKiPfiiiiiiiiiiiiiiii.num_vgpr, 80
	.set _ZL9mul_mat_fI7__half2Li32ELi4ELi3ELb1EEvPKT_PKfPKiPfiiiiiiiiiiiiiiii.num_agpr, 0
	.set _ZL9mul_mat_fI7__half2Li32ELi4ELi3ELb1EEvPKT_PKfPKiPfiiiiiiiiiiiiiiii.numbered_sgpr, 70
	.set _ZL9mul_mat_fI7__half2Li32ELi4ELi3ELb1EEvPKT_PKfPKiPfiiiiiiiiiiiiiiii.num_named_barrier, 0
	.set _ZL9mul_mat_fI7__half2Li32ELi4ELi3ELb1EEvPKT_PKfPKiPfiiiiiiiiiiiiiiii.private_seg_size, 0
	.set _ZL9mul_mat_fI7__half2Li32ELi4ELi3ELb1EEvPKT_PKfPKiPfiiiiiiiiiiiiiiii.uses_vcc, 1
	.set _ZL9mul_mat_fI7__half2Li32ELi4ELi3ELb1EEvPKT_PKfPKiPfiiiiiiiiiiiiiiii.uses_flat_scratch, 0
	.set _ZL9mul_mat_fI7__half2Li32ELi4ELi3ELb1EEvPKT_PKfPKiPfiiiiiiiiiiiiiiii.has_dyn_sized_stack, 0
	.set _ZL9mul_mat_fI7__half2Li32ELi4ELi3ELb1EEvPKT_PKfPKiPfiiiiiiiiiiiiiiii.has_recursion, 0
	.set _ZL9mul_mat_fI7__half2Li32ELi4ELi3ELb1EEvPKT_PKfPKiPfiiiiiiiiiiiiiiii.has_indirect_call, 0
	.section	.AMDGPU.csdata,"",@progbits
; Kernel info:
; codeLenInByte = 5584
; TotalNumSgprs: 72
; NumVgprs: 80
; ScratchSize: 0
; MemoryBound: 0
; FloatMode: 240
; IeeeMode: 1
; LDSByteSize: 256 bytes/workgroup (compile time only)
; SGPRBlocks: 0
; VGPRBlocks: 9
; NumSGPRsForWavesPerEU: 72
; NumVGPRsForWavesPerEU: 80
; Occupancy: 16
; WaveLimiterHint : 0
; COMPUTE_PGM_RSRC2:SCRATCH_EN: 0
; COMPUTE_PGM_RSRC2:USER_SGPR: 2
; COMPUTE_PGM_RSRC2:TRAP_HANDLER: 0
; COMPUTE_PGM_RSRC2:TGID_X_EN: 1
; COMPUTE_PGM_RSRC2:TGID_Y_EN: 1
; COMPUTE_PGM_RSRC2:TGID_Z_EN: 1
; COMPUTE_PGM_RSRC2:TIDIG_COMP_CNT: 2
	.section	.text._ZL9mul_mat_fI7__half2Li32ELi4ELi3ELb0EEvPKT_PKfPKiPfiiiiiiiiiiiiiiii,"axG",@progbits,_ZL9mul_mat_fI7__half2Li32ELi4ELi3ELb0EEvPKT_PKfPKiPfiiiiiiiiiiiiiiii,comdat
	.globl	_ZL9mul_mat_fI7__half2Li32ELi4ELi3ELb0EEvPKT_PKfPKiPfiiiiiiiiiiiiiiii ; -- Begin function _ZL9mul_mat_fI7__half2Li32ELi4ELi3ELb0EEvPKT_PKfPKiPfiiiiiiiiiiiiiiii
	.p2align	8
	.type	_ZL9mul_mat_fI7__half2Li32ELi4ELi3ELb0EEvPKT_PKfPKiPfiiiiiiiiiiiiiiii,@function
_ZL9mul_mat_fI7__half2Li32ELi4ELi3ELb0EEvPKT_PKfPKiPfiiiiiiiiiiiiiiii: ; @_ZL9mul_mat_fI7__half2Li32ELi4ELi3ELb0EEvPKT_PKfPKiPfiiiiiiiiiiiiiiii
; %bb.0:
	s_clause 0x1
	s_load_b256 s[4:11], s[0:1], 0x40
	s_load_b32 s21, s[0:1], 0x20
	v_bfe_u32 v36, v0, 10, 10
	v_and_b32_e32 v37, 0x3ff, v0
	s_mov_b32 s15, exec_lo
	s_delay_alu instid0(VALU_DEP_2) | instskip(NEXT) | instid1(VALU_DEP_2)
	v_lshlrev_b32_e32 v38, 5, v36
	v_and_b32_e32 v39, 15, v37
	s_delay_alu instid0(VALU_DEP_2)
	v_add_nc_u32_e32 v40, v38, v37
	s_wait_kmcnt 0x0
	s_abs_i32 s12, s4
	s_abs_i32 s23, s8
	s_cvt_f32_u32 s2, s12
	s_cvt_f32_u32 s3, s23
	s_delay_alu instid0(SALU_CYCLE_2) | instskip(NEXT) | instid1(SALU_CYCLE_2)
	v_rcp_iflag_f32_e32 v0, s2
	v_rcp_iflag_f32_e32 v1, s3
	s_mov_b32 s3, 0
	s_lshr_b32 s2, ttmp7, 16
	s_delay_alu instid0(TRANS32_DEP_2) | instskip(NEXT) | instid1(TRANS32_DEP_1)
	v_readfirstlane_b32 s13, v0
	v_readfirstlane_b32 s14, v1
	v_cmpx_le_i32_e64 s21, v40
	s_xor_b32 s15, exec_lo, s15
; %bb.1:
	v_and_b32_e32 v39, 15, v37
                                        ; implicit-def: $vgpr40
; %bb.2:
	s_or_saveexec_b32 s22, s15
	s_load_b96 s[16:18], s[0:1], 0x2c
	v_mov_b32_e32 v15, 0
	s_and_b32 s19, ttmp7, 0xffff
	s_lshl_b32 s20, ttmp9, 5
	s_delay_alu instid0(VALU_DEP_1)
	v_dual_mov_b32 v14, v15 :: v_dual_mov_b32 v13, v15
	v_dual_mov_b32 v12, v15 :: v_dual_mov_b32 v11, v15
	;; [unrolled: 1-line block ×7, first 2 shown]
	v_mov_b32_e32 v0, v15
	s_xor_b32 exec_lo, exec_lo, s22
	s_cbranch_execz .LBB35_6
; %bb.3:
	s_mul_f32 s13, s13, 0x4f7ffffe
	s_mul_f32 s14, s14, 0x4f7ffffe
	s_sub_co_i32 s24, 0, s12
	s_sub_co_i32 s25, 0, s23
	s_cvt_u32_f32 s13, s13
	s_cvt_u32_f32 s27, s14
	s_abs_i32 s14, s19
	s_mov_b32 s15, s3
	s_mul_i32 s24, s24, s13
	s_mul_i32 s25, s25, s27
	s_mul_hi_u32 s24, s13, s24
	s_mul_hi_u32 s28, s27, s25
	s_add_co_i32 s24, s13, s24
	s_mov_b32 s25, s3
	s_abs_i32 s26, s2
	s_mul_u64 s[24:25], s[14:15], s[24:25]
	s_ashr_i32 s24, s8, 31
	s_mul_i32 s13, s25, s12
	s_add_co_i32 s28, s27, s28
	s_sub_co_i32 s8, s14, s13
	s_ashr_i32 s4, s4, 31
	s_add_co_i32 s13, s25, 1
	s_sub_co_i32 s14, s8, s12
	s_cmp_ge_u32 s8, s12
	s_mov_b32 s27, s3
	s_cselect_b32 s13, s13, s25
	s_mov_b32 s29, s3
	s_cselect_b32 s8, s14, s8
	s_add_co_i32 s14, s13, 1
	s_mul_u64 s[28:29], s[26:27], s[28:29]
	s_cmp_ge_u32 s8, s12
	s_mul_i32 s12, s29, s23
	s_cselect_b32 s8, s14, s13
	s_sub_co_i32 s25, s26, s12
	s_xor_b32 s8, s8, s4
	s_load_b128 s[12:15], s[0:1], 0x0
	s_sub_co_i32 s26, s8, s4
	s_add_co_i32 s4, s29, 1
	s_sub_co_i32 s8, s25, s23
	s_cmp_ge_u32 s25, s23
	v_mad_u32_u24 v0, 0x900, v36, 0
	s_cselect_b32 s4, s4, s29
	s_cselect_b32 s8, s8, s25
	s_add_co_i32 s25, s4, 1
	s_cmp_ge_u32 s8, s23
	s_mov_b32 s8, s9
	s_cselect_b32 s4, s25, s4
	s_ashr_i32 s9, s9, 31
	s_xor_b32 s4, s4, s24
	v_mul_u32_u24_e32 v2, 0x90, v39
	s_sub_co_i32 s24, s4, s24
	v_and_b32_e32 v3, 0x3f0, v37
	s_ashr_i32 s25, s24, 31
	v_lshlrev_b32_e32 v1, 2, v37
	s_mul_u64 s[8:9], s[24:25], s[8:9]
	s_mul_i32 s24, s26, s5
	s_lshl_b64 s[54:55], s[8:9], 2
	s_ashr_i32 s25, s24, 31
	s_wait_kmcnt 0x0
	s_add_nc_u64 s[8:9], s[12:13], s[54:55]
	s_lshl_b64 s[56:57], s[24:25], 2
	s_mul_i32 s24, s16, s20
	v_add3_u32 v42, v0, v2, v3
	s_ashr_i32 s25, s24, 31
	v_dual_mov_b32 v43, 0 :: v_dual_lshlrev_b32 v2, 7, v36
	s_lshl_b64 s[60:61], s[24:25], 2
	s_add_nc_u64 s[8:9], s[8:9], s[56:57]
	s_add_nc_u64 s[56:57], s[56:57], s[60:61]
	s_mov_b32 s4, s10
	s_add_nc_u64 s[54:55], s[56:57], s[54:55]
	s_ashr_i32 s5, s10, 31
	v_add_co_u32 v2, s53, s54, v2
	v_dual_mov_b32 v0, 0 :: v_dual_add_nc_u32 v41, v0, v1
	v_add_co_ci_u32_e64 v3, null, s55, 0, s53
	v_lshlrev_b32_e32 v4, 8, v36
	s_mul_u64 s[4:5], s[4:5], s[2:3]
	v_add_co_u32 v1, vcc_lo, v2, v1
	s_lshl_b64 s[58:59], s[4:5], 2
	v_add_co_ci_u32_e64 v2, null, 0, v3, vcc_lo
	v_add_co_u32 v3, s53, s58, v4
	v_lshlrev_b32_e32 v5, 3, v37
	s_mul_i32 s4, s6, s19
	s_wait_alu 0xf1ff
	v_add_co_ci_u32_e64 v4, null, s59, 0, s53
	v_add_co_u32 v32, vcc_lo, s12, v1
	s_ashr_i32 s5, s4, 31
	s_wait_alu 0xfffd
	v_add_co_ci_u32_e64 v33, null, s13, v2, vcc_lo
	v_add_co_u32 v1, vcc_lo, v3, v5
	s_lshl_b64 s[62:63], s[4:5], 2
	s_wait_alu 0xfffd
	v_add_co_ci_u32_e64 v2, null, 0, v4, vcc_lo
	s_add_nc_u64 s[12:13], s[14:15], s[62:63]
	v_dual_mov_b32 v3, v0 :: v_dual_mov_b32 v6, v0
	s_wait_alu 0xfffe
	v_add_co_u32 v34, vcc_lo, s12, v1
	s_wait_alu 0xfffd
	v_add_co_ci_u32_e64 v35, null, s13, v2, vcc_lo
	v_dual_mov_b32 v1, v0 :: v_dual_mov_b32 v2, v0
	v_dual_mov_b32 v4, v0 :: v_dual_mov_b32 v5, v0
	;; [unrolled: 1-line block ×6, first 2 shown]
	v_mov_b32_e32 v15, v0
	s_add_nc_u64 s[26:27], s[14:15], s[58:59]
	s_ashr_i32 s65, s16, 31
	s_mov_b32 s64, s16
	s_ashr_i32 s67, s17, 31
	s_mov_b32 s66, s17
	s_add_nc_u64 s[4:5], s[8:9], s[60:61]
	s_add_nc_u64 s[8:9], s[26:27], s[62:63]
	s_mov_b32 s6, 0
	s_add_co_i32 s10, s16, s16
	s_add_co_i32 s23, s17, s17
	s_mul_i32 s17, s17, 3
	s_mul_i32 s24, s16, 3
	s_lshl_b32 s25, s16, 2
	s_mul_i32 s26, s16, 5
	s_mul_i32 s27, s16, 6
	;; [unrolled: 1-line block ×3, first 2 shown]
	s_lshl_b32 s29, s16, 3
	s_mul_i32 s30, s16, 9
	s_mul_i32 s31, s16, 10
	;; [unrolled: 1-line block ×7, first 2 shown]
	s_lshl_b32 s38, s16, 4
	s_mul_i32 s39, s16, 17
	s_mul_i32 s40, s16, 18
	;; [unrolled: 1-line block ×15, first 2 shown]
	s_lshl_b64 s[12:13], s[64:65], 2
	s_lshl_b64 s[14:15], s[66:67], 3
.LBB35_4:                               ; =>This Inner Loop Header: Depth=1
	global_load_b32 v16, v[32:33], off
	v_add_nc_u32_e32 v44, s38, v40
	s_delay_alu instid0(VALU_DEP_1) | instskip(NEXT) | instid1(VALU_DEP_1)
	v_ashrrev_i32_e32 v45, 31, v44
	v_lshlrev_b64_e32 v[44:45], 2, v[44:45]
	s_wait_loadcnt 0x0
	ds_store_b32 v41, v16
	s_wait_alu 0xfffe
	v_add_co_u32 v16, vcc_lo, v32, s12
	s_wait_alu 0xfffd
	v_add_co_ci_u32_e64 v17, null, s13, v33, vcc_lo
	global_load_b32 v16, v[16:17], off
	s_wait_loadcnt 0x0
	ds_store_b32 v41, v16 offset:144
	v_add_nc_u32_e32 v16, s10, v40
	s_delay_alu instid0(VALU_DEP_1) | instskip(NEXT) | instid1(VALU_DEP_1)
	v_ashrrev_i32_e32 v17, 31, v16
	v_lshlrev_b64_e32 v[16:17], 2, v[16:17]
	s_delay_alu instid0(VALU_DEP_1) | instskip(SKIP_1) | instid1(VALU_DEP_2)
	v_add_co_u32 v16, vcc_lo, s4, v16
	s_wait_alu 0xfffd
	v_add_co_ci_u32_e64 v17, null, s5, v17, vcc_lo
	global_load_b32 v16, v[16:17], off
	s_wait_loadcnt 0x0
	ds_store_b32 v41, v16 offset:288
	v_add_nc_u32_e32 v16, s24, v40
	s_delay_alu instid0(VALU_DEP_1) | instskip(NEXT) | instid1(VALU_DEP_1)
	v_ashrrev_i32_e32 v17, 31, v16
	v_lshlrev_b64_e32 v[16:17], 2, v[16:17]
	s_delay_alu instid0(VALU_DEP_1) | instskip(SKIP_1) | instid1(VALU_DEP_2)
	;; [unrolled: 11-line block ×14, first 2 shown]
	v_add_co_u32 v16, vcc_lo, s4, v16
	s_wait_alu 0xfffd
	v_add_co_ci_u32_e64 v17, null, s5, v17, vcc_lo
	v_add_co_u32 v44, vcc_lo, s4, v44
	s_wait_alu 0xfffd
	v_add_co_ci_u32_e64 v45, null, s5, v45, vcc_lo
	global_load_b32 v16, v[16:17], off
	s_wait_loadcnt 0x0
	ds_store_b32 v41, v16 offset:2160
	ds_load_b128 v[28:31], v42
	ds_load_b128 v[24:27], v42 offset:32
	ds_load_b128 v[20:23], v42 offset:64
	ds_load_b128 v[16:19], v42 offset:96
	global_load_b32 v44, v[44:45], off
	s_wait_loadcnt 0x0
	ds_store_b32 v41, v44
	v_add_nc_u32_e32 v44, s39, v40
	s_delay_alu instid0(VALU_DEP_1) | instskip(NEXT) | instid1(VALU_DEP_1)
	v_ashrrev_i32_e32 v45, 31, v44
	v_lshlrev_b64_e32 v[44:45], 2, v[44:45]
	s_delay_alu instid0(VALU_DEP_1) | instskip(SKIP_1) | instid1(VALU_DEP_2)
	v_add_co_u32 v44, vcc_lo, s4, v44
	s_wait_alu 0xfffd
	v_add_co_ci_u32_e64 v45, null, s5, v45, vcc_lo
	global_load_b32 v44, v[44:45], off
	s_wait_loadcnt 0x0
	ds_store_b32 v41, v44 offset:144
	v_add_nc_u32_e32 v44, s40, v40
	s_delay_alu instid0(VALU_DEP_1) | instskip(NEXT) | instid1(VALU_DEP_1)
	v_ashrrev_i32_e32 v45, 31, v44
	v_lshlrev_b64_e32 v[44:45], 2, v[44:45]
	s_delay_alu instid0(VALU_DEP_1) | instskip(SKIP_1) | instid1(VALU_DEP_2)
	v_add_co_u32 v44, vcc_lo, s4, v44
	s_wait_alu 0xfffd
	v_add_co_ci_u32_e64 v45, null, s5, v45, vcc_lo
	global_load_b32 v44, v[44:45], off
	s_wait_loadcnt 0x0
	ds_store_b32 v41, v44 offset:288
	;; [unrolled: 11-line block ×15, first 2 shown]
	ds_load_b128 v[44:47], v42
	ds_load_b128 v[48:51], v42 offset:32
	ds_load_b128 v[52:55], v42 offset:64
	ds_load_b128 v[56:59], v42 offset:96
	global_load_b64 v[60:61], v[34:35], off
	s_wait_loadcnt 0x0
	v_cvt_f16_f32_e32 v60, v60
	v_cvt_f16_f32_e32 v61, v61
	s_delay_alu instid0(VALU_DEP_1)
	v_pack_b32_f16 v60, v60, v61
	ds_store_b32 v41, v60
	v_add_co_u32 v60, vcc_lo, v34, s14
	s_wait_alu 0xfffd
	v_add_co_ci_u32_e64 v61, null, s15, v35, vcc_lo
	global_load_b64 v[60:61], v[60:61], off
	s_wait_loadcnt 0x0
	v_cvt_f16_f32_e32 v60, v60
	v_cvt_f16_f32_e32 v61, v61
	s_delay_alu instid0(VALU_DEP_1) | instskip(SKIP_2) | instid1(VALU_DEP_1)
	v_pack_b32_f16 v60, v60, v61
	ds_store_b32 v41, v60 offset:144
	v_add_nc_u32_e32 v60, s23, v40
	v_ashrrev_i32_e32 v61, 31, v60
	s_delay_alu instid0(VALU_DEP_1) | instskip(NEXT) | instid1(VALU_DEP_1)
	v_lshlrev_b64_e32 v[60:61], 3, v[60:61]
	v_add_co_u32 v60, vcc_lo, s8, v60
	s_wait_alu 0xfffd
	s_delay_alu instid0(VALU_DEP_2) | instskip(SKIP_4) | instid1(VALU_DEP_1)
	v_add_co_ci_u32_e64 v61, null, s9, v61, vcc_lo
	global_load_b64 v[60:61], v[60:61], off
	s_wait_loadcnt 0x0
	v_cvt_f16_f32_e32 v60, v60
	v_cvt_f16_f32_e32 v61, v61
	v_pack_b32_f16 v60, v60, v61
	ds_store_b32 v41, v60 offset:288
	v_add_nc_u32_e32 v60, s17, v40
	v_add_nc_u32_e32 v40, 0x60, v40
	s_delay_alu instid0(VALU_DEP_2) | instskip(NEXT) | instid1(VALU_DEP_1)
	v_ashrrev_i32_e32 v61, 31, v60
	v_lshlrev_b64_e32 v[60:61], 3, v[60:61]
	s_delay_alu instid0(VALU_DEP_1) | instskip(SKIP_1) | instid1(VALU_DEP_2)
	v_add_co_u32 v60, vcc_lo, s8, v60
	s_wait_alu 0xfffd
	v_add_co_ci_u32_e64 v61, null, s9, v61, vcc_lo
	v_add_co_u32 v32, vcc_lo, 0x180, v32
	s_wait_alu 0xfffd
	v_add_co_ci_u32_e64 v33, null, 0, v33, vcc_lo
	global_load_b64 v[60:61], v[60:61], off
	v_add_co_u32 v34, vcc_lo, 0x300, v34
	s_wait_alu 0xfffd
	v_add_co_ci_u32_e64 v35, null, 0, v35, vcc_lo
	v_cmp_le_i32_e32 vcc_lo, s21, v40
	s_or_b32 s6, vcc_lo, s6
	s_wait_loadcnt 0x0
	v_cvt_f16_f32_e32 v60, v60
	v_cvt_f16_f32_e32 v61, v61
	s_delay_alu instid0(VALU_DEP_1)
	v_pack_b32_f16 v60, v60, v61
	ds_store_b32 v41, v60 offset:432
	ds_store_b32 v41, v43 offset:576
	;; [unrolled: 1-line block ×13, first 2 shown]
	ds_load_b128 v[60:63], v42
	ds_load_b128 v[64:67], v42 offset:32
	s_wait_dscnt 0x1
	v_wmma_f32_16x16x16_f16 v[8:15], v[28:31], v[60:63], v[8:15]
	v_wmma_f32_16x16x16_f16 v[0:7], v[44:47], v[60:63], v[0:7]
	s_wait_dscnt 0x0
	s_delay_alu instid0(VALU_DEP_2)
	v_wmma_f32_16x16x16_f16 v[8:15], v[24:27], v[64:67], v[8:15]
	ds_load_b128 v[24:27], v42 offset:64
	v_wmma_f32_16x16x16_f16 v[0:7], v[48:51], v[64:67], v[0:7]
	s_wait_dscnt 0x0
	v_wmma_f32_16x16x16_f16 v[8:15], v[20:23], v[24:27], v[8:15]
	ds_load_b128 v[20:23], v42 offset:96
	v_wmma_f32_16x16x16_f16 v[0:7], v[52:55], v[24:27], v[0:7]
	s_wait_dscnt 0x0
	v_wmma_f32_16x16x16_f16 v[8:15], v[16:19], v[20:23], v[8:15]
	s_delay_alu instid0(VALU_DEP_2)
	v_wmma_f32_16x16x16_f16 v[0:7], v[56:59], v[20:23], v[0:7]
	s_and_not1_b32 exec_lo, exec_lo, s6
	s_cbranch_execnz .LBB35_4
; %bb.5:
	s_or_b32 exec_lo, exec_lo, s6
.LBB35_6:
	s_delay_alu instid0(SALU_CYCLE_1) | instskip(SKIP_4) | instid1(VALU_DEP_3)
	s_or_b32 exec_lo, exec_lo, s22
	v_lshlrev_b32_e32 v16, 1, v37
	v_lshl_add_u32 v17, v38, 2, 0
	v_mul_u32_u24_e32 v18, 0x190, v39
	s_barrier_signal -1
	v_and_b32_e32 v16, 0x7e0, v16
	s_barrier_wait -1
	global_inv scope:SCOPE_SE
	s_load_b64 s[0:1], s[0:1], 0x18
	s_ashr_i32 s5, s11, 31
	v_add3_u32 v17, v17, v18, v16
	v_lshl_add_u32 v16, v37, 2, 0
	s_mov_b32 s4, s11
	s_mul_i32 s6, s7, s19
	s_wait_alu 0xfffe
	s_mul_u64 s[2:3], s[4:5], s[2:3]
	ds_store_2addr_b32 v17, v8, v9 offset1:1
	ds_store_2addr_b32 v17, v10, v11 offset0:2 offset1:3
	ds_store_2addr_b32 v17, v12, v13 offset0:4 offset1:5
	;; [unrolled: 1-line block ×7, first 2 shown]
	v_mad_u32_u24 v0, 0x190, v36, v16
	s_wait_loadcnt_dscnt 0x0
	s_barrier_signal -1
	s_barrier_wait -1
	global_inv scope:SCOPE_SE
	ds_load_2addr_b32 v[3:4], v0 offset1:32
	ds_load_b32 v5, v0 offset:256
	v_add_nc_u32_e32 v0, s20, v37
	s_ashr_i32 s7, s6, 31
	s_wait_alu 0xfffe
	s_lshl_b64 s[2:3], s[2:3], 2
	s_lshl_b64 s[4:5], s[6:7], 2
	s_wait_kmcnt 0x0
	v_mad_co_u64_u32 v[1:2], null, v36, s18, v[0:1]
	v_mov_b32_e32 v2, 0
	s_wait_alu 0xfffe
	s_add_nc_u64 s[0:1], s[0:1], s[2:3]
	s_mov_b32 s2, exec_lo
	s_add_nc_u64 s[0:1], s[0:1], s[4:5]
	s_wait_dscnt 0x1
	v_add_f32_e32 v3, 0, v3
	s_delay_alu instid0(VALU_DEP_1) | instskip(SKIP_2) | instid1(VALU_DEP_2)
	v_add_f32_e32 v6, v3, v4
	v_lshlrev_b64_e32 v[3:4], 2, v[1:2]
	s_wait_dscnt 0x0
	v_add_f32_e32 v1, v6, v5
	s_delay_alu instid0(VALU_DEP_2) | instskip(SKIP_1) | instid1(VALU_DEP_3)
	v_add_co_u32 v3, vcc_lo, s0, v3
	s_wait_alu 0xfffd
	v_add_co_ci_u32_e64 v4, null, s1, v4, vcc_lo
	global_store_b32 v[3:4], v1, off
	v_cmpx_eq_u32_e32 0, v36
	s_cbranch_execz .LBB35_8
; %bb.7:
	v_add_nc_u32_e32 v1, 0x400, v16
	ds_load_2addr_b32 v[3:4], v1 offset0:44 offset1:76
	ds_load_b32 v5, v16 offset:1456
	v_mad_co_u64_u32 v[0:1], null, s18, 3, v[0:1]
	s_wait_dscnt 0x1
	v_add_f32_e32 v3, 0, v3
	s_delay_alu instid0(VALU_DEP_1) | instskip(NEXT) | instid1(VALU_DEP_1)
	v_dual_mov_b32 v1, v2 :: v_dual_add_f32 v2, v3, v4
	v_lshlrev_b64_e32 v[0:1], 2, v[0:1]
	s_wait_dscnt 0x0
	s_delay_alu instid0(VALU_DEP_2) | instskip(NEXT) | instid1(VALU_DEP_2)
	v_add_f32_e32 v2, v2, v5
	v_add_co_u32 v0, vcc_lo, s0, v0
	s_wait_alu 0xfffd
	s_delay_alu instid0(VALU_DEP_3)
	v_add_co_ci_u32_e64 v1, null, s1, v1, vcc_lo
	global_store_b32 v[0:1], v2, off
.LBB35_8:
	s_endpgm
	.section	.rodata,"a",@progbits
	.p2align	6, 0x0
	.amdhsa_kernel _ZL9mul_mat_fI7__half2Li32ELi4ELi3ELb0EEvPKT_PKfPKiPfiiiiiiiiiiiiiiii
		.amdhsa_group_segment_fixed_size 0
		.amdhsa_private_segment_fixed_size 0
		.amdhsa_kernarg_size 96
		.amdhsa_user_sgpr_count 2
		.amdhsa_user_sgpr_dispatch_ptr 0
		.amdhsa_user_sgpr_queue_ptr 0
		.amdhsa_user_sgpr_kernarg_segment_ptr 1
		.amdhsa_user_sgpr_dispatch_id 0
		.amdhsa_user_sgpr_private_segment_size 0
		.amdhsa_wavefront_size32 1
		.amdhsa_uses_dynamic_stack 0
		.amdhsa_enable_private_segment 0
		.amdhsa_system_sgpr_workgroup_id_x 1
		.amdhsa_system_sgpr_workgroup_id_y 1
		.amdhsa_system_sgpr_workgroup_id_z 1
		.amdhsa_system_sgpr_workgroup_info 0
		.amdhsa_system_vgpr_workitem_id 1
		.amdhsa_next_free_vgpr 68
		.amdhsa_next_free_sgpr 68
		.amdhsa_reserve_vcc 1
		.amdhsa_float_round_mode_32 0
		.amdhsa_float_round_mode_16_64 0
		.amdhsa_float_denorm_mode_32 3
		.amdhsa_float_denorm_mode_16_64 3
		.amdhsa_fp16_overflow 0
		.amdhsa_workgroup_processor_mode 1
		.amdhsa_memory_ordered 1
		.amdhsa_forward_progress 1
		.amdhsa_inst_pref_size 32
		.amdhsa_round_robin_scheduling 0
		.amdhsa_exception_fp_ieee_invalid_op 0
		.amdhsa_exception_fp_denorm_src 0
		.amdhsa_exception_fp_ieee_div_zero 0
		.amdhsa_exception_fp_ieee_overflow 0
		.amdhsa_exception_fp_ieee_underflow 0
		.amdhsa_exception_fp_ieee_inexact 0
		.amdhsa_exception_int_div_zero 0
	.end_amdhsa_kernel
	.section	.text._ZL9mul_mat_fI7__half2Li32ELi4ELi3ELb0EEvPKT_PKfPKiPfiiiiiiiiiiiiiiii,"axG",@progbits,_ZL9mul_mat_fI7__half2Li32ELi4ELi3ELb0EEvPKT_PKfPKiPfiiiiiiiiiiiiiiii,comdat
.Lfunc_end35:
	.size	_ZL9mul_mat_fI7__half2Li32ELi4ELi3ELb0EEvPKT_PKfPKiPfiiiiiiiiiiiiiiii, .Lfunc_end35-_ZL9mul_mat_fI7__half2Li32ELi4ELi3ELb0EEvPKT_PKfPKiPfiiiiiiiiiiiiiiii
                                        ; -- End function
	.set _ZL9mul_mat_fI7__half2Li32ELi4ELi3ELb0EEvPKT_PKfPKiPfiiiiiiiiiiiiiiii.num_vgpr, 68
	.set _ZL9mul_mat_fI7__half2Li32ELi4ELi3ELb0EEvPKT_PKfPKiPfiiiiiiiiiiiiiiii.num_agpr, 0
	.set _ZL9mul_mat_fI7__half2Li32ELi4ELi3ELb0EEvPKT_PKfPKiPfiiiiiiiiiiiiiiii.numbered_sgpr, 68
	.set _ZL9mul_mat_fI7__half2Li32ELi4ELi3ELb0EEvPKT_PKfPKiPfiiiiiiiiiiiiiiii.num_named_barrier, 0
	.set _ZL9mul_mat_fI7__half2Li32ELi4ELi3ELb0EEvPKT_PKfPKiPfiiiiiiiiiiiiiiii.private_seg_size, 0
	.set _ZL9mul_mat_fI7__half2Li32ELi4ELi3ELb0EEvPKT_PKfPKiPfiiiiiiiiiiiiiiii.uses_vcc, 1
	.set _ZL9mul_mat_fI7__half2Li32ELi4ELi3ELb0EEvPKT_PKfPKiPfiiiiiiiiiiiiiiii.uses_flat_scratch, 0
	.set _ZL9mul_mat_fI7__half2Li32ELi4ELi3ELb0EEvPKT_PKfPKiPfiiiiiiiiiiiiiiii.has_dyn_sized_stack, 0
	.set _ZL9mul_mat_fI7__half2Li32ELi4ELi3ELb0EEvPKT_PKfPKiPfiiiiiiiiiiiiiiii.has_recursion, 0
	.set _ZL9mul_mat_fI7__half2Li32ELi4ELi3ELb0EEvPKT_PKfPKiPfiiiiiiiiiiiiiiii.has_indirect_call, 0
	.section	.AMDGPU.csdata,"",@progbits
; Kernel info:
; codeLenInByte = 3996
; TotalNumSgprs: 70
; NumVgprs: 68
; ScratchSize: 0
; MemoryBound: 0
; FloatMode: 240
; IeeeMode: 1
; LDSByteSize: 0 bytes/workgroup (compile time only)
; SGPRBlocks: 0
; VGPRBlocks: 8
; NumSGPRsForWavesPerEU: 70
; NumVGPRsForWavesPerEU: 68
; Occupancy: 16
; WaveLimiterHint : 0
; COMPUTE_PGM_RSRC2:SCRATCH_EN: 0
; COMPUTE_PGM_RSRC2:USER_SGPR: 2
; COMPUTE_PGM_RSRC2:TRAP_HANDLER: 0
; COMPUTE_PGM_RSRC2:TGID_X_EN: 1
; COMPUTE_PGM_RSRC2:TGID_Y_EN: 1
; COMPUTE_PGM_RSRC2:TGID_Z_EN: 1
; COMPUTE_PGM_RSRC2:TIDIG_COMP_CNT: 1
	.section	.text._ZL13mul_mat_f_idsI7__half2Li32ELi4ELi4EEvPKT_PKfPKiS7_S7_Pfiiiiiiiiiiiiii15HIP_vector_typeIjLj3EESA_,"axG",@progbits,_ZL13mul_mat_f_idsI7__half2Li32ELi4ELi4EEvPKT_PKfPKiS7_S7_Pfiiiiiiiiiiiiii15HIP_vector_typeIjLj3EESA_,comdat
	.globl	_ZL13mul_mat_f_idsI7__half2Li32ELi4ELi4EEvPKT_PKfPKiS7_S7_Pfiiiiiiiiiiiiii15HIP_vector_typeIjLj3EESA_ ; -- Begin function _ZL13mul_mat_f_idsI7__half2Li32ELi4ELi4EEvPKT_PKfPKiS7_S7_Pfiiiiiiiiiiiiii15HIP_vector_typeIjLj3EESA_
	.p2align	8
	.type	_ZL13mul_mat_f_idsI7__half2Li32ELi4ELi4EEvPKT_PKfPKiS7_S7_Pfiiiiiiiiiiiiii15HIP_vector_typeIjLj3EESA_,@function
_ZL13mul_mat_f_idsI7__half2Li32ELi4ELi4EEvPKT_PKfPKiS7_S7_Pfiiiiiiiiiiiiii15HIP_vector_typeIjLj3EESA_: ; @_ZL13mul_mat_f_idsI7__half2Li32ELi4ELi4EEvPKT_PKfPKiS7_S7_Pfiiiiiiiiiiiiii15HIP_vector_typeIjLj3EESA_
; %bb.0:
	s_load_b64 s[4:5], s[0:1], 0x20
	s_and_b32 s2, ttmp7, 0xffff
	s_delay_alu instid0(SALU_CYCLE_1) | instskip(SKIP_4) | instid1(SALU_CYCLE_1)
	s_lshl_b32 s3, s2, 2
	s_wait_kmcnt 0x0
	s_load_b64 s[24:25], s[4:5], s3 offset:0x0
	s_wait_kmcnt 0x0
	s_sub_co_i32 s33, s25, s24
	s_add_co_i32 s3, s33, 3
	s_delay_alu instid0(SALU_CYCLE_1) | instskip(NEXT) | instid1(SALU_CYCLE_1)
	s_ashr_i32 s4, s3, 31
	s_lshr_b32 s4, s4, 30
	s_delay_alu instid0(SALU_CYCLE_1) | instskip(NEXT) | instid1(SALU_CYCLE_1)
	s_add_co_i32 s3, s3, s4
	s_ashr_i32 s4, s3, 2
	s_lshr_b32 s3, ttmp7, 16
	s_delay_alu instid0(SALU_CYCLE_1)
	s_cmp_ge_i32 s3, s4
	s_cbranch_scc1 .LBB36_22
; %bb.1:
	s_clause 0x3
	s_load_b128 s[4:7], s[0:1], 0x30
	s_load_b64 s[20:21], s[0:1], 0x40
	s_load_b128 s[8:11], s[0:1], 0x68
	s_load_b64 s[22:23], s[0:1], 0x78
	v_bfe_u32 v52, v0, 10, 10
	v_and_b32_e32 v51, 0x3ff, v0
	s_ashr_i32 s25, s24, 31
	s_mov_b32 s12, exec_lo
	s_delay_alu instid0(VALU_DEP_2) | instskip(NEXT) | instid1(VALU_DEP_2)
	v_lshlrev_b32_e32 v53, 5, v52
	v_and_b32_e32 v54, 15, v51
	s_delay_alu instid0(VALU_DEP_2) | instskip(SKIP_1) | instid1(VALU_DEP_1)
	v_add_nc_u32_e32 v48, v53, v51
	s_wait_kmcnt 0x0
	v_cmpx_le_i32_e64 s4, v48
	s_xor_b32 s12, exec_lo, s12
; %bb.2:
	v_and_b32_e32 v54, 15, v51
                                        ; implicit-def: $vgpr48
; %bb.3:
	s_or_saveexec_b32 s37, s12
	s_clause 0x1
	s_load_b64 s[26:27], s[0:1], 0x28
	s_load_b96 s[16:18], s[0:1], 0x4c
	v_mov_b32_e32 v7, 0
	s_lshl_b32 s19, ttmp9, 5
	s_lshl_b32 s36, s3, 2
	s_delay_alu instid0(VALU_DEP_1)
	v_dual_mov_b32 v6, v7 :: v_dual_mov_b32 v5, v7
	v_dual_mov_b32 v4, v7 :: v_dual_mov_b32 v3, v7
	;; [unrolled: 1-line block ×7, first 2 shown]
	v_mov_b32_e32 v8, v7
	s_xor_b32 exec_lo, exec_lo, s37
	s_cbranch_execz .LBB36_19
; %bb.4:
	s_clause 0x1
	s_load_b128 s[12:15], s[0:1], 0x0
	s_load_b64 s[28:29], s[0:1], 0x10
	s_wait_kmcnt 0x0
	s_mul_i32 s30, s16, s2
	s_mul_i32 s34, s7, s19
	s_ashr_i32 s31, s30, 31
	s_ashr_i32 s35, s34, 31
	s_lshl_b64 s[38:39], s[24:25], 2
	s_lshl_b64 s[68:69], s[30:31], 2
	s_lshl_b64 s[70:71], s[34:35], 2
	s_cmp_lt_i32 s36, s33
	v_mad_u32_u24 v0, 0x900, v52, 0
	v_dual_mov_b32 v8, 0 :: v_dual_lshlrev_b32 v1, 2, v51
	v_mul_u32_u24_e32 v2, 0x90, v54
	s_cselect_b32 s16, -1, 0
	s_or_b32 s30, s36, 1
	v_mov_b32_e32 v57, 0
	v_and_b32_e32 v3, 0x3f0, v51
	s_lshl_b32 s2, s36, 2
	s_cmp_lt_i32 s30, s33
	s_add_nc_u64 s[30:31], s[12:13], s[68:69]
	s_add_nc_u64 s[34:35], s[28:29], s[38:39]
	;; [unrolled: 1-line block ×3, first 2 shown]
	s_cselect_b32 s38, -1, 0
	s_or_b32 s30, s36, 2
	v_dual_mov_b32 v10, v57 :: v_dual_add_nc_u32 v55, v0, v1
	v_add3_u32 v56, v0, v2, v3
	v_dual_mov_b32 v9, v57 :: v_dual_lshlrev_b32 v0, 7, v52
	s_mov_b32 s3, 0
	s_cmp_lt_i32 s30, s33
	s_add_nc_u64 s[30:31], s[34:35], s[2:3]
	s_cselect_b32 s39, -1, 0
	s_or_b32 s2, s36, 3
	s_add_nc_u64 s[68:69], s[68:69], s[70:71]
	s_cmp_lt_i32 s2, s33
	v_add_co_u32 v0, s2, s68, v0
	s_delay_alu instid0(VALU_DEP_1) | instskip(SKIP_2) | instid1(VALU_DEP_1)
	v_add_co_ci_u32_e64 v2, null, s69, 0, s2
	s_mov_b32 s34, s8
	v_add_co_u32 v0, vcc_lo, v0, v1
	v_add_co_ci_u32_e64 v1, null, 0, v2, vcc_lo
	s_cselect_b32 s8, -1, 0
	v_add_co_u32 v49, vcc_lo, s12, v0
	s_wait_alu 0xfffd
	v_add_co_ci_u32_e64 v50, null, s13, v1, vcc_lo
	v_dual_mov_b32 v0, 0 :: v_dual_mov_b32 v11, v57
	v_mov_b32_e32 v14, v57
	v_dual_mov_b32 v12, v57 :: v_dual_mov_b32 v13, v57
	v_dual_mov_b32 v2, v57 :: v_dual_mov_b32 v15, v57
	v_dual_mov_b32 v4, v57 :: v_dual_mov_b32 v1, v57
	v_dual_mov_b32 v6, v57 :: v_dual_mov_b32 v3, v57
	v_mov_b32_e32 v5, v57
	v_mov_b32_e32 v7, v57
	s_ashr_i32 s73, s7, 31
	s_mov_b32 s72, s7
	s_mov_b32 s35, s3
	s_add_co_i32 s40, s7, s7
	s_mul_i32 s41, s7, 3
	s_lshl_b32 s42, s7, 2
	s_mul_i32 s43, s7, 5
	s_mul_i32 s44, s7, 6
	;; [unrolled: 1-line block ×3, first 2 shown]
	s_lshl_b32 s46, s7, 3
	s_mul_i32 s47, s7, 9
	s_mul_i32 s48, s7, 10
	;; [unrolled: 1-line block ×7, first 2 shown]
	s_lshl_b32 s54, s7, 4
	s_mul_i32 s55, s7, 17
	s_mul_i32 s56, s7, 18
	;; [unrolled: 1-line block ×15, first 2 shown]
	s_lshl_b64 s[12:13], s[72:73], 2
	s_mov_b32 s69, 0
	s_branch .LBB36_6
.LBB36_5:                               ;   in Loop: Header=BB36_6 Depth=1
	v_perm_b32 v58, v58, v59, 0x5040100
	v_perm_b32 v59, v61, v62, 0x5040100
	;; [unrolled: 1-line block ×4, first 2 shown]
	v_add_nc_u32_e32 v62, 0x400, v55
	ds_store_2addr_b32 v55, v58, v59 offset1:36
	ds_store_2addr_b32 v55, v60, v61 offset0:72 offset1:108
	ds_store_2addr_b32 v55, v57, v57 offset0:144 offset1:180
	v_add_nc_u32_e32 v58, 0x600, v55
	ds_store_2addr_b32 v55, v57, v57 offset0:216 offset1:252
	ds_store_2addr_b32 v62, v57, v57 offset0:32 offset1:68
	;; [unrolled: 1-line block ×5, first 2 shown]
	ds_load_b128 v[58:61], v56
	ds_load_b128 v[62:65], v56 offset:32
	ds_load_b128 v[66:69], v56 offset:64
	;; [unrolled: 1-line block ×3, first 2 shown]
	v_add_nc_u32_e32 v48, 0x80, v48
	v_add_co_u32 v49, s2, 0x200, v49
	s_wait_alu 0xf1ff
	v_add_co_ci_u32_e64 v50, null, 0, v50, s2
	s_delay_alu instid0(VALU_DEP_3)
	v_cmp_le_i32_e32 vcc_lo, s4, v48
	s_or_b32 s69, vcc_lo, s69
	s_wait_dscnt 0x3
	v_wmma_f32_16x16x16_f16 v[8:15], v[32:35], v[58:61], v[8:15]
	v_wmma_f32_16x16x16_f16 v[0:7], v[44:47], v[58:61], v[0:7]
	s_wait_dscnt 0x2
	s_delay_alu instid0(VALU_DEP_2) | instskip(NEXT) | instid1(VALU_DEP_2)
	v_wmma_f32_16x16x16_f16 v[8:15], v[28:31], v[62:65], v[8:15]
	v_wmma_f32_16x16x16_f16 v[0:7], v[40:43], v[62:65], v[0:7]
	s_wait_dscnt 0x1
	s_delay_alu instid0(VALU_DEP_2) | instskip(NEXT) | instid1(VALU_DEP_2)
	;; [unrolled: 4-line block ×3, first 2 shown]
	v_wmma_f32_16x16x16_f16 v[8:15], v[16:19], v[70:73], v[8:15]
	v_wmma_f32_16x16x16_f16 v[0:7], v[20:23], v[70:73], v[0:7]
	s_wait_alu 0xfffe
	s_and_not1_b32 exec_lo, exec_lo, s69
	s_cbranch_execz .LBB36_18
.LBB36_6:                               ; =>This Inner Loop Header: Depth=1
	v_add_nc_u32_e32 v22, s42, v48
	v_add_nc_u32_e32 v16, s40, v48
	s_wait_alu 0xfffe
	v_add_co_u32 v20, vcc_lo, v49, s12
	v_add_nc_u32_e32 v18, s41, v48
	s_wait_alu 0xfffd
	v_add_co_ci_u32_e64 v21, null, s13, v50, vcc_lo
	v_ashrrev_i32_e32 v23, 31, v22
	v_ashrrev_i32_e32 v17, 31, v16
	v_add_nc_u32_e32 v24, s43, v48
	v_ashrrev_i32_e32 v19, 31, v18
	s_clause 0x1
	global_load_b32 v38, v[49:50], off
	global_load_b32 v39, v[20:21], off
	v_lshlrev_b64_e32 v[20:21], 2, v[22:23]
	v_add_nc_u32_e32 v22, s44, v48
	v_lshlrev_b64_e32 v[16:17], 2, v[16:17]
	v_add_nc_u32_e32 v26, s45, v48
	v_ashrrev_i32_e32 v25, 31, v24
	v_lshlrev_b64_e32 v[18:19], 2, v[18:19]
	v_add_nc_u32_e32 v28, s46, v48
	v_ashrrev_i32_e32 v23, 31, v22
	v_add_nc_u32_e32 v30, s47, v48
	v_ashrrev_i32_e32 v27, 31, v26
	v_add_co_u32 v16, vcc_lo, s28, v16
	v_lshlrev_b64_e32 v[24:25], 2, v[24:25]
	v_ashrrev_i32_e32 v29, 31, v28
	s_wait_alu 0xfffd
	v_add_co_ci_u32_e64 v17, null, s29, v17, vcc_lo
	v_add_co_u32 v18, vcc_lo, s28, v18
	v_lshlrev_b64_e32 v[22:23], 2, v[22:23]
	v_ashrrev_i32_e32 v31, 31, v30
	s_wait_alu 0xfffd
	v_add_co_ci_u32_e64 v19, null, s29, v19, vcc_lo
	v_add_co_u32 v20, vcc_lo, s28, v20
	v_lshlrev_b64_e32 v[26:27], 2, v[26:27]
	s_wait_alu 0xfffd
	v_add_co_ci_u32_e64 v21, null, s29, v21, vcc_lo
	v_add_co_u32 v24, vcc_lo, s28, v24
	v_lshlrev_b64_e32 v[28:29], 2, v[28:29]
	;; [unrolled: 4-line block ×3, first 2 shown]
	s_wait_alu 0xfffd
	v_add_co_ci_u32_e64 v23, null, s29, v23, vcc_lo
	v_add_co_u32 v26, vcc_lo, s28, v26
	v_add_nc_u32_e32 v32, s48, v48
	s_wait_alu 0xfffd
	v_add_co_ci_u32_e64 v27, null, s29, v27, vcc_lo
	v_add_co_u32 v28, vcc_lo, s28, v28
	v_add_nc_u32_e32 v34, s49, v48
	;; [unrolled: 4-line block ×3, first 2 shown]
	v_ashrrev_i32_e32 v33, 31, v32
	s_wait_alu 0xfffd
	v_add_co_ci_u32_e64 v31, null, s29, v31, vcc_lo
	s_clause 0x7
	global_load_b32 v40, v[16:17], off
	global_load_b32 v41, v[18:19], off
	;; [unrolled: 1-line block ×8, first 2 shown]
	v_add_nc_u32_e32 v18, s51, v48
	v_ashrrev_i32_e32 v35, 31, v34
	v_add_nc_u32_e32 v24, s52, v48
	v_ashrrev_i32_e32 v37, 31, v36
	v_lshlrev_b64_e32 v[32:33], 2, v[32:33]
	v_add_nc_u32_e32 v26, s53, v48
	v_ashrrev_i32_e32 v19, 31, v18
	v_lshlrev_b64_e32 v[16:17], 2, v[34:35]
	;; [unrolled: 3-line block ×3, first 2 shown]
	v_add_nc_u32_e32 v30, s55, v48
	v_ashrrev_i32_e32 v27, 31, v26
	v_add_co_u32 v20, vcc_lo, s28, v32
	v_lshlrev_b64_e32 v[18:19], 2, v[18:19]
	v_ashrrev_i32_e32 v29, 31, v28
	s_wait_alu 0xfffd
	v_add_co_ci_u32_e64 v21, null, s29, v33, vcc_lo
	v_add_co_u32 v16, vcc_lo, s28, v16
	v_lshlrev_b64_e32 v[24:25], 2, v[24:25]
	v_ashrrev_i32_e32 v31, 31, v30
	s_wait_alu 0xfffd
	v_add_co_ci_u32_e64 v17, null, s29, v17, vcc_lo
	v_add_co_u32 v22, vcc_lo, s28, v22
	v_lshlrev_b64_e32 v[26:27], 2, v[26:27]
	s_wait_alu 0xfffd
	v_add_co_ci_u32_e64 v23, null, s29, v23, vcc_lo
	v_add_co_u32 v18, vcc_lo, s28, v18
	v_lshlrev_b64_e32 v[28:29], 2, v[28:29]
	;; [unrolled: 4-line block ×3, first 2 shown]
	s_wait_alu 0xfffd
	v_add_co_ci_u32_e64 v25, null, s29, v25, vcc_lo
	v_add_co_u32 v26, vcc_lo, s28, v26
	v_add_nc_u32_e32 v32, s56, v48
	s_wait_alu 0xfffd
	v_add_co_ci_u32_e64 v27, null, s29, v27, vcc_lo
	v_add_co_u32 v28, vcc_lo, s28, v28
	v_add_nc_u32_e32 v34, s57, v48
	s_wait_alu 0xfffd
	v_add_co_ci_u32_e64 v29, null, s29, v29, vcc_lo
	v_add_co_u32 v30, vcc_lo, s28, v30
	v_add_nc_u32_e32 v36, s58, v48
	v_ashrrev_i32_e32 v33, 31, v32
	s_wait_alu 0xfffd
	v_add_co_ci_u32_e64 v31, null, s29, v31, vcc_lo
	s_clause 0x7
	global_load_b32 v58, v[20:21], off
	global_load_b32 v59, v[16:17], off
	;; [unrolled: 1-line block ×8, first 2 shown]
	v_add_nc_u32_e32 v18, s59, v48
	v_ashrrev_i32_e32 v35, 31, v34
	v_add_nc_u32_e32 v24, s60, v48
	v_ashrrev_i32_e32 v37, 31, v36
	v_lshlrev_b64_e32 v[32:33], 2, v[32:33]
	v_add_nc_u32_e32 v26, s61, v48
	v_ashrrev_i32_e32 v19, 31, v18
	v_lshlrev_b64_e32 v[16:17], 2, v[34:35]
	;; [unrolled: 3-line block ×3, first 2 shown]
	v_add_nc_u32_e32 v30, s63, v48
	v_ashrrev_i32_e32 v27, 31, v26
	v_add_co_u32 v20, vcc_lo, s28, v32
	v_lshlrev_b64_e32 v[18:19], 2, v[18:19]
	v_ashrrev_i32_e32 v29, 31, v28
	s_wait_alu 0xfffd
	v_add_co_ci_u32_e64 v21, null, s29, v33, vcc_lo
	v_add_co_u32 v16, vcc_lo, s28, v16
	v_lshlrev_b64_e32 v[24:25], 2, v[24:25]
	v_ashrrev_i32_e32 v31, 31, v30
	s_wait_alu 0xfffd
	v_add_co_ci_u32_e64 v17, null, s29, v17, vcc_lo
	v_add_co_u32 v22, vcc_lo, s28, v22
	v_lshlrev_b64_e32 v[26:27], 2, v[26:27]
	s_wait_alu 0xfffd
	v_add_co_ci_u32_e64 v23, null, s29, v23, vcc_lo
	v_add_co_u32 v18, vcc_lo, s28, v18
	v_lshlrev_b64_e32 v[28:29], 2, v[28:29]
	;; [unrolled: 4-line block ×3, first 2 shown]
	s_wait_alu 0xfffd
	v_add_co_ci_u32_e64 v25, null, s29, v25, vcc_lo
	v_add_co_u32 v26, vcc_lo, s28, v26
	v_add_nc_u32_e32 v32, s64, v48
	s_wait_alu 0xfffd
	v_add_co_ci_u32_e64 v27, null, s29, v27, vcc_lo
	v_add_co_u32 v28, vcc_lo, s28, v28
	v_add_nc_u32_e32 v34, s65, v48
	s_wait_alu 0xfffd
	v_add_co_ci_u32_e64 v29, null, s29, v29, vcc_lo
	v_add_co_u32 v30, vcc_lo, s28, v30
	v_add_nc_u32_e32 v36, s66, v48
	v_ashrrev_i32_e32 v33, 31, v32
	s_wait_alu 0xfffd
	v_add_co_ci_u32_e64 v31, null, s29, v31, vcc_lo
	s_clause 0x7
	global_load_b32 v66, v[20:21], off
	global_load_b32 v67, v[16:17], off
	;; [unrolled: 1-line block ×8, first 2 shown]
	v_add_nc_u32_e32 v18, s67, v48
	v_ashrrev_i32_e32 v35, 31, v34
	v_add_nc_u32_e32 v24, s68, v48
	v_ashrrev_i32_e32 v37, 31, v36
	v_lshlrev_b64_e32 v[32:33], 2, v[32:33]
	v_add_nc_u32_e32 v26, s7, v48
	v_ashrrev_i32_e32 v19, 31, v18
	v_lshlrev_b64_e32 v[16:17], 2, v[34:35]
	v_ashrrev_i32_e32 v25, 31, v24
	v_lshlrev_b64_e32 v[22:23], 2, v[36:37]
	v_ashrrev_i32_e32 v27, 31, v26
	v_add_co_u32 v20, vcc_lo, s28, v32
	v_lshlrev_b64_e32 v[18:19], 2, v[18:19]
	s_wait_alu 0xfffd
	v_add_co_ci_u32_e64 v21, null, s29, v33, vcc_lo
	v_add_co_u32 v16, vcc_lo, s28, v16
	v_lshlrev_b64_e32 v[24:25], 2, v[24:25]
	s_wait_alu 0xfffd
	v_add_co_ci_u32_e64 v17, null, s29, v17, vcc_lo
	;; [unrolled: 4-line block ×3, first 2 shown]
	v_add_co_u32 v18, vcc_lo, s28, v18
	s_wait_alu 0xfffd
	v_add_co_ci_u32_e64 v19, null, s29, v19, vcc_lo
	v_add_co_u32 v24, vcc_lo, s28, v24
	s_wait_alu 0xfffd
	v_add_co_ci_u32_e64 v25, null, s29, v25, vcc_lo
	;; [unrolled: 3-line block ×3, first 2 shown]
	s_clause 0x5
	global_load_b32 v20, v[20:21], off
	global_load_b32 v21, v[16:17], off
	global_load_b32 v22, v[22:23], off
	global_load_b32 v23, v[18:19], off
	global_load_b32 v36, v[24:25], off
	global_load_b32 v37, v[26:27], off
	s_and_not1_b32 vcc_lo, exec_lo, s16
	s_wait_loadcnt 0x1f
	ds_store_b32 v55, v38
	s_wait_loadcnt 0x1e
	ds_store_b32 v55, v39 offset:144
	s_wait_loadcnt 0x1d
	ds_store_b32 v55, v40 offset:288
	;; [unrolled: 2-line block ×15, first 2 shown]
	ds_load_b128 v[32:35], v56
	ds_load_b128 v[28:31], v56 offset:32
	ds_load_b128 v[24:27], v56 offset:64
	;; [unrolled: 1-line block ×3, first 2 shown]
	s_wait_loadcnt 0xf
	ds_store_b32 v55, v64
	s_wait_loadcnt 0xe
	ds_store_b32 v55, v65 offset:144
	s_wait_loadcnt 0xd
	ds_store_b32 v55, v66 offset:288
	;; [unrolled: 2-line block ×15, first 2 shown]
	ds_load_b128 v[44:47], v56
	ds_load_b128 v[40:43], v56 offset:32
	ds_load_b128 v[36:39], v56 offset:64
	;; [unrolled: 1-line block ×3, first 2 shown]
	v_dual_mov_b32 v59, 0 :: v_dual_mov_b32 v58, 0
	s_wait_alu 0xfffe
	s_cbranch_vccnz .LBB36_9
; %bb.7:                                ;   in Loop: Header=BB36_6 Depth=1
	s_load_b32 s2, s[30:31], 0x0
	v_dual_mov_b32 v58, 0 :: v_dual_mov_b32 v59, 0
	s_wait_kmcnt 0x0
	s_mul_u64 s[70:71], s[2:3], s[34:35]
	s_wait_alu 0xfffe
	s_add_co_i32 s70, s2, s71
	s_wait_alu 0xfffe
	s_lshr_b32 s70, s70, s9
	s_wait_alu 0xfffe
	s_cmp_ge_i32 s70, s5
	s_cbranch_scc1 .LBB36_9
; %bb.8:                                ;   in Loop: Header=BB36_6 Depth=1
	v_mad_co_u64_u32 v[58:59], null, s70, s20, v[48:49]
	s_mul_i32 s70, s70, s10
	s_wait_alu 0xfffe
	s_sub_co_i32 s2, s2, s70
	s_wait_alu 0xfffe
	s_mul_i32 s2, s2, s17
	s_wait_alu 0xfffe
	v_lshl_add_u32 v58, v58, 1, s2
	s_delay_alu instid0(VALU_DEP_1) | instskip(NEXT) | instid1(VALU_DEP_1)
	v_ashrrev_i32_e32 v59, 31, v58
	v_lshlrev_b64_e32 v[58:59], 2, v[58:59]
	s_delay_alu instid0(VALU_DEP_1) | instskip(SKIP_1) | instid1(VALU_DEP_2)
	v_add_co_u32 v58, vcc_lo, s14, v58
	s_wait_alu 0xfffd
	v_add_co_ci_u32_e64 v59, null, s15, v59, vcc_lo
	global_load_b64 v[59:60], v[58:59], off
	s_wait_loadcnt 0x0
	v_cvt_f16_f32_e32 v59, v59
	v_cvt_f16_f32_e32 v58, v60
.LBB36_9:                               ;   in Loop: Header=BB36_6 Depth=1
	v_dual_mov_b32 v60, 0 :: v_dual_mov_b32 v61, 0
	v_mov_b32_e32 v62, 0
	s_and_not1_b32 vcc_lo, exec_lo, s38
	s_wait_alu 0xfffe
	s_cbranch_vccnz .LBB36_12
; %bb.10:                               ;   in Loop: Header=BB36_6 Depth=1
	s_load_b32 s2, s[30:31], 0x4
	v_dual_mov_b32 v61, 0 :: v_dual_mov_b32 v62, 0
	s_wait_kmcnt 0x0
	s_mul_u64 s[70:71], s[2:3], s[34:35]
	s_wait_alu 0xfffe
	s_add_co_i32 s70, s2, s71
	s_wait_alu 0xfffe
	s_lshr_b32 s70, s70, s9
	s_wait_alu 0xfffe
	s_cmp_ge_i32 s70, s5
	s_cbranch_scc1 .LBB36_12
; %bb.11:                               ;   in Loop: Header=BB36_6 Depth=1
	v_mad_co_u64_u32 v[61:62], null, s70, s20, v[48:49]
	s_mul_i32 s70, s70, s10
	s_wait_alu 0xfffe
	s_sub_co_i32 s2, s2, s70
	s_wait_alu 0xfffe
	s_mul_i32 s2, s2, s17
	s_wait_alu 0xfffe
	v_lshl_add_u32 v61, v61, 1, s2
	s_delay_alu instid0(VALU_DEP_1) | instskip(NEXT) | instid1(VALU_DEP_1)
	v_ashrrev_i32_e32 v62, 31, v61
	v_lshlrev_b64_e32 v[61:62], 2, v[61:62]
	s_delay_alu instid0(VALU_DEP_1) | instskip(SKIP_1) | instid1(VALU_DEP_2)
	v_add_co_u32 v61, vcc_lo, s14, v61
	s_wait_alu 0xfffd
	v_add_co_ci_u32_e64 v62, null, s15, v62, vcc_lo
	global_load_b64 v[62:63], v[61:62], off
	s_wait_loadcnt 0x0
	v_cvt_f16_f32_e32 v62, v62
	v_cvt_f16_f32_e32 v61, v63
.LBB36_12:                              ;   in Loop: Header=BB36_6 Depth=1
	v_mov_b32_e32 v63, 0
	s_and_not1_b32 vcc_lo, exec_lo, s39
	s_wait_alu 0xfffe
	s_cbranch_vccnz .LBB36_15
; %bb.13:                               ;   in Loop: Header=BB36_6 Depth=1
	s_load_b32 s2, s[30:31], 0x8
	v_dual_mov_b32 v63, 0 :: v_dual_mov_b32 v60, 0
	s_wait_kmcnt 0x0
	s_mul_u64 s[70:71], s[2:3], s[34:35]
	s_wait_alu 0xfffe
	s_add_co_i32 s70, s2, s71
	s_wait_alu 0xfffe
	s_lshr_b32 s70, s70, s9
	s_wait_alu 0xfffe
	s_cmp_ge_i32 s70, s5
	s_cbranch_scc1 .LBB36_15
; %bb.14:                               ;   in Loop: Header=BB36_6 Depth=1
	v_mad_co_u64_u32 v[63:64], null, s70, s20, v[48:49]
	s_mul_i32 s70, s70, s10
	s_wait_alu 0xfffe
	s_sub_co_i32 s2, s2, s70
	s_wait_alu 0xfffe
	s_mul_i32 s2, s2, s17
	s_wait_alu 0xfffe
	v_lshl_add_u32 v63, v63, 1, s2
	s_delay_alu instid0(VALU_DEP_1) | instskip(NEXT) | instid1(VALU_DEP_1)
	v_ashrrev_i32_e32 v64, 31, v63
	v_lshlrev_b64_e32 v[63:64], 2, v[63:64]
	s_delay_alu instid0(VALU_DEP_1) | instskip(SKIP_1) | instid1(VALU_DEP_2)
	v_add_co_u32 v63, vcc_lo, s14, v63
	s_wait_alu 0xfffd
	v_add_co_ci_u32_e64 v64, null, s15, v64, vcc_lo
	global_load_b64 v[63:64], v[63:64], off
	s_wait_loadcnt 0x0
	v_cvt_f16_f32_e32 v60, v63
	v_cvt_f16_f32_e32 v63, v64
.LBB36_15:                              ;   in Loop: Header=BB36_6 Depth=1
	v_dual_mov_b32 v64, 0 :: v_dual_mov_b32 v65, 0
	s_and_not1_b32 vcc_lo, exec_lo, s8
	s_wait_alu 0xfffe
	s_cbranch_vccnz .LBB36_5
; %bb.16:                               ;   in Loop: Header=BB36_6 Depth=1
	s_load_b32 s2, s[30:31], 0xc
	v_dual_mov_b32 v65, 0 :: v_dual_mov_b32 v64, 0
	s_wait_kmcnt 0x0
	s_mul_u64 s[70:71], s[2:3], s[34:35]
	s_wait_alu 0xfffe
	s_add_co_i32 s70, s2, s71
	s_wait_alu 0xfffe
	s_lshr_b32 s70, s70, s9
	s_wait_alu 0xfffe
	s_cmp_ge_i32 s70, s5
	s_cbranch_scc1 .LBB36_5
; %bb.17:                               ;   in Loop: Header=BB36_6 Depth=1
	v_mad_co_u64_u32 v[64:65], null, s70, s20, v[48:49]
	s_mul_i32 s70, s70, s10
	s_wait_alu 0xfffe
	s_sub_co_i32 s2, s2, s70
	s_wait_alu 0xfffe
	s_mul_i32 s2, s2, s17
	s_wait_alu 0xfffe
	v_lshl_add_u32 v64, v64, 1, s2
	s_delay_alu instid0(VALU_DEP_1) | instskip(NEXT) | instid1(VALU_DEP_1)
	v_ashrrev_i32_e32 v65, 31, v64
	v_lshlrev_b64_e32 v[64:65], 2, v[64:65]
	s_delay_alu instid0(VALU_DEP_1) | instskip(SKIP_1) | instid1(VALU_DEP_2)
	v_add_co_u32 v64, vcc_lo, s14, v64
	s_wait_alu 0xfffd
	v_add_co_ci_u32_e64 v65, null, s15, v65, vcc_lo
	global_load_b64 v[64:65], v[64:65], off
	s_wait_loadcnt 0x0
	v_cvt_f16_f32_e32 v64, v64
	v_cvt_f16_f32_e32 v65, v65
	s_branch .LBB36_5
.LBB36_18:
	s_or_b32 exec_lo, exec_lo, s69
.LBB36_19:
	s_delay_alu instid0(SALU_CYCLE_1)
	s_or_b32 exec_lo, exec_lo, s37
	v_lshlrev_b32_e32 v16, 1, v51
	s_load_b64 s[2:3], s[0:1], 0x18
	v_lshl_add_u32 v17, v53, 2, 0
	v_mul_u32_u24_e32 v18, 0x210, v54
	s_cmp_gt_i32 s6, 0
	v_and_b32_e32 v16, 0x7e0, v16
	v_cmp_gt_u32_e64 s0, 4, v52
	s_cselect_b32 s1, -1, 0
	s_barrier_signal -1
	v_add3_u32 v17, v17, v18, v16
	v_add_nc_u32_e32 v16, s36, v52
	s_barrier_wait -1
	global_inv scope:SCOPE_SE
	ds_store_2addr_b32 v17, v8, v9 offset1:1
	ds_store_2addr_b32 v17, v10, v11 offset0:2 offset1:3
	ds_store_2addr_b32 v17, v12, v13 offset0:4 offset1:5
	;; [unrolled: 1-line block ×7, first 2 shown]
	v_cmp_gt_i32_e32 vcc_lo, s33, v16
	s_wait_loadcnt_dscnt 0x0
	s_barrier_signal -1
	s_barrier_wait -1
	global_inv scope:SCOPE_SE
	s_and_b32 s1, s1, vcc_lo
	s_delay_alu instid0(SALU_CYCLE_1) | instskip(NEXT) | instid1(SALU_CYCLE_1)
	s_and_b32 s0, s0, s1
	s_and_saveexec_b32 s1, s0
	s_cbranch_execz .LBB36_22
; %bb.20:
	v_ashrrev_i32_e32 v17, 31, v16
	s_lshl_b64 s[0:1], s[24:25], 2
	s_wait_kmcnt 0x0
	s_add_nc_u64 s[0:1], s[2:3], s[0:1]
	s_delay_alu instid0(VALU_DEP_1) | instskip(NEXT) | instid1(VALU_DEP_1)
	v_lshlrev_b64_e32 v[0:1], 2, v[16:17]
	v_add_co_u32 v0, vcc_lo, s0, v0
	s_wait_alu 0xfffd
	s_delay_alu instid0(VALU_DEP_2) | instskip(SKIP_3) | instid1(VALU_DEP_1)
	v_add_co_ci_u32_e64 v1, null, s1, v1, vcc_lo
	global_load_b32 v0, v[0:1], off
	s_wait_loadcnt 0x0
	v_mul_hi_u32 v1, v0, s11
	v_add_nc_u32_e32 v1, v0, v1
	s_delay_alu instid0(VALU_DEP_1) | instskip(NEXT) | instid1(VALU_DEP_1)
	v_lshrrev_b32_e32 v1, s22, v1
	v_cmp_gt_i32_e32 vcc_lo, s5, v1
	s_and_b32 exec_lo, exec_lo, vcc_lo
	s_cbranch_execz .LBB36_22
; %bb.21:
	v_mul_lo_u32 v6, v1, s23
	v_lshlrev_b32_e32 v2, 2, v51
	v_mul_u32_u24_e32 v3, 0x210, v52
	v_add_nc_u32_e32 v7, s19, v51
	s_delay_alu instid0(VALU_DEP_4) | instskip(SKIP_3) | instid1(VALU_DEP_4)
	v_sub_nc_u32_e32 v0, v0, v6
	v_mul_lo_u32 v6, v1, s21
	v_mov_b32_e32 v1, 0
	v_add3_u32 v4, 0, v2, v3
	v_mul_lo_u32 v0, v0, s18
	ds_load_2addr_b32 v[2:3], v4 offset1:32
	ds_load_2addr_b32 v[4:5], v4 offset0:64 offset1:96
	v_add3_u32 v0, v7, v6, v0
	s_delay_alu instid0(VALU_DEP_1) | instskip(NEXT) | instid1(VALU_DEP_1)
	v_lshlrev_b64_e32 v[0:1], 2, v[0:1]
	v_add_co_u32 v0, vcc_lo, s26, v0
	s_wait_alu 0xfffd
	s_delay_alu instid0(VALU_DEP_2) | instskip(SKIP_2) | instid1(VALU_DEP_1)
	v_add_co_ci_u32_e64 v1, null, s27, v1, vcc_lo
	s_wait_dscnt 0x1
	v_add_f32_e32 v2, 0, v2
	v_add_f32_e32 v2, v2, v3
	s_wait_dscnt 0x0
	s_delay_alu instid0(VALU_DEP_1) | instskip(NEXT) | instid1(VALU_DEP_1)
	v_add_f32_e32 v2, v2, v4
	v_add_f32_e32 v2, v2, v5
	global_store_b32 v[0:1], v2, off
.LBB36_22:
	s_endpgm
	.section	.rodata,"a",@progbits
	.p2align	6, 0x0
	.amdhsa_kernel _ZL13mul_mat_f_idsI7__half2Li32ELi4ELi4EEvPKT_PKfPKiS7_S7_Pfiiiiiiiiiiiiii15HIP_vector_typeIjLj3EESA_
		.amdhsa_group_segment_fixed_size 0
		.amdhsa_private_segment_fixed_size 0
		.amdhsa_kernarg_size 128
		.amdhsa_user_sgpr_count 2
		.amdhsa_user_sgpr_dispatch_ptr 0
		.amdhsa_user_sgpr_queue_ptr 0
		.amdhsa_user_sgpr_kernarg_segment_ptr 1
		.amdhsa_user_sgpr_dispatch_id 0
		.amdhsa_user_sgpr_private_segment_size 0
		.amdhsa_wavefront_size32 1
		.amdhsa_uses_dynamic_stack 0
		.amdhsa_enable_private_segment 0
		.amdhsa_system_sgpr_workgroup_id_x 1
		.amdhsa_system_sgpr_workgroup_id_y 1
		.amdhsa_system_sgpr_workgroup_id_z 1
		.amdhsa_system_sgpr_workgroup_info 0
		.amdhsa_system_vgpr_workitem_id 1
		.amdhsa_next_free_vgpr 74
		.amdhsa_next_free_sgpr 74
		.amdhsa_reserve_vcc 1
		.amdhsa_float_round_mode_32 0
		.amdhsa_float_round_mode_16_64 0
		.amdhsa_float_denorm_mode_32 3
		.amdhsa_float_denorm_mode_16_64 3
		.amdhsa_fp16_overflow 0
		.amdhsa_workgroup_processor_mode 1
		.amdhsa_memory_ordered 1
		.amdhsa_forward_progress 1
		.amdhsa_inst_pref_size 32
		.amdhsa_round_robin_scheduling 0
		.amdhsa_exception_fp_ieee_invalid_op 0
		.amdhsa_exception_fp_denorm_src 0
		.amdhsa_exception_fp_ieee_div_zero 0
		.amdhsa_exception_fp_ieee_overflow 0
		.amdhsa_exception_fp_ieee_underflow 0
		.amdhsa_exception_fp_ieee_inexact 0
		.amdhsa_exception_int_div_zero 0
	.end_amdhsa_kernel
	.section	.text._ZL13mul_mat_f_idsI7__half2Li32ELi4ELi4EEvPKT_PKfPKiS7_S7_Pfiiiiiiiiiiiiii15HIP_vector_typeIjLj3EESA_,"axG",@progbits,_ZL13mul_mat_f_idsI7__half2Li32ELi4ELi4EEvPKT_PKfPKiS7_S7_Pfiiiiiiiiiiiiii15HIP_vector_typeIjLj3EESA_,comdat
.Lfunc_end36:
	.size	_ZL13mul_mat_f_idsI7__half2Li32ELi4ELi4EEvPKT_PKfPKiS7_S7_Pfiiiiiiiiiiiiii15HIP_vector_typeIjLj3EESA_, .Lfunc_end36-_ZL13mul_mat_f_idsI7__half2Li32ELi4ELi4EEvPKT_PKfPKiS7_S7_Pfiiiiiiiiiiiiii15HIP_vector_typeIjLj3EESA_
                                        ; -- End function
	.set _ZL13mul_mat_f_idsI7__half2Li32ELi4ELi4EEvPKT_PKfPKiS7_S7_Pfiiiiiiiiiiiiii15HIP_vector_typeIjLj3EESA_.num_vgpr, 74
	.set _ZL13mul_mat_f_idsI7__half2Li32ELi4ELi4EEvPKT_PKfPKiS7_S7_Pfiiiiiiiiiiiiii15HIP_vector_typeIjLj3EESA_.num_agpr, 0
	.set _ZL13mul_mat_f_idsI7__half2Li32ELi4ELi4EEvPKT_PKfPKiS7_S7_Pfiiiiiiiiiiiiii15HIP_vector_typeIjLj3EESA_.numbered_sgpr, 74
	.set _ZL13mul_mat_f_idsI7__half2Li32ELi4ELi4EEvPKT_PKfPKiS7_S7_Pfiiiiiiiiiiiiii15HIP_vector_typeIjLj3EESA_.num_named_barrier, 0
	.set _ZL13mul_mat_f_idsI7__half2Li32ELi4ELi4EEvPKT_PKfPKiS7_S7_Pfiiiiiiiiiiiiii15HIP_vector_typeIjLj3EESA_.private_seg_size, 0
	.set _ZL13mul_mat_f_idsI7__half2Li32ELi4ELi4EEvPKT_PKfPKiS7_S7_Pfiiiiiiiiiiiiii15HIP_vector_typeIjLj3EESA_.uses_vcc, 1
	.set _ZL13mul_mat_f_idsI7__half2Li32ELi4ELi4EEvPKT_PKfPKiS7_S7_Pfiiiiiiiiiiiiii15HIP_vector_typeIjLj3EESA_.uses_flat_scratch, 0
	.set _ZL13mul_mat_f_idsI7__half2Li32ELi4ELi4EEvPKT_PKfPKiS7_S7_Pfiiiiiiiiiiiiii15HIP_vector_typeIjLj3EESA_.has_dyn_sized_stack, 0
	.set _ZL13mul_mat_f_idsI7__half2Li32ELi4ELi4EEvPKT_PKfPKiS7_S7_Pfiiiiiiiiiiiiii15HIP_vector_typeIjLj3EESA_.has_recursion, 0
	.set _ZL13mul_mat_f_idsI7__half2Li32ELi4ELi4EEvPKT_PKfPKiS7_S7_Pfiiiiiiiiiiiiii15HIP_vector_typeIjLj3EESA_.has_indirect_call, 0
	.section	.AMDGPU.csdata,"",@progbits
; Kernel info:
; codeLenInByte = 4040
; TotalNumSgprs: 76
; NumVgprs: 74
; ScratchSize: 0
; MemoryBound: 0
; FloatMode: 240
; IeeeMode: 1
; LDSByteSize: 0 bytes/workgroup (compile time only)
; SGPRBlocks: 0
; VGPRBlocks: 9
; NumSGPRsForWavesPerEU: 76
; NumVGPRsForWavesPerEU: 74
; Occupancy: 16
; WaveLimiterHint : 1
; COMPUTE_PGM_RSRC2:SCRATCH_EN: 0
; COMPUTE_PGM_RSRC2:USER_SGPR: 2
; COMPUTE_PGM_RSRC2:TRAP_HANDLER: 0
; COMPUTE_PGM_RSRC2:TGID_X_EN: 1
; COMPUTE_PGM_RSRC2:TGID_Y_EN: 1
; COMPUTE_PGM_RSRC2:TGID_Z_EN: 1
; COMPUTE_PGM_RSRC2:TIDIG_COMP_CNT: 1
	.section	.text._ZL9mul_mat_fI7__half2Li32ELi4ELi4ELb1EEvPKT_PKfPKiPfiiiiiiiiiiiiiiii,"axG",@progbits,_ZL9mul_mat_fI7__half2Li32ELi4ELi4ELb1EEvPKT_PKfPKiPfiiiiiiiiiiiiiiii,comdat
	.globl	_ZL9mul_mat_fI7__half2Li32ELi4ELi4ELb1EEvPKT_PKfPKiPfiiiiiiiiiiiiiiii ; -- Begin function _ZL9mul_mat_fI7__half2Li32ELi4ELi4ELb1EEvPKT_PKfPKiPfiiiiiiiiiiiiiiii
	.p2align	8
	.type	_ZL9mul_mat_fI7__half2Li32ELi4ELi4ELb1EEvPKT_PKfPKiPfiiiiiiiiiiiiiiii,@function
_ZL9mul_mat_fI7__half2Li32ELi4ELi4ELb1EEvPKT_PKfPKiPfiiiiiiiiiiiiiiii: ; @_ZL9mul_mat_fI7__half2Li32ELi4ELi4ELb1EEvPKT_PKfPKiPfiiiiiiiiiiiiiiii
; %bb.0:
	s_load_b256 s[4:11], s[0:1], 0x20
	v_bfe_u32 v55, v0, 10, 10
	s_mov_b32 s29, 0
	v_and_b32_e32 v48, 0x3ff, v0
	s_load_b96 s[20:22], s[0:1], 0x54
	s_delay_alu instid0(VALU_DEP_2) | instskip(SKIP_2) | instid1(SALU_CYCLE_1)
	v_mul_i32_i24_e32 v57, 0xfffff704, v55
	s_wait_kmcnt 0x0
	s_add_co_i32 s2, s5, 3
	s_ashr_i32 s3, s2, 31
	s_delay_alu instid0(SALU_CYCLE_1) | instskip(NEXT) | instid1(SALU_CYCLE_1)
	s_lshr_b32 s3, s3, 30
	s_add_co_i32 s2, s2, s3
	s_delay_alu instid0(SALU_CYCLE_1) | instskip(NEXT) | instid1(SALU_CYCLE_1)
	s_ashr_i32 s2, s2, 2
	s_cvt_f32_u32 s3, s2
	s_delay_alu instid0(SALU_CYCLE_3) | instskip(SKIP_1) | instid1(TRANS32_DEP_1)
	v_rcp_iflag_f32_e32 v1, s3
	s_load_b32 s3, s[0:1], 0x64
	v_readfirstlane_b32 s12, v1
	s_mul_f32 s12, s12, 0x4f7ffffe
	s_delay_alu instid0(SALU_CYCLE_3) | instskip(SKIP_1) | instid1(SALU_CYCLE_2)
	s_cvt_u32_f32 s16, s12
	s_sub_co_i32 s12, 0, s2
	s_mul_i32 s12, s12, s16
	s_delay_alu instid0(SALU_CYCLE_1) | instskip(SKIP_4) | instid1(SALU_CYCLE_1)
	s_mul_hi_u32 s17, s16, s12
	s_load_b128 s[12:15], s[0:1], 0x44
	s_add_co_i32 s16, s16, s17
	s_wait_kmcnt 0x0
	s_mul_hi_u32 s16, s3, s16
	s_mul_i32 s17, s16, s2
	s_delay_alu instid0(SALU_CYCLE_1)
	s_sub_co_i32 s3, s3, s17
	s_add_co_i32 s17, s16, 1
	s_wait_alu 0xfffe
	s_sub_co_i32 s18, s3, s2
	s_cmp_ge_u32 s3, s2
	s_cselect_b32 s16, s17, s16
	s_cselect_b32 s3, s18, s3
	s_add_co_i32 s17, s16, 1
	s_wait_alu 0xfffe
	s_cmp_ge_u32 s3, s2
	s_cselect_b32 s18, s17, s16
	s_mov_b32 s17, s29
	s_cvt_f32_u32 s2, s18
	s_abs_i32 s23, s15
	s_and_b32 s16, ttmp7, 0xffff
	s_cvt_f32_u32 s3, s23
	s_wait_alu 0xfffe
	v_rcp_iflag_f32_e32 v1, s2
	s_movk_i32 s2, 0x900
	s_lshr_b32 s24, ttmp7, 16
	v_rcp_iflag_f32_e32 v2, s3
	s_wait_alu 0xfffe
	v_mad_u32_u24 v56, v55, s2, 0x100
	s_delay_alu instid0(TRANS32_DEP_2) | instskip(NEXT) | instid1(TRANS32_DEP_1)
	v_readfirstlane_b32 s3, v1
	v_readfirstlane_b32 s19, v2
	s_mul_f32 s3, s3, 0x4f7ffffe
	s_wait_alu 0xfffe
	s_delay_alu instid0(SALU_CYCLE_2)
	s_cvt_u32_f32 s2, s3
	s_mul_f32 s3, s19, 0x4f7ffffe
	s_sub_co_i32 s19, 0, s18
	s_wait_alu 0xfffe
	s_mul_i32 s19, s19, s2
	s_cvt_u32_f32 s25, s3
	s_mul_hi_u32 s3, s2, s19
	s_sub_co_i32 s19, 0, s23
	s_wait_alu 0xfffe
	s_add_co_i32 s28, s2, s3
	s_mul_i32 s19, s19, s25
	s_mul_u64 s[2:3], s[16:17], s[28:29]
	s_mul_hi_u32 s2, s25, s19
	s_abs_i32 s28, s24
	s_wait_alu 0xfffe
	s_add_co_i32 s30, s25, s2
	s_mov_b32 s2, exec_lo
	v_cmpx_eq_u32_e32 0, v48
; %bb.1:
	v_dual_mov_b32 v2, -1 :: v_dual_add_nc_u32 v1, v56, v57
	ds_store_b32 v1, v2
; %bb.2:
	s_wait_alu 0xfffe
	s_or_b32 exec_lo, exec_lo, s2
	s_mul_i32 s2, s3, s18
	s_add_co_i32 s17, s3, 1
	s_wait_alu 0xfffe
	s_sub_co_i32 s2, s16, s2
	s_mov_b32 s31, s29
	s_wait_alu 0xfffe
	s_sub_co_i32 s19, s2, s18
	s_cmp_ge_u32 s2, s18
	v_mov_b32_e32 v3, 0
	s_cselect_b32 s3, s17, s3
	s_cselect_b32 s2, s19, s2
	s_wait_alu 0xfffe
	s_add_co_i32 s17, s3, 1
	s_cmp_ge_u32 s2, s18
	v_cmp_gt_i32_e64 s2, s6, v48
	s_cselect_b32 s3, s17, s3
	s_wait_alu 0xfffe
	s_lshl_b32 s26, s3, 2
	s_mul_i32 s3, s3, s18
	v_add_nc_u32_e32 v58, s26, v55
	s_wait_alu 0xfffe
	s_sub_co_i32 s33, s16, s3
	s_ashr_i32 s27, s26, 31
	s_delay_alu instid0(VALU_DEP_1)
	v_cmp_gt_i32_e32 vcc_lo, s5, v58
	s_and_b32 s2, vcc_lo, s2
	s_wait_alu 0xfffe
	s_and_saveexec_b32 s3, s2
	s_cbranch_execz .LBB37_8
; %bb.3:
	s_load_b64 s[16:17], s[0:1], 0x10
	v_mul_lo_u32 v2, s11, v55
	s_ashr_i32 s19, s11, 31
	s_mov_b32 s18, s11
	v_mul_lo_u32 v1, v48, s10
	s_mul_u64 s[18:19], s[26:27], s[18:19]
	v_mov_b32_e32 v7, v48
	s_lshl_b64 s[18:19], s[18:19], 2
	s_lshl_b32 s11, s10, 5
	v_ashrrev_i32_e32 v3, 31, v2
	s_mov_b32 s10, 0
	v_add_nc_u32_e32 v4, v56, v57
	s_delay_alu instid0(VALU_DEP_2)
	v_lshlrev_b64_e32 v[5:6], 2, v[2:3]
	v_mov_b32_e32 v3, 0
	s_wait_kmcnt 0x0
	s_add_nc_u64 s[16:17], s[16:17], s[18:19]
	s_delay_alu instid0(VALU_DEP_2) | instid1(SALU_CYCLE_1)
	v_add_co_u32 v5, vcc_lo, s16, v5
	s_delay_alu instid0(VALU_DEP_1)
	v_add_co_ci_u32_e64 v6, null, s17, v6, vcc_lo
	s_branch .LBB37_5
.LBB37_4:                               ;   in Loop: Header=BB37_5 Depth=1
	s_wait_alu 0xfffe
	s_or_b32 exec_lo, exec_lo, s16
	v_add_nc_u32_e32 v7, 32, v7
	s_xor_b32 s16, vcc_lo, -1
	v_add_nc_u32_e32 v1, s11, v1
	s_delay_alu instid0(VALU_DEP_2)
	v_cmp_le_i32_e64 s2, s6, v7
	s_wait_alu 0xfffe
	s_or_b32 s2, s16, s2
	s_wait_alu 0xfffe
	s_and_b32 s2, exec_lo, s2
	s_wait_alu 0xfffe
	s_or_b32 s10, s2, s10
	s_wait_alu 0xfffe
	s_and_not1_b32 exec_lo, exec_lo, s10
	s_cbranch_execz .LBB37_7
.LBB37_5:                               ; =>This Inner Loop Header: Depth=1
	v_ashrrev_i32_e32 v2, 31, v1
	s_mov_b32 s16, exec_lo
	s_delay_alu instid0(VALU_DEP_1) | instskip(NEXT) | instid1(VALU_DEP_1)
	v_lshlrev_b64_e32 v[8:9], 2, v[1:2]
	v_add_co_u32 v8, vcc_lo, v5, v8
	s_wait_alu 0xfffd
	s_delay_alu instid0(VALU_DEP_2)
	v_add_co_ci_u32_e64 v9, null, v6, v9, vcc_lo
	global_load_b32 v2, v[8:9], off
	s_wait_loadcnt 0x0
	v_cmp_ne_u32_e32 vcc_lo, s33, v2
	v_cmpx_eq_u32_e64 s33, v2
	s_cbranch_execz .LBB37_4
; %bb.6:                                ;   in Loop: Header=BB37_5 Depth=1
	v_mov_b32_e32 v3, 1
	ds_store_b32 v4, v7
	s_branch .LBB37_4
.LBB37_7:
	s_or_b32 exec_lo, exec_lo, s10
.LBB37_8:
	s_wait_alu 0xfffe
	s_or_b32 exec_lo, exec_lo, s3
	s_clause 0x1
	s_load_b128 s[16:19], s[0:1], 0x0
	s_load_b64 s[2:3], s[0:1], 0x18
	s_add_nc_u64 s[0:1], s[0:1], 0x60
	v_or_b32_dpp v1, v3, v3 row_shl:1 row_mask:0xf bank_mask:0xf bound_ctrl:1
	s_mul_u64 s[10:11], s[28:29], s[30:31]
	s_load_b64 s[30:31], s[0:1], 0xc
	s_ashr_i32 s6, s15, 31
	s_delay_alu instid0(VALU_DEP_1) | instskip(NEXT) | instid1(VALU_DEP_1)
	v_or_b32_dpp v1, v1, v1 row_shl:2 row_mask:0xf bank_mask:0xf bound_ctrl:1
	v_or_b32_dpp v1, v1, v1 row_shl:4 row_mask:0xf bank_mask:0xf bound_ctrl:1
	s_delay_alu instid0(VALU_DEP_1) | instskip(NEXT) | instid1(VALU_DEP_1)
	v_or_b32_dpp v1, v1, v1 row_shl:8 row_mask:0xf bank_mask:0xf bound_ctrl:1
	v_mov_b32_dpp v1, v1 row_share:0 row_mask:0xf bank_mask:0xf bound_ctrl:1
	s_wait_kmcnt 0x0
	s_lshr_b32 s1, s30, 16
	s_and_b32 s0, s30, 0xffff
	s_and_b32 s15, s31, 0xffff
	s_mul_i32 s10, s1, s0
	v_permlanex16_b32 v2, v1, 0, 0 op_sel:[0,1]
	s_wait_alu 0xfffe
	s_bfe_i32 s10, s10, 0x180000
	s_wait_alu 0xfffe
	s_mul_i32 s10, s10, s15
	s_wait_alu 0xfffe
	s_add_co_i32 s10, s10, 31
	v_or_b32_e32 v2, v2, v1
	s_wait_alu 0xfffe
	s_and_not1_b32 s10, s10, 31
	s_wait_alu 0xfffe
	s_cmp_lg_u32 s10, 32
	s_cbranch_scc0 .LBB37_17
; %bb.9:
	v_bfe_u32 v0, v0, 20, 10
	s_delay_alu instid0(VALU_DEP_1) | instskip(NEXT) | instid1(VALU_DEP_1)
	v_mad_u32_u24 v0, v0, s1, v55
	v_mad_co_u64_u32 v[0:1], null, v0, s0, v[48:49]
	v_mbcnt_lo_u32_b32 v1, -1, 0
	s_mov_b32 s0, exec_lo
	s_delay_alu instid0(VALU_DEP_2) | instskip(NEXT) | instid1(VALU_DEP_1)
	v_lshrrev_b32_e32 v3, 5, v0
	v_or_b32_e32 v3, v1, v3
	s_delay_alu instid0(VALU_DEP_1)
	v_cmpx_eq_u32_e32 0, v3
; %bb.10:
	v_mov_b32_e32 v3, 0
	ds_store_b32 v3, v2
; %bb.11:
	s_wait_alu 0xfffe
	s_or_b32 exec_lo, exec_lo, s0
	v_cmp_eq_u32_e32 vcc_lo, 0, v1
	v_cmp_lt_u32_e64 s0, 31, v0
	s_mov_b32 s1, 0
	s_wait_dscnt 0x0
	s_barrier_signal -1
	s_barrier_wait -1
	s_and_b32 s10, s0, vcc_lo
	global_inv scope:SCOPE_SE
	s_wait_alu 0xfffe
	s_and_saveexec_b32 s0, s10
	s_cbranch_execz .LBB37_16
; %bb.12:
	s_mov_b32 s10, exec_lo
.LBB37_13:                              ; =>This Inner Loop Header: Depth=1
	s_wait_alu 0xfffe
	s_ctz_i32_b32 s15, s10
	s_wait_alu 0xfffe
	v_readlane_b32 s25, v2, s15
	s_lshl_b32 s15, 1, s15
	s_wait_alu 0xfffe
	s_and_not1_b32 s10, s10, s15
	s_or_b32 s1, s1, s25
	s_wait_alu 0xfffe
	s_cmp_lg_u32 s10, 0
	s_cbranch_scc1 .LBB37_13
; %bb.14:
	v_mbcnt_lo_u32_b32 v0, exec_lo, 0
	s_mov_b32 s10, exec_lo
	s_delay_alu instid0(VALU_DEP_1)
	v_cmpx_eq_u32_e32 0, v0
	s_wait_alu 0xfffe
	s_xor_b32 s10, exec_lo, s10
; %bb.15:
	v_dual_mov_b32 v0, 0 :: v_dual_mov_b32 v1, s1
	ds_or_b32 v0, v1
.LBB37_16:
	s_wait_alu 0xfffe
	s_or_b32 exec_lo, exec_lo, s0
	v_mov_b32_e32 v0, 0
	s_wait_loadcnt_dscnt 0x0
	s_barrier_signal -1
	s_barrier_wait -1
	global_inv scope:SCOPE_SE
	ds_load_b32 v2, v0
	s_wait_loadcnt_dscnt 0x0
	s_barrier_signal -1
	s_barrier_wait -1
	global_inv scope:SCOPE_SE
.LBB37_17:
	s_mov_b32 s25, 0
	s_mov_b32 s0, exec_lo
	v_cmpx_ne_u32_e32 0, v2
	s_cbranch_execz .LBB37_44
; %bb.18:
	v_lshlrev_b32_e32 v59, 5, v55
	v_and_b32_e32 v60, 15, v48
	s_mov_b32 s0, exec_lo
	s_delay_alu instid0(VALU_DEP_2) | instskip(NEXT) | instid1(VALU_DEP_1)
	v_add_nc_u32_e32 v62, v59, v48
	v_cmpx_le_i32_e64 s4, v62
	s_wait_alu 0xfffe
	s_xor_b32 s0, exec_lo, s0
; %bb.19:
	v_and_b32_e32 v60, 15, v48
                                        ; implicit-def: $vgpr62
; %bb.20:
	s_wait_alu 0xfffe
	s_or_saveexec_b32 s15, s0
	v_mov_b32_e32 v15, 0
	v_lshlrev_b32_e32 v61, 1, v48
	s_lshl_b32 s1, ttmp9, 5
	s_delay_alu instid0(VALU_DEP_2)
	v_dual_mov_b32 v14, v15 :: v_dual_mov_b32 v13, v15
	v_dual_mov_b32 v12, v15 :: v_dual_mov_b32 v11, v15
	;; [unrolled: 1-line block ×7, first 2 shown]
	v_mov_b32_e32 v0, v15
	s_wait_alu 0xfffe
	s_xor_b32 exec_lo, exec_lo, s15
	s_cbranch_execz .LBB37_40
; %bb.21:
	s_mul_i32 s0, s11, s23
	s_add_co_i32 s29, s11, 1
	s_wait_alu 0xfffe
	s_sub_co_i32 s0, s28, s0
	s_mul_i32 s28, s33, s12
	s_wait_alu 0xfffe
	s_sub_co_i32 s30, s0, s23
	s_cmp_ge_u32 s0, s23
	s_mov_b32 s10, s20
	s_cselect_b32 s11, s29, s11
	s_cselect_b32 s0, s30, s0
	s_wait_alu 0xfffe
	s_add_co_i32 s12, s11, 1
	s_cmp_ge_u32 s0, s23
	s_mul_i32 s30, s7, s1
	s_cselect_b32 s0, s12, s11
	s_ashr_i32 s11, s20, 31
	s_wait_alu 0xfffe
	s_xor_b32 s0, s0, s6
	s_ashr_i32 s29, s28, 31
	s_wait_alu 0xfffe
	s_sub_co_i32 s38, s0, s6
	s_mov_b32 s34, s21
	s_ashr_i32 s39, s38, 31
	s_mov_b32 s36, s8
	s_mul_u64 s[10:11], s[38:39], s[10:11]
	s_ashr_i32 s35, s21, 31
	s_wait_alu 0xfffe
	s_lshl_b64 s[62:63], s[10:11], 2
	s_ashr_i32 s37, s8, 31
	s_ashr_i32 s31, s30, 31
	s_lshl_b64 s[60:61], s[28:29], 2
	s_add_nc_u64 s[20:21], s[16:17], s[62:63]
	s_mul_u64 s[10:11], s[36:37], s[26:27]
	s_mul_u64 s[28:29], s[34:35], s[24:25]
	s_add_nc_u64 s[20:21], s[20:21], s[60:61]
	s_lshl_b64 s[64:65], s[30:31], 2
	s_wait_alu 0xfffe
	s_lshl_b64 s[30:31], s[10:11], 3
	s_add_nc_u64 s[10:11], s[20:21], s[64:65]
	s_lshl_b64 s[20:21], s[28:29], 2
	s_cmp_lt_i32 s26, s5
	v_mul_u32_u24_e32 v0, 0x90, v60
	s_cselect_b32 s12, -1, 0
	s_or_b32 s0, s26, 1
	v_and_b32_e32 v1, 0x3f0, v48
	s_wait_alu 0xfffe
	s_cmp_lt_i32 s0, s5
	s_add_nc_u64 s[18:19], s[18:19], s[20:21]
	s_cselect_b32 s20, -1, 0
	s_or_b32 s0, s26, 2
	s_add_nc_u64 s[62:63], s[62:63], s[64:65]
	v_add3_u32 v64, v56, v0, v1
	v_dual_mov_b32 v65, 0 :: v_dual_lshlrev_b32 v0, 2, v62
	s_wait_alu 0xfffe
	s_cmp_lt_i32 s0, s5
	s_add_nc_u64 s[60:61], s[62:63], s[60:61]
	s_cselect_b32 s21, -1, 0
	s_or_b32 s0, s26, 3
	s_add_nc_u64 s[16:17], s[16:17], s[60:61]
	s_lshl_b32 s23, s8, 2
	s_wait_alu 0xfffe
	s_cmp_lt_i32 s0, s5
	v_add_co_u32 v50, s0, s16, v0
	v_lshl_add_u32 v63, v48, 2, v56
	v_lshl_add_u32 v49, v55, 6, v61
	s_wait_alu 0xf1ff
	v_add_co_ci_u32_e64 v51, null, s17, 0, s0
	v_dual_mov_b32 v66, 0x100 :: v_dual_mov_b32 v1, v65
	v_mov_b32_e32 v0, 0
	v_dual_mov_b32 v2, v65 :: v_dual_mov_b32 v3, v65
	v_dual_mov_b32 v4, v65 :: v_dual_mov_b32 v5, v65
	;; [unrolled: 1-line block ×7, first 2 shown]
	s_cselect_b32 s28, -1, 0
	s_ashr_i32 s67, s7, 31
	s_mov_b32 s66, s7
	s_add_nc_u64 s[18:19], s[18:19], s[30:31]
	s_add_co_i32 s29, s7, s7
	s_mul_i32 s30, s7, 3
	s_lshl_b32 s31, s7, 2
	s_mul_i32 s33, s7, 5
	s_mul_i32 s34, s7, 6
	;; [unrolled: 1-line block ×3, first 2 shown]
	s_lshl_b32 s36, s7, 3
	s_mul_i32 s37, s7, 9
	s_mul_i32 s38, s7, 10
	;; [unrolled: 1-line block ×7, first 2 shown]
	s_lshl_b32 s44, s7, 4
	s_mul_i32 s45, s7, 17
	s_mul_i32 s46, s7, 18
	s_mul_i32 s47, s7, 19
	s_mul_i32 s48, s7, 20
	s_mul_i32 s49, s7, 21
	s_mul_i32 s50, s7, 22
	s_mul_i32 s51, s7, 23
	s_mul_i32 s52, s7, 24
	s_mul_i32 s53, s7, 25
	s_mul_i32 s54, s7, 26
	s_mul_i32 s55, s7, 27
	s_mul_i32 s56, s7, 28
	s_mul_i32 s57, s7, 29
	s_mul_i32 s58, s7, 30
	s_mul_i32 s59, s7, 31
	s_lshl_b64 s[6:7], s[66:67], 2
	s_mul_i32 s16, s8, 6
	s_lshl_b32 s17, s8, 1
	s_mov_b32 s8, 0
	s_branch .LBB37_24
.LBB37_22:                              ;   in Loop: Header=BB37_24 Depth=1
	v_mul_lo_u32 v52, v52, s13
	s_delay_alu instid0(VALU_DEP_1) | instskip(NEXT) | instid1(VALU_DEP_1)
	v_add3_u32 v52, v52, s16, v49
	v_ashrrev_i32_e32 v53, 31, v52
	s_delay_alu instid0(VALU_DEP_1) | instskip(NEXT) | instid1(VALU_DEP_1)
	v_lshlrev_b64_e32 v[52:53], 2, v[52:53]
	v_add_co_u32 v52, vcc_lo, s18, v52
	s_wait_alu 0xfffd
	s_delay_alu instid0(VALU_DEP_2)
	v_add_co_ci_u32_e64 v53, null, s19, v53, vcc_lo
	global_load_b64 v[52:53], v[52:53], off
.LBB37_23:                              ;   in Loop: Header=BB37_24 Depth=1
	s_wait_loadcnt 0x0
	s_delay_alu instid0(VALU_DEP_1) | instskip(NEXT) | instid1(VALU_DEP_2)
	v_cvt_f16_f32_e32 v52, v52
	v_cvt_f16_f32_e32 v53, v53
	v_add_nc_u32_e32 v54, 0x400, v63
	v_add_nc_u32_e32 v67, 0x600, v63
	ds_store_2addr_b32 v63, v65, v65 offset0:196 offset1:232
	v_add_nc_u32_e32 v62, 0x80, v62
	v_pack_b32_f16 v52, v52, v53
	ds_store_2addr_b32 v54, v65, v65 offset0:12 offset1:48
	ds_store_2addr_b32 v54, v65, v65 offset0:84 offset1:120
	;; [unrolled: 1-line block ×5, first 2 shown]
	ds_store_b32 v63, v65 offset:2224
	ds_load_b128 v[67:70], v64 offset:64
	ds_load_b128 v[71:74], v64 offset:96
	;; [unrolled: 1-line block ×4, first 2 shown]
	v_add_co_u32 v50, s0, 0x200, v50
	v_cmp_le_i32_e32 vcc_lo, s4, v62
	v_add_nc_u32_e32 v49, 0x100, v49
	s_wait_alu 0xf1ff
	v_add_co_ci_u32_e64 v51, null, 0, v51, s0
	s_or_b32 s8, vcc_lo, s8
	s_wait_dscnt 0x3
	v_wmma_f32_16x16x16_f16 v[8:15], v[32:35], v[67:70], v[8:15]
	v_wmma_f32_16x16x16_f16 v[0:7], v[44:47], v[67:70], v[0:7]
	s_wait_dscnt 0x2
	s_delay_alu instid0(VALU_DEP_2) | instskip(NEXT) | instid1(VALU_DEP_2)
	v_wmma_f32_16x16x16_f16 v[8:15], v[28:31], v[71:74], v[8:15]
	v_wmma_f32_16x16x16_f16 v[0:7], v[40:43], v[71:74], v[0:7]
	s_wait_dscnt 0x1
	s_delay_alu instid0(VALU_DEP_2) | instskip(NEXT) | instid1(VALU_DEP_2)
	;; [unrolled: 4-line block ×3, first 2 shown]
	v_wmma_f32_16x16x16_f16 v[8:15], v[16:19], v[79:82], v[8:15]
	v_wmma_f32_16x16x16_f16 v[0:7], v[20:23], v[79:82], v[0:7]
	s_and_not1_b32 exec_lo, exec_lo, s8
	s_cbranch_execz .LBB37_39
.LBB37_24:                              ; =>This Inner Loop Header: Depth=1
	v_add_nc_u32_e32 v22, s31, v62
	v_add_nc_u32_e32 v16, s29, v62
	s_wait_alu 0xfffe
	v_add_co_u32 v20, vcc_lo, v50, s6
	v_add_nc_u32_e32 v18, s30, v62
	s_wait_alu 0xfffd
	v_add_co_ci_u32_e64 v21, null, s7, v51, vcc_lo
	v_ashrrev_i32_e32 v23, 31, v22
	v_ashrrev_i32_e32 v17, 31, v16
	v_add_nc_u32_e32 v24, s33, v62
	v_ashrrev_i32_e32 v19, 31, v18
	s_clause 0x1
	global_load_b32 v38, v[50:51], off
	global_load_b32 v39, v[20:21], off
	v_lshlrev_b64_e32 v[20:21], 2, v[22:23]
	v_add_nc_u32_e32 v22, s34, v62
	v_lshlrev_b64_e32 v[16:17], 2, v[16:17]
	v_add_nc_u32_e32 v26, s35, v62
	v_ashrrev_i32_e32 v25, 31, v24
	v_lshlrev_b64_e32 v[18:19], 2, v[18:19]
	v_add_nc_u32_e32 v28, s36, v62
	v_ashrrev_i32_e32 v23, 31, v22
	v_add_nc_u32_e32 v30, s37, v62
	v_ashrrev_i32_e32 v27, 31, v26
	v_add_co_u32 v16, vcc_lo, s10, v16
	v_lshlrev_b64_e32 v[24:25], 2, v[24:25]
	v_ashrrev_i32_e32 v29, 31, v28
	s_wait_alu 0xfffd
	v_add_co_ci_u32_e64 v17, null, s11, v17, vcc_lo
	v_add_co_u32 v18, vcc_lo, s10, v18
	v_lshlrev_b64_e32 v[22:23], 2, v[22:23]
	v_ashrrev_i32_e32 v31, 31, v30
	s_wait_alu 0xfffd
	v_add_co_ci_u32_e64 v19, null, s11, v19, vcc_lo
	v_add_co_u32 v20, vcc_lo, s10, v20
	v_lshlrev_b64_e32 v[26:27], 2, v[26:27]
	s_wait_alu 0xfffd
	v_add_co_ci_u32_e64 v21, null, s11, v21, vcc_lo
	v_add_co_u32 v24, vcc_lo, s10, v24
	v_lshlrev_b64_e32 v[28:29], 2, v[28:29]
	;; [unrolled: 4-line block ×3, first 2 shown]
	s_wait_alu 0xfffd
	v_add_co_ci_u32_e64 v23, null, s11, v23, vcc_lo
	v_add_co_u32 v26, vcc_lo, s10, v26
	v_add_nc_u32_e32 v32, s38, v62
	s_wait_alu 0xfffd
	v_add_co_ci_u32_e64 v27, null, s11, v27, vcc_lo
	v_add_co_u32 v28, vcc_lo, s10, v28
	v_add_nc_u32_e32 v34, s39, v62
	;; [unrolled: 4-line block ×3, first 2 shown]
	v_ashrrev_i32_e32 v33, 31, v32
	s_wait_alu 0xfffd
	v_add_co_ci_u32_e64 v31, null, s11, v31, vcc_lo
	s_clause 0x7
	global_load_b32 v40, v[16:17], off
	global_load_b32 v41, v[18:19], off
	;; [unrolled: 1-line block ×8, first 2 shown]
	v_add_nc_u32_e32 v18, s41, v62
	v_ashrrev_i32_e32 v35, 31, v34
	v_add_nc_u32_e32 v24, s42, v62
	v_ashrrev_i32_e32 v37, 31, v36
	v_lshlrev_b64_e32 v[32:33], 2, v[32:33]
	v_add_nc_u32_e32 v26, s43, v62
	v_ashrrev_i32_e32 v19, 31, v18
	v_lshlrev_b64_e32 v[16:17], 2, v[34:35]
	;; [unrolled: 3-line block ×3, first 2 shown]
	v_add_nc_u32_e32 v30, s45, v62
	v_ashrrev_i32_e32 v27, 31, v26
	v_add_co_u32 v20, vcc_lo, s10, v32
	v_lshlrev_b64_e32 v[18:19], 2, v[18:19]
	v_ashrrev_i32_e32 v29, 31, v28
	s_wait_alu 0xfffd
	v_add_co_ci_u32_e64 v21, null, s11, v33, vcc_lo
	v_add_co_u32 v16, vcc_lo, s10, v16
	v_lshlrev_b64_e32 v[24:25], 2, v[24:25]
	v_ashrrev_i32_e32 v31, 31, v30
	s_wait_alu 0xfffd
	v_add_co_ci_u32_e64 v17, null, s11, v17, vcc_lo
	v_add_co_u32 v22, vcc_lo, s10, v22
	v_lshlrev_b64_e32 v[26:27], 2, v[26:27]
	s_wait_alu 0xfffd
	v_add_co_ci_u32_e64 v23, null, s11, v23, vcc_lo
	v_add_co_u32 v18, vcc_lo, s10, v18
	v_lshlrev_b64_e32 v[28:29], 2, v[28:29]
	;; [unrolled: 4-line block ×3, first 2 shown]
	s_wait_alu 0xfffd
	v_add_co_ci_u32_e64 v25, null, s11, v25, vcc_lo
	v_add_co_u32 v26, vcc_lo, s10, v26
	v_add_nc_u32_e32 v32, s46, v62
	s_wait_alu 0xfffd
	v_add_co_ci_u32_e64 v27, null, s11, v27, vcc_lo
	v_add_co_u32 v28, vcc_lo, s10, v28
	v_add_nc_u32_e32 v34, s47, v62
	;; [unrolled: 4-line block ×3, first 2 shown]
	v_ashrrev_i32_e32 v33, 31, v32
	s_wait_alu 0xfffd
	v_add_co_ci_u32_e64 v31, null, s11, v31, vcc_lo
	s_clause 0x7
	global_load_b32 v52, v[20:21], off
	global_load_b32 v53, v[16:17], off
	;; [unrolled: 1-line block ×8, first 2 shown]
	v_add_nc_u32_e32 v18, s49, v62
	v_ashrrev_i32_e32 v35, 31, v34
	v_add_nc_u32_e32 v24, s50, v62
	v_ashrrev_i32_e32 v37, 31, v36
	v_lshlrev_b64_e32 v[32:33], 2, v[32:33]
	v_add_nc_u32_e32 v26, s51, v62
	v_ashrrev_i32_e32 v19, 31, v18
	v_lshlrev_b64_e32 v[16:17], 2, v[34:35]
	;; [unrolled: 3-line block ×3, first 2 shown]
	v_add_nc_u32_e32 v30, s53, v62
	v_ashrrev_i32_e32 v27, 31, v26
	v_add_co_u32 v20, vcc_lo, s10, v32
	v_lshlrev_b64_e32 v[18:19], 2, v[18:19]
	v_ashrrev_i32_e32 v29, 31, v28
	s_wait_alu 0xfffd
	v_add_co_ci_u32_e64 v21, null, s11, v33, vcc_lo
	v_add_co_u32 v16, vcc_lo, s10, v16
	v_lshlrev_b64_e32 v[24:25], 2, v[24:25]
	v_ashrrev_i32_e32 v31, 31, v30
	s_wait_alu 0xfffd
	v_add_co_ci_u32_e64 v17, null, s11, v17, vcc_lo
	v_add_co_u32 v22, vcc_lo, s10, v22
	v_lshlrev_b64_e32 v[26:27], 2, v[26:27]
	s_wait_alu 0xfffd
	v_add_co_ci_u32_e64 v23, null, s11, v23, vcc_lo
	v_add_co_u32 v18, vcc_lo, s10, v18
	v_lshlrev_b64_e32 v[28:29], 2, v[28:29]
	;; [unrolled: 4-line block ×3, first 2 shown]
	s_wait_alu 0xfffd
	v_add_co_ci_u32_e64 v25, null, s11, v25, vcc_lo
	v_add_co_u32 v26, vcc_lo, s10, v26
	v_add_nc_u32_e32 v32, s54, v62
	s_wait_alu 0xfffd
	v_add_co_ci_u32_e64 v27, null, s11, v27, vcc_lo
	v_add_co_u32 v28, vcc_lo, s10, v28
	v_add_nc_u32_e32 v34, s55, v62
	s_wait_alu 0xfffd
	v_add_co_ci_u32_e64 v29, null, s11, v29, vcc_lo
	v_add_co_u32 v30, vcc_lo, s10, v30
	v_add_nc_u32_e32 v36, s56, v62
	v_ashrrev_i32_e32 v33, 31, v32
	s_wait_alu 0xfffd
	v_add_co_ci_u32_e64 v31, null, s11, v31, vcc_lo
	s_clause 0x7
	global_load_b32 v72, v[20:21], off
	global_load_b32 v73, v[16:17], off
	global_load_b32 v74, v[22:23], off
	global_load_b32 v75, v[18:19], off
	global_load_b32 v76, v[24:25], off
	global_load_b32 v77, v[26:27], off
	global_load_b32 v78, v[28:29], off
	global_load_b32 v79, v[30:31], off
	v_add_nc_u32_e32 v18, s57, v62
	v_ashrrev_i32_e32 v35, 31, v34
	v_add_nc_u32_e32 v24, s58, v62
	v_ashrrev_i32_e32 v37, 31, v36
	v_lshlrev_b64_e32 v[32:33], 2, v[32:33]
	v_add_nc_u32_e32 v26, s59, v62
	v_ashrrev_i32_e32 v19, 31, v18
	v_lshlrev_b64_e32 v[16:17], 2, v[34:35]
	v_ashrrev_i32_e32 v25, 31, v24
	v_lshlrev_b64_e32 v[22:23], 2, v[36:37]
	v_ashrrev_i32_e32 v27, 31, v26
	v_add_co_u32 v20, vcc_lo, s10, v32
	v_lshlrev_b64_e32 v[18:19], 2, v[18:19]
	s_wait_alu 0xfffd
	v_add_co_ci_u32_e64 v21, null, s11, v33, vcc_lo
	v_add_co_u32 v16, vcc_lo, s10, v16
	v_lshlrev_b64_e32 v[24:25], 2, v[24:25]
	s_wait_alu 0xfffd
	v_add_co_ci_u32_e64 v17, null, s11, v17, vcc_lo
	;; [unrolled: 4-line block ×3, first 2 shown]
	v_add_co_u32 v18, vcc_lo, s10, v18
	s_wait_alu 0xfffd
	v_add_co_ci_u32_e64 v19, null, s11, v19, vcc_lo
	v_add_co_u32 v24, vcc_lo, s10, v24
	s_wait_alu 0xfffd
	v_add_co_ci_u32_e64 v25, null, s11, v25, vcc_lo
	;; [unrolled: 3-line block ×3, first 2 shown]
	s_clause 0x5
	global_load_b32 v20, v[20:21], off
	global_load_b32 v21, v[16:17], off
	;; [unrolled: 1-line block ×6, first 2 shown]
	s_and_not1_b32 vcc_lo, exec_lo, s12
	s_wait_loadcnt 0x1f
	ds_store_b32 v63, v38 offset:64
	s_wait_loadcnt 0x1e
	ds_store_b32 v63, v39 offset:208
	;; [unrolled: 2-line block ×16, first 2 shown]
	ds_load_b128 v[32:35], v64 offset:64
	ds_load_b128 v[28:31], v64 offset:96
	;; [unrolled: 1-line block ×4, first 2 shown]
	s_wait_loadcnt 0xf
	ds_store_b32 v63, v70 offset:64
	s_wait_loadcnt 0xe
	ds_store_b32 v63, v71 offset:208
	;; [unrolled: 2-line block ×16, first 2 shown]
	ds_load_b128 v[44:47], v64 offset:64
	ds_load_b128 v[40:43], v64 offset:96
	;; [unrolled: 1-line block ×4, first 2 shown]
	v_dual_mov_b32 v52, 0 :: v_dual_mov_b32 v53, 0
	s_wait_alu 0xfffe
	s_cbranch_vccnz .LBB37_28
; %bb.25:                               ;   in Loop: Header=BB37_24 Depth=1
	ds_load_b32 v52, v66
	s_wait_dscnt 0x0
	v_cmp_gt_i32_e32 vcc_lo, 0, v52
	s_cbranch_vccnz .LBB37_27
; %bb.26:                               ;   in Loop: Header=BB37_24 Depth=1
	v_mad_co_u64_u32 v[52:53], null, v52, s13, v[49:50]
	s_delay_alu instid0(VALU_DEP_1) | instskip(NEXT) | instid1(VALU_DEP_1)
	v_ashrrev_i32_e32 v53, 31, v52
	v_lshlrev_b64_e32 v[52:53], 2, v[52:53]
	s_delay_alu instid0(VALU_DEP_1) | instskip(SKIP_1) | instid1(VALU_DEP_2)
	v_add_co_u32 v52, vcc_lo, s18, v52
	s_wait_alu 0xfffd
	v_add_co_ci_u32_e64 v53, null, s19, v53, vcc_lo
	global_load_b64 v[52:53], v[52:53], off
	s_branch .LBB37_28
.LBB37_27:                              ;   in Loop: Header=BB37_24 Depth=1
	v_dual_mov_b32 v52, 0 :: v_dual_mov_b32 v53, 0
.LBB37_28:                              ;   in Loop: Header=BB37_24 Depth=1
	s_wait_loadcnt 0x0
	s_delay_alu instid0(VALU_DEP_1) | instskip(NEXT) | instid1(VALU_DEP_2)
	v_cvt_f16_f32_e32 v52, v52
	v_cvt_f16_f32_e32 v53, v53
	v_mov_b32_e32 v54, 0
	s_and_not1_b32 vcc_lo, exec_lo, s20
	s_delay_alu instid0(VALU_DEP_2)
	v_pack_b32_f16 v67, v52, v53
	v_dual_mov_b32 v52, 0 :: v_dual_mov_b32 v53, 0
	ds_store_b32 v63, v67 offset:64
	s_wait_alu 0xfffe
	s_cbranch_vccnz .LBB37_32
; %bb.29:                               ;   in Loop: Header=BB37_24 Depth=1
	ds_load_b32 v53, v66 offset:4
	s_wait_dscnt 0x0
	v_cmp_gt_i32_e32 vcc_lo, 0, v53
	s_cbranch_vccnz .LBB37_31
; %bb.30:                               ;   in Loop: Header=BB37_24 Depth=1
	v_mul_lo_u32 v53, v53, s13
	s_delay_alu instid0(VALU_DEP_1) | instskip(NEXT) | instid1(VALU_DEP_1)
	v_add3_u32 v53, v53, s17, v49
	v_ashrrev_i32_e32 v54, 31, v53
	s_delay_alu instid0(VALU_DEP_1) | instskip(NEXT) | instid1(VALU_DEP_1)
	v_lshlrev_b64_e32 v[53:54], 2, v[53:54]
	v_add_co_u32 v53, vcc_lo, s18, v53
	s_wait_alu 0xfffd
	s_delay_alu instid0(VALU_DEP_2)
	v_add_co_ci_u32_e64 v54, null, s19, v54, vcc_lo
	global_load_b64 v[53:54], v[53:54], off
	s_branch .LBB37_32
.LBB37_31:                              ;   in Loop: Header=BB37_24 Depth=1
	v_dual_mov_b32 v53, 0 :: v_dual_mov_b32 v54, 0
.LBB37_32:                              ;   in Loop: Header=BB37_24 Depth=1
	s_wait_loadcnt 0x0
	s_delay_alu instid0(VALU_DEP_1) | instskip(NEXT) | instid1(VALU_DEP_2)
	v_cvt_f16_f32_e32 v53, v53
	v_cvt_f16_f32_e32 v54, v54
	s_and_not1_b32 vcc_lo, exec_lo, s21
	s_delay_alu instid0(VALU_DEP_1)
	v_pack_b32_f16 v54, v53, v54
	v_mov_b32_e32 v53, 0
	ds_store_b32 v63, v54 offset:208
	s_wait_alu 0xfffe
	s_cbranch_vccnz .LBB37_36
; %bb.33:                               ;   in Loop: Header=BB37_24 Depth=1
	ds_load_b32 v52, v66 offset:8
	s_wait_dscnt 0x0
	v_cmp_gt_i32_e32 vcc_lo, 0, v52
	s_cbranch_vccnz .LBB37_35
; %bb.34:                               ;   in Loop: Header=BB37_24 Depth=1
	v_mul_lo_u32 v52, v52, s13
	s_delay_alu instid0(VALU_DEP_1) | instskip(NEXT) | instid1(VALU_DEP_1)
	v_add3_u32 v52, v52, s23, v49
	v_ashrrev_i32_e32 v53, 31, v52
	s_delay_alu instid0(VALU_DEP_1) | instskip(NEXT) | instid1(VALU_DEP_1)
	v_lshlrev_b64_e32 v[52:53], 2, v[52:53]
	v_add_co_u32 v52, vcc_lo, s18, v52
	s_wait_alu 0xfffd
	s_delay_alu instid0(VALU_DEP_2)
	v_add_co_ci_u32_e64 v53, null, s19, v53, vcc_lo
	global_load_b64 v[52:53], v[52:53], off
	s_branch .LBB37_36
.LBB37_35:                              ;   in Loop: Header=BB37_24 Depth=1
	v_dual_mov_b32 v52, 0 :: v_dual_mov_b32 v53, 0
.LBB37_36:                              ;   in Loop: Header=BB37_24 Depth=1
	s_wait_loadcnt 0x0
	s_delay_alu instid0(VALU_DEP_1) | instskip(NEXT) | instid1(VALU_DEP_2)
	v_cvt_f16_f32_e32 v52, v52
	v_cvt_f16_f32_e32 v53, v53
	s_and_not1_b32 vcc_lo, exec_lo, s28
	s_delay_alu instid0(VALU_DEP_1)
	v_pack_b32_f16 v54, v52, v53
	v_dual_mov_b32 v52, 0 :: v_dual_mov_b32 v53, 0
	ds_store_b32 v63, v54 offset:352
	s_wait_alu 0xfffe
	s_cbranch_vccnz .LBB37_23
; %bb.37:                               ;   in Loop: Header=BB37_24 Depth=1
	ds_load_b32 v52, v66 offset:12
	s_wait_dscnt 0x0
	v_cmp_gt_i32_e32 vcc_lo, 0, v52
	s_cbranch_vccz .LBB37_22
; %bb.38:                               ;   in Loop: Header=BB37_24 Depth=1
	v_dual_mov_b32 v52, 0 :: v_dual_mov_b32 v53, 0
	s_branch .LBB37_23
.LBB37_39:
	s_or_b32 exec_lo, exec_lo, s8
.LBB37_40:
	s_delay_alu instid0(SALU_CYCLE_1)
	s_or_b32 exec_lo, exec_lo, s15
	v_lshl_add_u32 v16, v59, 2, 0x100
	v_mul_u32_u24_e32 v17, 0x210, v60
	v_and_b32_e32 v18, 0x7e0, v61
	s_wait_loadcnt_dscnt 0x0
	s_barrier_signal -1
	s_barrier_wait -1
	global_inv scope:SCOPE_SE
	v_add3_u32 v16, v16, v17, v18
	s_mov_b32 s0, exec_lo
	ds_store_2addr_b32 v16, v8, v9 offset0:16 offset1:17
	ds_store_2addr_b32 v16, v10, v11 offset0:18 offset1:19
	;; [unrolled: 1-line block ×4, first 2 shown]
	v_lshlrev_b32_e32 v8, 2, v48
	v_mul_u32_u24_e32 v9, 0x210, v55
	ds_store_2addr_b32 v16, v0, v1 offset0:32 offset1:33
	ds_store_2addr_b32 v16, v2, v3 offset0:34 offset1:35
	;; [unrolled: 1-line block ×4, first 2 shown]
	s_wait_loadcnt_dscnt 0x0
	s_barrier_signal -1
	s_barrier_wait -1
	v_add3_u32 v0, 0x100, v8, v9
	global_inv scope:SCOPE_SE
	ds_load_2addr_b32 v[2:3], v0 offset0:16 offset1:48
	ds_load_2addr_b32 v[0:1], v0 offset0:80 offset1:112
	v_mov_b32_e32 v4, -1
	v_cmpx_gt_u32_e32 4, v55
; %bb.41:
	v_add_nc_u32_e32 v4, v56, v57
	ds_load_b32 v4, v4
; %bb.42:
	s_wait_alu 0xfffe
	s_or_b32 exec_lo, exec_lo, s0
	v_cmp_gt_i32_e32 vcc_lo, s5, v58
	s_wait_dscnt 0x0
	v_cmp_lt_i32_e64 s0, -1, v4
	s_and_b32 s0, s0, vcc_lo
	s_wait_alu 0xfffe
	s_and_b32 exec_lo, exec_lo, s0
	s_cbranch_execz .LBB37_44
; %bb.43:
	v_mul_lo_u32 v5, s9, v55
	v_mul_lo_u32 v4, v4, s14
	v_add_f32_e32 v2, 0, v2
	v_add_nc_u32_e32 v6, s1, v48
	s_ashr_i32 s1, s22, 31
	s_mov_b32 s0, s22
	s_ashr_i32 s5, s9, 31
	v_add_f32_e32 v7, v2, v3
	v_mov_b32_e32 v3, 0
	v_add3_u32 v2, v6, v5, v4
	s_wait_alu 0xfffe
	s_mul_u64 s[0:1], s[0:1], s[24:25]
	s_mov_b32 s4, s9
	s_wait_alu 0xfffe
	s_lshl_b64 s[0:1], s[0:1], 2
	s_mul_u64 s[4:5], s[26:27], s[4:5]
	v_lshlrev_b64_e32 v[2:3], 2, v[2:3]
	v_add_f32_e32 v0, v7, v0
	s_wait_alu 0xfffe
	s_add_nc_u64 s[0:1], s[2:3], s[0:1]
	s_lshl_b64 s[2:3], s[4:5], 2
	s_wait_alu 0xfffe
	s_add_nc_u64 s[0:1], s[0:1], s[2:3]
	v_add_f32_e32 v4, v0, v1
	s_wait_alu 0xfffe
	v_add_co_u32 v0, vcc_lo, s0, v2
	s_wait_alu 0xfffd
	v_add_co_ci_u32_e64 v1, null, s1, v3, vcc_lo
	global_store_b32 v[0:1], v4, off
.LBB37_44:
	s_endpgm
	.section	.rodata,"a",@progbits
	.p2align	6, 0x0
	.amdhsa_kernel _ZL9mul_mat_fI7__half2Li32ELi4ELi4ELb1EEvPKT_PKfPKiPfiiiiiiiiiiiiiiii
		.amdhsa_group_segment_fixed_size 256
		.amdhsa_private_segment_fixed_size 0
		.amdhsa_kernarg_size 352
		.amdhsa_user_sgpr_count 2
		.amdhsa_user_sgpr_dispatch_ptr 0
		.amdhsa_user_sgpr_queue_ptr 0
		.amdhsa_user_sgpr_kernarg_segment_ptr 1
		.amdhsa_user_sgpr_dispatch_id 0
		.amdhsa_user_sgpr_private_segment_size 0
		.amdhsa_wavefront_size32 1
		.amdhsa_uses_dynamic_stack 0
		.amdhsa_enable_private_segment 0
		.amdhsa_system_sgpr_workgroup_id_x 1
		.amdhsa_system_sgpr_workgroup_id_y 1
		.amdhsa_system_sgpr_workgroup_id_z 1
		.amdhsa_system_sgpr_workgroup_info 0
		.amdhsa_system_vgpr_workitem_id 2
		.amdhsa_next_free_vgpr 83
		.amdhsa_next_free_sgpr 68
		.amdhsa_reserve_vcc 1
		.amdhsa_float_round_mode_32 0
		.amdhsa_float_round_mode_16_64 0
		.amdhsa_float_denorm_mode_32 3
		.amdhsa_float_denorm_mode_16_64 3
		.amdhsa_fp16_overflow 0
		.amdhsa_workgroup_processor_mode 1
		.amdhsa_memory_ordered 1
		.amdhsa_forward_progress 1
		.amdhsa_inst_pref_size 40
		.amdhsa_round_robin_scheduling 0
		.amdhsa_exception_fp_ieee_invalid_op 0
		.amdhsa_exception_fp_denorm_src 0
		.amdhsa_exception_fp_ieee_div_zero 0
		.amdhsa_exception_fp_ieee_overflow 0
		.amdhsa_exception_fp_ieee_underflow 0
		.amdhsa_exception_fp_ieee_inexact 0
		.amdhsa_exception_int_div_zero 0
	.end_amdhsa_kernel
	.section	.text._ZL9mul_mat_fI7__half2Li32ELi4ELi4ELb1EEvPKT_PKfPKiPfiiiiiiiiiiiiiiii,"axG",@progbits,_ZL9mul_mat_fI7__half2Li32ELi4ELi4ELb1EEvPKT_PKfPKiPfiiiiiiiiiiiiiiii,comdat
.Lfunc_end37:
	.size	_ZL9mul_mat_fI7__half2Li32ELi4ELi4ELb1EEvPKT_PKfPKiPfiiiiiiiiiiiiiiii, .Lfunc_end37-_ZL9mul_mat_fI7__half2Li32ELi4ELi4ELb1EEvPKT_PKfPKiPfiiiiiiiiiiiiiiii
                                        ; -- End function
	.set _ZL9mul_mat_fI7__half2Li32ELi4ELi4ELb1EEvPKT_PKfPKiPfiiiiiiiiiiiiiiii.num_vgpr, 83
	.set _ZL9mul_mat_fI7__half2Li32ELi4ELi4ELb1EEvPKT_PKfPKiPfiiiiiiiiiiiiiiii.num_agpr, 0
	.set _ZL9mul_mat_fI7__half2Li32ELi4ELi4ELb1EEvPKT_PKfPKiPfiiiiiiiiiiiiiiii.numbered_sgpr, 68
	.set _ZL9mul_mat_fI7__half2Li32ELi4ELi4ELb1EEvPKT_PKfPKiPfiiiiiiiiiiiiiiii.num_named_barrier, 0
	.set _ZL9mul_mat_fI7__half2Li32ELi4ELi4ELb1EEvPKT_PKfPKiPfiiiiiiiiiiiiiiii.private_seg_size, 0
	.set _ZL9mul_mat_fI7__half2Li32ELi4ELi4ELb1EEvPKT_PKfPKiPfiiiiiiiiiiiiiiii.uses_vcc, 1
	.set _ZL9mul_mat_fI7__half2Li32ELi4ELi4ELb1EEvPKT_PKfPKiPfiiiiiiiiiiiiiiii.uses_flat_scratch, 0
	.set _ZL9mul_mat_fI7__half2Li32ELi4ELi4ELb1EEvPKT_PKfPKiPfiiiiiiiiiiiiiiii.has_dyn_sized_stack, 0
	.set _ZL9mul_mat_fI7__half2Li32ELi4ELi4ELb1EEvPKT_PKfPKiPfiiiiiiiiiiiiiiii.has_recursion, 0
	.set _ZL9mul_mat_fI7__half2Li32ELi4ELi4ELb1EEvPKT_PKfPKiPfiiiiiiiiiiiiiiii.has_indirect_call, 0
	.section	.AMDGPU.csdata,"",@progbits
; Kernel info:
; codeLenInByte = 5056
; TotalNumSgprs: 70
; NumVgprs: 83
; ScratchSize: 0
; MemoryBound: 0
; FloatMode: 240
; IeeeMode: 1
; LDSByteSize: 256 bytes/workgroup (compile time only)
; SGPRBlocks: 0
; VGPRBlocks: 10
; NumSGPRsForWavesPerEU: 70
; NumVGPRsForWavesPerEU: 83
; Occupancy: 16
; WaveLimiterHint : 0
; COMPUTE_PGM_RSRC2:SCRATCH_EN: 0
; COMPUTE_PGM_RSRC2:USER_SGPR: 2
; COMPUTE_PGM_RSRC2:TRAP_HANDLER: 0
; COMPUTE_PGM_RSRC2:TGID_X_EN: 1
; COMPUTE_PGM_RSRC2:TGID_Y_EN: 1
; COMPUTE_PGM_RSRC2:TGID_Z_EN: 1
; COMPUTE_PGM_RSRC2:TIDIG_COMP_CNT: 2
	.section	.text._ZL9mul_mat_fI7__half2Li32ELi4ELi4ELb0EEvPKT_PKfPKiPfiiiiiiiiiiiiiiii,"axG",@progbits,_ZL9mul_mat_fI7__half2Li32ELi4ELi4ELb0EEvPKT_PKfPKiPfiiiiiiiiiiiiiiii,comdat
	.globl	_ZL9mul_mat_fI7__half2Li32ELi4ELi4ELb0EEvPKT_PKfPKiPfiiiiiiiiiiiiiiii ; -- Begin function _ZL9mul_mat_fI7__half2Li32ELi4ELi4ELb0EEvPKT_PKfPKiPfiiiiiiiiiiiiiiii
	.p2align	8
	.type	_ZL9mul_mat_fI7__half2Li32ELi4ELi4ELb0EEvPKT_PKfPKiPfiiiiiiiiiiiiiiii,@function
_ZL9mul_mat_fI7__half2Li32ELi4ELi4ELb0EEvPKT_PKfPKiPfiiiiiiiiiiiiiiii: ; @_ZL9mul_mat_fI7__half2Li32ELi4ELi4ELb0EEvPKT_PKfPKiPfiiiiiiiiiiiiiiii
; %bb.0:
	s_clause 0x1
	s_load_b256 s[4:11], s[0:1], 0x40
	s_load_b32 s21, s[0:1], 0x20
	v_bfe_u32 v37, v0, 10, 10
	v_and_b32_e32 v36, 0x3ff, v0
	s_mov_b32 s15, exec_lo
	s_delay_alu instid0(VALU_DEP_2) | instskip(NEXT) | instid1(VALU_DEP_2)
	v_lshlrev_b32_e32 v38, 5, v37
	v_and_b32_e32 v39, 15, v36
	s_delay_alu instid0(VALU_DEP_2)
	v_add_nc_u32_e32 v41, v38, v36
	s_wait_kmcnt 0x0
	s_abs_i32 s12, s4
	s_abs_i32 s23, s8
	s_cvt_f32_u32 s2, s12
	s_cvt_f32_u32 s3, s23
	s_delay_alu instid0(SALU_CYCLE_2) | instskip(NEXT) | instid1(SALU_CYCLE_2)
	v_rcp_iflag_f32_e32 v0, s2
	v_rcp_iflag_f32_e32 v1, s3
	s_mov_b32 s3, 0
	s_lshr_b32 s2, ttmp7, 16
	s_delay_alu instid0(TRANS32_DEP_2) | instskip(NEXT) | instid1(TRANS32_DEP_1)
	v_readfirstlane_b32 s13, v0
	v_readfirstlane_b32 s14, v1
	v_cmpx_le_i32_e64 s21, v41
	s_xor_b32 s15, exec_lo, s15
; %bb.1:
	v_and_b32_e32 v39, 15, v36
                                        ; implicit-def: $vgpr41
; %bb.2:
	s_or_saveexec_b32 s22, s15
	s_load_b96 s[16:18], s[0:1], 0x2c
	v_dual_mov_b32 v15, 0 :: v_dual_lshlrev_b32 v40, 2, v36
	s_and_b32 s19, ttmp7, 0xffff
	s_lshl_b32 s20, ttmp9, 5
	s_delay_alu instid0(VALU_DEP_1)
	v_dual_mov_b32 v14, v15 :: v_dual_mov_b32 v13, v15
	v_dual_mov_b32 v12, v15 :: v_dual_mov_b32 v11, v15
	;; [unrolled: 1-line block ×7, first 2 shown]
	v_mov_b32_e32 v0, v15
	s_xor_b32 exec_lo, exec_lo, s22
	s_cbranch_execz .LBB38_6
; %bb.3:
	s_mul_f32 s13, s13, 0x4f7ffffe
	s_mul_f32 s14, s14, 0x4f7ffffe
	s_sub_co_i32 s24, 0, s12
	s_sub_co_i32 s25, 0, s23
	s_cvt_u32_f32 s13, s13
	s_cvt_u32_f32 s27, s14
	s_abs_i32 s14, s19
	s_mov_b32 s15, s3
	s_mul_i32 s24, s24, s13
	s_mul_i32 s25, s25, s27
	s_mul_hi_u32 s24, s13, s24
	s_mul_hi_u32 s28, s27, s25
	s_add_co_i32 s24, s13, s24
	s_mov_b32 s25, s3
	s_abs_i32 s26, s2
	s_mul_u64 s[24:25], s[14:15], s[24:25]
	s_ashr_i32 s24, s8, 31
	s_mul_i32 s13, s25, s12
	s_add_co_i32 s28, s27, s28
	s_sub_co_i32 s8, s14, s13
	s_ashr_i32 s4, s4, 31
	s_add_co_i32 s13, s25, 1
	s_sub_co_i32 s14, s8, s12
	s_cmp_ge_u32 s8, s12
	s_mov_b32 s27, s3
	s_cselect_b32 s13, s13, s25
	s_mov_b32 s29, s3
	s_cselect_b32 s8, s14, s8
	s_add_co_i32 s14, s13, 1
	s_mul_u64 s[28:29], s[26:27], s[28:29]
	s_cmp_ge_u32 s8, s12
	s_mul_i32 s12, s29, s23
	s_cselect_b32 s8, s14, s13
	s_sub_co_i32 s25, s26, s12
	s_xor_b32 s8, s8, s4
	s_load_b128 s[12:15], s[0:1], 0x0
	s_sub_co_i32 s26, s8, s4
	s_add_co_i32 s4, s29, 1
	s_sub_co_i32 s8, s25, s23
	s_cmp_ge_u32 s25, s23
	v_mad_u32_u24 v0, 0x900, v37, 0
	s_cselect_b32 s4, s4, s29
	s_cselect_b32 s8, s8, s25
	s_add_co_i32 s25, s4, 1
	s_cmp_ge_u32 s8, s23
	s_mov_b32 s8, s9
	s_cselect_b32 s4, s25, s4
	s_ashr_i32 s9, s9, 31
	s_xor_b32 s4, s4, s24
	v_mul_u32_u24_e32 v1, 0x90, v39
	s_sub_co_i32 s24, s4, s24
	v_and_b32_e32 v2, 0x3f0, v36
	s_ashr_i32 s25, s24, 31
	v_add_nc_u32_e32 v42, v0, v40
	s_mul_u64 s[8:9], s[24:25], s[8:9]
	s_mul_i32 s24, s26, s5
	s_lshl_b64 s[54:55], s[8:9], 2
	s_ashr_i32 s25, s24, 31
	s_wait_kmcnt 0x0
	s_add_nc_u64 s[8:9], s[12:13], s[54:55]
	s_lshl_b64 s[56:57], s[24:25], 2
	s_mul_i32 s24, s16, s20
	v_add3_u32 v43, v0, v1, v2
	s_ashr_i32 s25, s24, 31
	v_dual_mov_b32 v0, 0 :: v_dual_lshlrev_b32 v1, 7, v37
	s_lshl_b64 s[60:61], s[24:25], 2
	s_add_nc_u64 s[8:9], s[8:9], s[56:57]
	s_add_nc_u64 s[56:57], s[56:57], s[60:61]
	s_mov_b32 s4, s10
	s_add_nc_u64 s[54:55], s[56:57], s[54:55]
	s_ashr_i32 s5, s10, 31
	v_add_co_u32 v1, s53, s54, v1
	s_delay_alu instid0(VALU_DEP_1) | instskip(SKIP_2) | instid1(VALU_DEP_3)
	v_add_co_ci_u32_e64 v2, null, s55, 0, s53
	v_dual_mov_b32 v44, 0 :: v_dual_lshlrev_b32 v3, 8, v37
	s_mul_u64 s[4:5], s[4:5], s[2:3]
	v_add_co_u32 v1, vcc_lo, v1, v40
	s_lshl_b64 s[58:59], s[4:5], 2
	v_add_co_ci_u32_e64 v2, null, 0, v2, vcc_lo
	v_add_co_u32 v3, s53, s58, v3
	v_lshlrev_b32_e32 v5, 3, v36
	s_mul_i32 s4, s6, s19
	s_wait_alu 0xf1ff
	v_add_co_ci_u32_e64 v4, null, s59, 0, s53
	v_add_co_u32 v32, vcc_lo, s12, v1
	s_ashr_i32 s5, s4, 31
	s_wait_alu 0xfffd
	v_add_co_ci_u32_e64 v33, null, s13, v2, vcc_lo
	v_add_co_u32 v1, vcc_lo, v3, v5
	s_lshl_b64 s[62:63], s[4:5], 2
	s_wait_alu 0xfffd
	v_add_co_ci_u32_e64 v2, null, 0, v4, vcc_lo
	s_add_nc_u64 s[12:13], s[14:15], s[62:63]
	v_dual_mov_b32 v3, v0 :: v_dual_mov_b32 v4, v0
	s_wait_alu 0xfffe
	v_add_co_u32 v34, vcc_lo, s12, v1
	s_wait_alu 0xfffd
	v_add_co_ci_u32_e64 v35, null, s13, v2, vcc_lo
	v_dual_mov_b32 v1, v0 :: v_dual_mov_b32 v2, v0
	v_dual_mov_b32 v5, v0 :: v_dual_mov_b32 v6, v0
	;; [unrolled: 1-line block ×6, first 2 shown]
	v_mov_b32_e32 v15, v0
	s_add_nc_u64 s[26:27], s[14:15], s[58:59]
	s_ashr_i32 s65, s16, 31
	s_mov_b32 s64, s16
	s_ashr_i32 s67, s17, 31
	s_mov_b32 s66, s17
	s_add_nc_u64 s[4:5], s[8:9], s[60:61]
	s_add_nc_u64 s[8:9], s[26:27], s[62:63]
	s_mov_b32 s6, 0
	s_add_co_i32 s10, s16, s16
	s_add_co_i32 s23, s17, s17
	s_mul_i32 s17, s17, 3
	s_mul_i32 s24, s16, 3
	s_lshl_b32 s25, s16, 2
	s_mul_i32 s26, s16, 5
	s_mul_i32 s27, s16, 6
	;; [unrolled: 1-line block ×3, first 2 shown]
	s_lshl_b32 s29, s16, 3
	s_mul_i32 s30, s16, 9
	s_mul_i32 s31, s16, 10
	;; [unrolled: 1-line block ×7, first 2 shown]
	s_lshl_b32 s38, s16, 4
	s_mul_i32 s39, s16, 17
	s_mul_i32 s40, s16, 18
	;; [unrolled: 1-line block ×15, first 2 shown]
	s_lshl_b64 s[12:13], s[64:65], 2
	s_lshl_b64 s[14:15], s[66:67], 3
.LBB38_4:                               ; =>This Inner Loop Header: Depth=1
	global_load_b32 v16, v[32:33], off
	v_add_nc_u32_e32 v45, s38, v41
	s_delay_alu instid0(VALU_DEP_1) | instskip(NEXT) | instid1(VALU_DEP_1)
	v_ashrrev_i32_e32 v46, 31, v45
	v_lshlrev_b64_e32 v[45:46], 2, v[45:46]
	s_wait_loadcnt 0x0
	ds_store_b32 v42, v16
	s_wait_alu 0xfffe
	v_add_co_u32 v16, vcc_lo, v32, s12
	s_wait_alu 0xfffd
	v_add_co_ci_u32_e64 v17, null, s13, v33, vcc_lo
	global_load_b32 v16, v[16:17], off
	s_wait_loadcnt 0x0
	ds_store_b32 v42, v16 offset:144
	v_add_nc_u32_e32 v16, s10, v41
	s_delay_alu instid0(VALU_DEP_1) | instskip(NEXT) | instid1(VALU_DEP_1)
	v_ashrrev_i32_e32 v17, 31, v16
	v_lshlrev_b64_e32 v[16:17], 2, v[16:17]
	s_delay_alu instid0(VALU_DEP_1) | instskip(SKIP_1) | instid1(VALU_DEP_2)
	v_add_co_u32 v16, vcc_lo, s4, v16
	s_wait_alu 0xfffd
	v_add_co_ci_u32_e64 v17, null, s5, v17, vcc_lo
	global_load_b32 v16, v[16:17], off
	s_wait_loadcnt 0x0
	ds_store_b32 v42, v16 offset:288
	v_add_nc_u32_e32 v16, s24, v41
	s_delay_alu instid0(VALU_DEP_1) | instskip(NEXT) | instid1(VALU_DEP_1)
	v_ashrrev_i32_e32 v17, 31, v16
	v_lshlrev_b64_e32 v[16:17], 2, v[16:17]
	s_delay_alu instid0(VALU_DEP_1) | instskip(SKIP_1) | instid1(VALU_DEP_2)
	;; [unrolled: 11-line block ×14, first 2 shown]
	v_add_co_u32 v16, vcc_lo, s4, v16
	s_wait_alu 0xfffd
	v_add_co_ci_u32_e64 v17, null, s5, v17, vcc_lo
	v_add_co_u32 v45, vcc_lo, s4, v45
	s_wait_alu 0xfffd
	v_add_co_ci_u32_e64 v46, null, s5, v46, vcc_lo
	global_load_b32 v16, v[16:17], off
	s_wait_loadcnt 0x0
	ds_store_b32 v42, v16 offset:2160
	ds_load_b128 v[28:31], v43
	ds_load_b128 v[24:27], v43 offset:32
	ds_load_b128 v[20:23], v43 offset:64
	;; [unrolled: 1-line block ×3, first 2 shown]
	global_load_b32 v45, v[45:46], off
	s_wait_loadcnt 0x0
	ds_store_b32 v42, v45
	v_add_nc_u32_e32 v45, s39, v41
	s_delay_alu instid0(VALU_DEP_1) | instskip(NEXT) | instid1(VALU_DEP_1)
	v_ashrrev_i32_e32 v46, 31, v45
	v_lshlrev_b64_e32 v[45:46], 2, v[45:46]
	s_delay_alu instid0(VALU_DEP_1) | instskip(SKIP_1) | instid1(VALU_DEP_2)
	v_add_co_u32 v45, vcc_lo, s4, v45
	s_wait_alu 0xfffd
	v_add_co_ci_u32_e64 v46, null, s5, v46, vcc_lo
	global_load_b32 v45, v[45:46], off
	s_wait_loadcnt 0x0
	ds_store_b32 v42, v45 offset:144
	v_add_nc_u32_e32 v45, s40, v41
	s_delay_alu instid0(VALU_DEP_1) | instskip(NEXT) | instid1(VALU_DEP_1)
	v_ashrrev_i32_e32 v46, 31, v45
	v_lshlrev_b64_e32 v[45:46], 2, v[45:46]
	s_delay_alu instid0(VALU_DEP_1) | instskip(SKIP_1) | instid1(VALU_DEP_2)
	v_add_co_u32 v45, vcc_lo, s4, v45
	s_wait_alu 0xfffd
	v_add_co_ci_u32_e64 v46, null, s5, v46, vcc_lo
	global_load_b32 v45, v[45:46], off
	s_wait_loadcnt 0x0
	ds_store_b32 v42, v45 offset:288
	;; [unrolled: 11-line block ×15, first 2 shown]
	ds_load_b128 v[45:48], v43
	ds_load_b128 v[49:52], v43 offset:32
	ds_load_b128 v[53:56], v43 offset:64
	;; [unrolled: 1-line block ×3, first 2 shown]
	global_load_b64 v[61:62], v[34:35], off
	s_wait_loadcnt 0x0
	v_cvt_f16_f32_e32 v61, v61
	v_cvt_f16_f32_e32 v62, v62
	s_delay_alu instid0(VALU_DEP_1)
	v_pack_b32_f16 v61, v61, v62
	ds_store_b32 v42, v61
	v_add_co_u32 v61, vcc_lo, v34, s14
	s_wait_alu 0xfffd
	v_add_co_ci_u32_e64 v62, null, s15, v35, vcc_lo
	global_load_b64 v[61:62], v[61:62], off
	s_wait_loadcnt 0x0
	v_cvt_f16_f32_e32 v61, v61
	v_cvt_f16_f32_e32 v62, v62
	s_delay_alu instid0(VALU_DEP_1) | instskip(SKIP_2) | instid1(VALU_DEP_1)
	v_pack_b32_f16 v61, v61, v62
	ds_store_b32 v42, v61 offset:144
	v_add_nc_u32_e32 v61, s23, v41
	v_ashrrev_i32_e32 v62, 31, v61
	s_delay_alu instid0(VALU_DEP_1) | instskip(NEXT) | instid1(VALU_DEP_1)
	v_lshlrev_b64_e32 v[61:62], 3, v[61:62]
	v_add_co_u32 v61, vcc_lo, s8, v61
	s_wait_alu 0xfffd
	s_delay_alu instid0(VALU_DEP_2) | instskip(SKIP_4) | instid1(VALU_DEP_1)
	v_add_co_ci_u32_e64 v62, null, s9, v62, vcc_lo
	global_load_b64 v[61:62], v[61:62], off
	s_wait_loadcnt 0x0
	v_cvt_f16_f32_e32 v61, v61
	v_cvt_f16_f32_e32 v62, v62
	v_pack_b32_f16 v61, v61, v62
	ds_store_b32 v42, v61 offset:288
	v_add_nc_u32_e32 v61, s17, v41
	v_add_nc_u32_e32 v41, 0x80, v41
	s_delay_alu instid0(VALU_DEP_2) | instskip(NEXT) | instid1(VALU_DEP_1)
	v_ashrrev_i32_e32 v62, 31, v61
	v_lshlrev_b64_e32 v[61:62], 3, v[61:62]
	s_delay_alu instid0(VALU_DEP_1) | instskip(SKIP_1) | instid1(VALU_DEP_2)
	v_add_co_u32 v61, vcc_lo, s8, v61
	s_wait_alu 0xfffd
	v_add_co_ci_u32_e64 v62, null, s9, v62, vcc_lo
	v_add_co_u32 v32, vcc_lo, 0x200, v32
	s_wait_alu 0xfffd
	v_add_co_ci_u32_e64 v33, null, 0, v33, vcc_lo
	global_load_b64 v[61:62], v[61:62], off
	v_add_co_u32 v34, vcc_lo, 0x400, v34
	s_wait_alu 0xfffd
	v_add_co_ci_u32_e64 v35, null, 0, v35, vcc_lo
	v_cmp_le_i32_e32 vcc_lo, s21, v41
	s_or_b32 s6, vcc_lo, s6
	s_wait_loadcnt 0x0
	v_cvt_f16_f32_e32 v61, v61
	v_cvt_f16_f32_e32 v62, v62
	s_delay_alu instid0(VALU_DEP_1)
	v_pack_b32_f16 v61, v61, v62
	ds_store_b32 v42, v61 offset:432
	ds_store_b32 v42, v44 offset:576
	;; [unrolled: 1-line block ×13, first 2 shown]
	ds_load_b128 v[61:64], v43
	ds_load_b128 v[65:68], v43 offset:32
	s_wait_dscnt 0x1
	v_wmma_f32_16x16x16_f16 v[8:15], v[28:31], v[61:64], v[8:15]
	v_wmma_f32_16x16x16_f16 v[0:7], v[45:48], v[61:64], v[0:7]
	s_wait_dscnt 0x0
	s_delay_alu instid0(VALU_DEP_2)
	v_wmma_f32_16x16x16_f16 v[8:15], v[24:27], v[65:68], v[8:15]
	ds_load_b128 v[24:27], v43 offset:64
	v_wmma_f32_16x16x16_f16 v[0:7], v[49:52], v[65:68], v[0:7]
	s_wait_dscnt 0x0
	v_wmma_f32_16x16x16_f16 v[8:15], v[20:23], v[24:27], v[8:15]
	ds_load_b128 v[20:23], v43 offset:96
	v_wmma_f32_16x16x16_f16 v[0:7], v[53:56], v[24:27], v[0:7]
	s_wait_dscnt 0x0
	v_wmma_f32_16x16x16_f16 v[8:15], v[16:19], v[20:23], v[8:15]
	s_delay_alu instid0(VALU_DEP_2)
	v_wmma_f32_16x16x16_f16 v[0:7], v[57:60], v[20:23], v[0:7]
	s_and_not1_b32 exec_lo, exec_lo, s6
	s_cbranch_execnz .LBB38_4
; %bb.5:
	s_or_b32 exec_lo, exec_lo, s6
.LBB38_6:
	s_delay_alu instid0(SALU_CYCLE_1) | instskip(SKIP_4) | instid1(VALU_DEP_3)
	s_or_b32 exec_lo, exec_lo, s22
	v_lshlrev_b32_e32 v16, 1, v36
	v_lshl_add_u32 v17, v38, 2, 0
	v_mul_u32_u24_e32 v18, 0x210, v39
	s_barrier_signal -1
	v_and_b32_e32 v16, 0x7e0, v16
	s_barrier_wait -1
	global_inv scope:SCOPE_SE
	s_load_b64 s[0:1], s[0:1], 0x18
	s_ashr_i32 s5, s11, 31
	v_add3_u32 v16, v17, v18, v16
	v_mul_u32_u24_e32 v17, 0x210, v37
	s_mov_b32 s4, s11
	s_mul_i32 s6, s7, s19
	s_wait_alu 0xfffe
	s_mul_u64 s[2:3], s[4:5], s[2:3]
	ds_store_2addr_b32 v16, v8, v9 offset1:1
	ds_store_2addr_b32 v16, v10, v11 offset0:2 offset1:3
	ds_store_2addr_b32 v16, v12, v13 offset0:4 offset1:5
	;; [unrolled: 1-line block ×7, first 2 shown]
	v_add3_u32 v2, 0, v40, v17
	s_wait_loadcnt_dscnt 0x0
	s_barrier_signal -1
	s_barrier_wait -1
	global_inv scope:SCOPE_SE
	ds_load_2addr_b32 v[0:1], v2 offset1:32
	ds_load_2addr_b32 v[2:3], v2 offset0:64 offset1:96
	s_wait_kmcnt 0x0
	v_mul_lo_u32 v4, s18, v37
	v_mov_b32_e32 v5, 0
	s_ashr_i32 s7, s6, 31
	s_wait_alu 0xfffe
	s_lshl_b64 s[2:3], s[2:3], 2
	s_lshl_b64 s[4:5], s[6:7], 2
	s_wait_alu 0xfffe
	s_add_nc_u64 s[0:1], s[0:1], s[2:3]
	v_add3_u32 v4, s20, v36, v4
	s_add_nc_u64 s[0:1], s[0:1], s[4:5]
	s_wait_dscnt 0x1
	v_add_f32_e32 v0, 0, v0
	s_delay_alu instid0(VALU_DEP_1) | instskip(SKIP_1) | instid1(VALU_DEP_1)
	v_add_f32_e32 v0, v0, v1
	s_wait_dscnt 0x0
	v_add_f32_e32 v2, v0, v2
	v_lshlrev_b64_e32 v[0:1], 2, v[4:5]
	s_delay_alu instid0(VALU_DEP_2) | instskip(NEXT) | instid1(VALU_DEP_2)
	v_add_f32_e32 v2, v2, v3
	v_add_co_u32 v0, vcc_lo, s0, v0
	s_wait_alu 0xfffd
	s_delay_alu instid0(VALU_DEP_3)
	v_add_co_ci_u32_e64 v1, null, s1, v1, vcc_lo
	global_store_b32 v[0:1], v2, off
	s_endpgm
	.section	.rodata,"a",@progbits
	.p2align	6, 0x0
	.amdhsa_kernel _ZL9mul_mat_fI7__half2Li32ELi4ELi4ELb0EEvPKT_PKfPKiPfiiiiiiiiiiiiiiii
		.amdhsa_group_segment_fixed_size 0
		.amdhsa_private_segment_fixed_size 0
		.amdhsa_kernarg_size 96
		.amdhsa_user_sgpr_count 2
		.amdhsa_user_sgpr_dispatch_ptr 0
		.amdhsa_user_sgpr_queue_ptr 0
		.amdhsa_user_sgpr_kernarg_segment_ptr 1
		.amdhsa_user_sgpr_dispatch_id 0
		.amdhsa_user_sgpr_private_segment_size 0
		.amdhsa_wavefront_size32 1
		.amdhsa_uses_dynamic_stack 0
		.amdhsa_enable_private_segment 0
		.amdhsa_system_sgpr_workgroup_id_x 1
		.amdhsa_system_sgpr_workgroup_id_y 1
		.amdhsa_system_sgpr_workgroup_id_z 1
		.amdhsa_system_sgpr_workgroup_info 0
		.amdhsa_system_vgpr_workitem_id 1
		.amdhsa_next_free_vgpr 69
		.amdhsa_next_free_sgpr 68
		.amdhsa_reserve_vcc 1
		.amdhsa_float_round_mode_32 0
		.amdhsa_float_round_mode_16_64 0
		.amdhsa_float_denorm_mode_32 3
		.amdhsa_float_denorm_mode_16_64 3
		.amdhsa_fp16_overflow 0
		.amdhsa_workgroup_processor_mode 1
		.amdhsa_memory_ordered 1
		.amdhsa_forward_progress 1
		.amdhsa_inst_pref_size 31
		.amdhsa_round_robin_scheduling 0
		.amdhsa_exception_fp_ieee_invalid_op 0
		.amdhsa_exception_fp_denorm_src 0
		.amdhsa_exception_fp_ieee_div_zero 0
		.amdhsa_exception_fp_ieee_overflow 0
		.amdhsa_exception_fp_ieee_underflow 0
		.amdhsa_exception_fp_ieee_inexact 0
		.amdhsa_exception_int_div_zero 0
	.end_amdhsa_kernel
	.section	.text._ZL9mul_mat_fI7__half2Li32ELi4ELi4ELb0EEvPKT_PKfPKiPfiiiiiiiiiiiiiiii,"axG",@progbits,_ZL9mul_mat_fI7__half2Li32ELi4ELi4ELb0EEvPKT_PKfPKiPfiiiiiiiiiiiiiiii,comdat
.Lfunc_end38:
	.size	_ZL9mul_mat_fI7__half2Li32ELi4ELi4ELb0EEvPKT_PKfPKiPfiiiiiiiiiiiiiiii, .Lfunc_end38-_ZL9mul_mat_fI7__half2Li32ELi4ELi4ELb0EEvPKT_PKfPKiPfiiiiiiiiiiiiiiii
                                        ; -- End function
	.set _ZL9mul_mat_fI7__half2Li32ELi4ELi4ELb0EEvPKT_PKfPKiPfiiiiiiiiiiiiiiii.num_vgpr, 69
	.set _ZL9mul_mat_fI7__half2Li32ELi4ELi4ELb0EEvPKT_PKfPKiPfiiiiiiiiiiiiiiii.num_agpr, 0
	.set _ZL9mul_mat_fI7__half2Li32ELi4ELi4ELb0EEvPKT_PKfPKiPfiiiiiiiiiiiiiiii.numbered_sgpr, 68
	.set _ZL9mul_mat_fI7__half2Li32ELi4ELi4ELb0EEvPKT_PKfPKiPfiiiiiiiiiiiiiiii.num_named_barrier, 0
	.set _ZL9mul_mat_fI7__half2Li32ELi4ELi4ELb0EEvPKT_PKfPKiPfiiiiiiiiiiiiiiii.private_seg_size, 0
	.set _ZL9mul_mat_fI7__half2Li32ELi4ELi4ELb0EEvPKT_PKfPKiPfiiiiiiiiiiiiiiii.uses_vcc, 1
	.set _ZL9mul_mat_fI7__half2Li32ELi4ELi4ELb0EEvPKT_PKfPKiPfiiiiiiiiiiiiiiii.uses_flat_scratch, 0
	.set _ZL9mul_mat_fI7__half2Li32ELi4ELi4ELb0EEvPKT_PKfPKiPfiiiiiiiiiiiiiiii.has_dyn_sized_stack, 0
	.set _ZL9mul_mat_fI7__half2Li32ELi4ELi4ELb0EEvPKT_PKfPKiPfiiiiiiiiiiiiiiii.has_recursion, 0
	.set _ZL9mul_mat_fI7__half2Li32ELi4ELi4ELb0EEvPKT_PKfPKiPfiiiiiiiiiiiiiiii.has_indirect_call, 0
	.section	.AMDGPU.csdata,"",@progbits
; Kernel info:
; codeLenInByte = 3892
; TotalNumSgprs: 70
; NumVgprs: 69
; ScratchSize: 0
; MemoryBound: 0
; FloatMode: 240
; IeeeMode: 1
; LDSByteSize: 0 bytes/workgroup (compile time only)
; SGPRBlocks: 0
; VGPRBlocks: 8
; NumSGPRsForWavesPerEU: 70
; NumVGPRsForWavesPerEU: 69
; Occupancy: 16
; WaveLimiterHint : 0
; COMPUTE_PGM_RSRC2:SCRATCH_EN: 0
; COMPUTE_PGM_RSRC2:USER_SGPR: 2
; COMPUTE_PGM_RSRC2:TRAP_HANDLER: 0
; COMPUTE_PGM_RSRC2:TGID_X_EN: 1
; COMPUTE_PGM_RSRC2:TGID_Y_EN: 1
; COMPUTE_PGM_RSRC2:TGID_Z_EN: 1
; COMPUTE_PGM_RSRC2:TIDIG_COMP_CNT: 1
	.section	.text._ZL13mul_mat_f_idsI7__half2Li32ELi4ELi5EEvPKT_PKfPKiS7_S7_Pfiiiiiiiiiiiiii15HIP_vector_typeIjLj3EESA_,"axG",@progbits,_ZL13mul_mat_f_idsI7__half2Li32ELi4ELi5EEvPKT_PKfPKiS7_S7_Pfiiiiiiiiiiiiii15HIP_vector_typeIjLj3EESA_,comdat
	.globl	_ZL13mul_mat_f_idsI7__half2Li32ELi4ELi5EEvPKT_PKfPKiS7_S7_Pfiiiiiiiiiiiiii15HIP_vector_typeIjLj3EESA_ ; -- Begin function _ZL13mul_mat_f_idsI7__half2Li32ELi4ELi5EEvPKT_PKfPKiS7_S7_Pfiiiiiiiiiiiiii15HIP_vector_typeIjLj3EESA_
	.p2align	8
	.type	_ZL13mul_mat_f_idsI7__half2Li32ELi4ELi5EEvPKT_PKfPKiS7_S7_Pfiiiiiiiiiiiiii15HIP_vector_typeIjLj3EESA_,@function
_ZL13mul_mat_f_idsI7__half2Li32ELi4ELi5EEvPKT_PKfPKiS7_S7_Pfiiiiiiiiiiiiii15HIP_vector_typeIjLj3EESA_: ; @_ZL13mul_mat_f_idsI7__half2Li32ELi4ELi5EEvPKT_PKfPKiS7_S7_Pfiiiiiiiiiiiiii15HIP_vector_typeIjLj3EESA_
; %bb.0:
	s_load_b64 s[4:5], s[0:1], 0x20
	s_and_b32 s2, ttmp7, 0xffff
	s_delay_alu instid0(SALU_CYCLE_1) | instskip(SKIP_4) | instid1(SALU_CYCLE_1)
	s_lshl_b32 s3, s2, 2
	s_wait_kmcnt 0x0
	s_load_b64 s[24:25], s[4:5], s3 offset:0x0
	s_wait_kmcnt 0x0
	s_sub_co_i32 s19, s25, s24
	s_add_co_i32 s3, s19, 3
	s_delay_alu instid0(SALU_CYCLE_1) | instskip(NEXT) | instid1(SALU_CYCLE_1)
	s_ashr_i32 s4, s3, 31
	s_lshr_b32 s4, s4, 30
	s_delay_alu instid0(SALU_CYCLE_1) | instskip(NEXT) | instid1(SALU_CYCLE_1)
	s_add_co_i32 s3, s3, s4
	s_ashr_i32 s4, s3, 2
	s_lshr_b32 s3, ttmp7, 16
	s_delay_alu instid0(SALU_CYCLE_1)
	s_cmp_ge_i32 s3, s4
	s_cbranch_scc1 .LBB39_23
; %bb.1:
	s_clause 0x3
	s_load_b128 s[4:7], s[0:1], 0x30
	s_load_b64 s[20:21], s[0:1], 0x40
	s_load_b128 s[8:11], s[0:1], 0x68
	s_load_b64 s[22:23], s[0:1], 0x78
	v_bfe_u32 v52, v0, 10, 10
	v_and_b32_e32 v51, 0x3ff, v0
	s_ashr_i32 s25, s24, 31
	s_mov_b32 s12, exec_lo
	s_delay_alu instid0(VALU_DEP_2) | instskip(NEXT) | instid1(VALU_DEP_2)
	v_lshlrev_b32_e32 v53, 5, v52
	v_and_b32_e32 v54, 15, v51
	s_delay_alu instid0(VALU_DEP_2) | instskip(SKIP_1) | instid1(VALU_DEP_1)
	v_add_nc_u32_e32 v48, v53, v51
	s_wait_kmcnt 0x0
	v_cmpx_le_i32_e64 s4, v48
	s_xor_b32 s12, exec_lo, s12
; %bb.2:
	v_and_b32_e32 v54, 15, v51
                                        ; implicit-def: $vgpr48
; %bb.3:
	s_or_saveexec_b32 s37, s12
	s_clause 0x1
	s_load_b64 s[26:27], s[0:1], 0x28
	s_load_b96 s[16:18], s[0:1], 0x4c
	v_mov_b32_e32 v7, 0
	s_lshl_b32 s33, ttmp9, 5
	s_lshl_b32 s36, s3, 2
	s_delay_alu instid0(VALU_DEP_1)
	v_dual_mov_b32 v6, v7 :: v_dual_mov_b32 v5, v7
	v_dual_mov_b32 v4, v7 :: v_dual_mov_b32 v3, v7
	;; [unrolled: 1-line block ×7, first 2 shown]
	v_mov_b32_e32 v8, v7
	s_xor_b32 exec_lo, exec_lo, s37
	s_cbranch_execz .LBB39_19
; %bb.4:
	s_clause 0x1
	s_load_b128 s[12:15], s[0:1], 0x0
	s_load_b64 s[28:29], s[0:1], 0x10
	s_wait_kmcnt 0x0
	s_mul_i32 s30, s16, s2
	s_mul_i32 s34, s7, s33
	s_ashr_i32 s31, s30, 31
	s_ashr_i32 s35, s34, 31
	s_lshl_b64 s[38:39], s[24:25], 2
	s_lshl_b64 s[68:69], s[30:31], 2
	s_lshl_b64 s[70:71], s[34:35], 2
	s_cmp_lt_i32 s36, s19
	v_mad_u32_u24 v0, 0x900, v52, 0
	v_dual_mov_b32 v8, 0 :: v_dual_lshlrev_b32 v1, 2, v51
	v_mul_u32_u24_e32 v2, 0x90, v54
	s_cselect_b32 s16, -1, 0
	s_or_b32 s30, s36, 1
	v_mov_b32_e32 v57, 0
	v_and_b32_e32 v3, 0x3f0, v51
	s_lshl_b32 s2, s36, 2
	s_cmp_lt_i32 s30, s19
	s_add_nc_u64 s[30:31], s[12:13], s[68:69]
	s_add_nc_u64 s[34:35], s[28:29], s[38:39]
	;; [unrolled: 1-line block ×3, first 2 shown]
	s_cselect_b32 s38, -1, 0
	s_or_b32 s30, s36, 2
	v_dual_mov_b32 v10, v57 :: v_dual_add_nc_u32 v55, v0, v1
	v_add3_u32 v56, v0, v2, v3
	v_dual_mov_b32 v9, v57 :: v_dual_lshlrev_b32 v0, 7, v52
	s_mov_b32 s3, 0
	s_cmp_lt_i32 s30, s19
	s_add_nc_u64 s[30:31], s[34:35], s[2:3]
	s_cselect_b32 s39, -1, 0
	s_or_b32 s2, s36, 3
	s_add_nc_u64 s[68:69], s[68:69], s[70:71]
	s_cmp_lt_i32 s2, s19
	v_add_co_u32 v0, s2, s68, v0
	s_delay_alu instid0(VALU_DEP_1) | instskip(SKIP_2) | instid1(VALU_DEP_1)
	v_add_co_ci_u32_e64 v2, null, s69, 0, s2
	s_mov_b32 s34, s8
	v_add_co_u32 v0, vcc_lo, v0, v1
	v_add_co_ci_u32_e64 v1, null, 0, v2, vcc_lo
	s_cselect_b32 s8, -1, 0
	v_add_co_u32 v49, vcc_lo, s12, v0
	s_wait_alu 0xfffd
	v_add_co_ci_u32_e64 v50, null, s13, v1, vcc_lo
	v_dual_mov_b32 v0, 0 :: v_dual_mov_b32 v11, v57
	v_mov_b32_e32 v14, v57
	v_dual_mov_b32 v12, v57 :: v_dual_mov_b32 v13, v57
	v_dual_mov_b32 v2, v57 :: v_dual_mov_b32 v15, v57
	;; [unrolled: 1-line block ×4, first 2 shown]
	v_mov_b32_e32 v5, v57
	v_mov_b32_e32 v7, v57
	s_ashr_i32 s73, s7, 31
	s_mov_b32 s72, s7
	s_mov_b32 s35, s3
	s_add_co_i32 s40, s7, s7
	s_mul_i32 s41, s7, 3
	s_lshl_b32 s42, s7, 2
	s_mul_i32 s43, s7, 5
	s_mul_i32 s44, s7, 6
	;; [unrolled: 1-line block ×3, first 2 shown]
	s_lshl_b32 s46, s7, 3
	s_mul_i32 s47, s7, 9
	s_mul_i32 s48, s7, 10
	;; [unrolled: 1-line block ×7, first 2 shown]
	s_lshl_b32 s54, s7, 4
	s_mul_i32 s55, s7, 17
	s_mul_i32 s56, s7, 18
	;; [unrolled: 1-line block ×15, first 2 shown]
	s_lshl_b64 s[12:13], s[72:73], 2
	s_mov_b32 s69, 0
	s_branch .LBB39_6
.LBB39_5:                               ;   in Loop: Header=BB39_6 Depth=1
	v_perm_b32 v58, v58, v59, 0x5040100
	v_perm_b32 v59, v61, v62, 0x5040100
	;; [unrolled: 1-line block ×4, first 2 shown]
	v_add_nc_u32_e32 v62, 0x400, v55
	ds_store_2addr_b32 v55, v58, v59 offset1:36
	ds_store_2addr_b32 v55, v60, v61 offset0:72 offset1:108
	ds_store_2addr_b32 v55, v57, v57 offset0:144 offset1:180
	v_add_nc_u32_e32 v58, 0x600, v55
	ds_store_2addr_b32 v55, v57, v57 offset0:216 offset1:252
	ds_store_2addr_b32 v62, v57, v57 offset0:32 offset1:68
	;; [unrolled: 1-line block ×5, first 2 shown]
	ds_load_b128 v[58:61], v56
	ds_load_b128 v[62:65], v56 offset:32
	ds_load_b128 v[66:69], v56 offset:64
	;; [unrolled: 1-line block ×3, first 2 shown]
	v_add_nc_u32_e32 v48, 0xa0, v48
	v_add_co_u32 v49, s2, 0x280, v49
	s_wait_alu 0xf1ff
	v_add_co_ci_u32_e64 v50, null, 0, v50, s2
	s_delay_alu instid0(VALU_DEP_3)
	v_cmp_le_i32_e32 vcc_lo, s4, v48
	s_or_b32 s69, vcc_lo, s69
	s_wait_dscnt 0x3
	v_wmma_f32_16x16x16_f16 v[8:15], v[32:35], v[58:61], v[8:15]
	v_wmma_f32_16x16x16_f16 v[0:7], v[44:47], v[58:61], v[0:7]
	s_wait_dscnt 0x2
	s_delay_alu instid0(VALU_DEP_2) | instskip(NEXT) | instid1(VALU_DEP_2)
	v_wmma_f32_16x16x16_f16 v[8:15], v[28:31], v[62:65], v[8:15]
	v_wmma_f32_16x16x16_f16 v[0:7], v[40:43], v[62:65], v[0:7]
	s_wait_dscnt 0x1
	s_delay_alu instid0(VALU_DEP_2) | instskip(NEXT) | instid1(VALU_DEP_2)
	;; [unrolled: 4-line block ×3, first 2 shown]
	v_wmma_f32_16x16x16_f16 v[8:15], v[16:19], v[70:73], v[8:15]
	v_wmma_f32_16x16x16_f16 v[0:7], v[20:23], v[70:73], v[0:7]
	s_wait_alu 0xfffe
	s_and_not1_b32 exec_lo, exec_lo, s69
	s_cbranch_execz .LBB39_18
.LBB39_6:                               ; =>This Inner Loop Header: Depth=1
	v_add_nc_u32_e32 v22, s42, v48
	v_add_nc_u32_e32 v16, s40, v48
	s_wait_alu 0xfffe
	v_add_co_u32 v20, vcc_lo, v49, s12
	v_add_nc_u32_e32 v18, s41, v48
	s_wait_alu 0xfffd
	v_add_co_ci_u32_e64 v21, null, s13, v50, vcc_lo
	v_ashrrev_i32_e32 v23, 31, v22
	v_ashrrev_i32_e32 v17, 31, v16
	v_add_nc_u32_e32 v24, s43, v48
	v_ashrrev_i32_e32 v19, 31, v18
	s_clause 0x1
	global_load_b32 v38, v[49:50], off
	global_load_b32 v39, v[20:21], off
	v_lshlrev_b64_e32 v[20:21], 2, v[22:23]
	v_add_nc_u32_e32 v22, s44, v48
	v_lshlrev_b64_e32 v[16:17], 2, v[16:17]
	v_add_nc_u32_e32 v26, s45, v48
	v_ashrrev_i32_e32 v25, 31, v24
	v_lshlrev_b64_e32 v[18:19], 2, v[18:19]
	v_add_nc_u32_e32 v28, s46, v48
	v_ashrrev_i32_e32 v23, 31, v22
	v_add_nc_u32_e32 v30, s47, v48
	v_ashrrev_i32_e32 v27, 31, v26
	v_add_co_u32 v16, vcc_lo, s28, v16
	v_lshlrev_b64_e32 v[24:25], 2, v[24:25]
	v_ashrrev_i32_e32 v29, 31, v28
	s_wait_alu 0xfffd
	v_add_co_ci_u32_e64 v17, null, s29, v17, vcc_lo
	v_add_co_u32 v18, vcc_lo, s28, v18
	v_lshlrev_b64_e32 v[22:23], 2, v[22:23]
	v_ashrrev_i32_e32 v31, 31, v30
	s_wait_alu 0xfffd
	v_add_co_ci_u32_e64 v19, null, s29, v19, vcc_lo
	v_add_co_u32 v20, vcc_lo, s28, v20
	v_lshlrev_b64_e32 v[26:27], 2, v[26:27]
	s_wait_alu 0xfffd
	v_add_co_ci_u32_e64 v21, null, s29, v21, vcc_lo
	v_add_co_u32 v24, vcc_lo, s28, v24
	v_lshlrev_b64_e32 v[28:29], 2, v[28:29]
	;; [unrolled: 4-line block ×3, first 2 shown]
	s_wait_alu 0xfffd
	v_add_co_ci_u32_e64 v23, null, s29, v23, vcc_lo
	v_add_co_u32 v26, vcc_lo, s28, v26
	v_add_nc_u32_e32 v32, s48, v48
	s_wait_alu 0xfffd
	v_add_co_ci_u32_e64 v27, null, s29, v27, vcc_lo
	v_add_co_u32 v28, vcc_lo, s28, v28
	v_add_nc_u32_e32 v34, s49, v48
	s_wait_alu 0xfffd
	v_add_co_ci_u32_e64 v29, null, s29, v29, vcc_lo
	v_add_co_u32 v30, vcc_lo, s28, v30
	v_add_nc_u32_e32 v36, s50, v48
	v_ashrrev_i32_e32 v33, 31, v32
	s_wait_alu 0xfffd
	v_add_co_ci_u32_e64 v31, null, s29, v31, vcc_lo
	s_clause 0x7
	global_load_b32 v40, v[16:17], off
	global_load_b32 v41, v[18:19], off
	;; [unrolled: 1-line block ×8, first 2 shown]
	v_add_nc_u32_e32 v18, s51, v48
	v_ashrrev_i32_e32 v35, 31, v34
	v_add_nc_u32_e32 v24, s52, v48
	v_ashrrev_i32_e32 v37, 31, v36
	v_lshlrev_b64_e32 v[32:33], 2, v[32:33]
	v_add_nc_u32_e32 v26, s53, v48
	v_ashrrev_i32_e32 v19, 31, v18
	v_lshlrev_b64_e32 v[16:17], 2, v[34:35]
	;; [unrolled: 3-line block ×3, first 2 shown]
	v_add_nc_u32_e32 v30, s55, v48
	v_ashrrev_i32_e32 v27, 31, v26
	v_add_co_u32 v20, vcc_lo, s28, v32
	v_lshlrev_b64_e32 v[18:19], 2, v[18:19]
	v_ashrrev_i32_e32 v29, 31, v28
	s_wait_alu 0xfffd
	v_add_co_ci_u32_e64 v21, null, s29, v33, vcc_lo
	v_add_co_u32 v16, vcc_lo, s28, v16
	v_lshlrev_b64_e32 v[24:25], 2, v[24:25]
	v_ashrrev_i32_e32 v31, 31, v30
	s_wait_alu 0xfffd
	v_add_co_ci_u32_e64 v17, null, s29, v17, vcc_lo
	v_add_co_u32 v22, vcc_lo, s28, v22
	v_lshlrev_b64_e32 v[26:27], 2, v[26:27]
	s_wait_alu 0xfffd
	v_add_co_ci_u32_e64 v23, null, s29, v23, vcc_lo
	v_add_co_u32 v18, vcc_lo, s28, v18
	v_lshlrev_b64_e32 v[28:29], 2, v[28:29]
	;; [unrolled: 4-line block ×3, first 2 shown]
	s_wait_alu 0xfffd
	v_add_co_ci_u32_e64 v25, null, s29, v25, vcc_lo
	v_add_co_u32 v26, vcc_lo, s28, v26
	v_add_nc_u32_e32 v32, s56, v48
	s_wait_alu 0xfffd
	v_add_co_ci_u32_e64 v27, null, s29, v27, vcc_lo
	v_add_co_u32 v28, vcc_lo, s28, v28
	v_add_nc_u32_e32 v34, s57, v48
	;; [unrolled: 4-line block ×3, first 2 shown]
	v_ashrrev_i32_e32 v33, 31, v32
	s_wait_alu 0xfffd
	v_add_co_ci_u32_e64 v31, null, s29, v31, vcc_lo
	s_clause 0x7
	global_load_b32 v58, v[20:21], off
	global_load_b32 v59, v[16:17], off
	;; [unrolled: 1-line block ×8, first 2 shown]
	v_add_nc_u32_e32 v18, s59, v48
	v_ashrrev_i32_e32 v35, 31, v34
	v_add_nc_u32_e32 v24, s60, v48
	v_ashrrev_i32_e32 v37, 31, v36
	v_lshlrev_b64_e32 v[32:33], 2, v[32:33]
	v_add_nc_u32_e32 v26, s61, v48
	v_ashrrev_i32_e32 v19, 31, v18
	v_lshlrev_b64_e32 v[16:17], 2, v[34:35]
	;; [unrolled: 3-line block ×3, first 2 shown]
	v_add_nc_u32_e32 v30, s63, v48
	v_ashrrev_i32_e32 v27, 31, v26
	v_add_co_u32 v20, vcc_lo, s28, v32
	v_lshlrev_b64_e32 v[18:19], 2, v[18:19]
	v_ashrrev_i32_e32 v29, 31, v28
	s_wait_alu 0xfffd
	v_add_co_ci_u32_e64 v21, null, s29, v33, vcc_lo
	v_add_co_u32 v16, vcc_lo, s28, v16
	v_lshlrev_b64_e32 v[24:25], 2, v[24:25]
	v_ashrrev_i32_e32 v31, 31, v30
	s_wait_alu 0xfffd
	v_add_co_ci_u32_e64 v17, null, s29, v17, vcc_lo
	v_add_co_u32 v22, vcc_lo, s28, v22
	v_lshlrev_b64_e32 v[26:27], 2, v[26:27]
	s_wait_alu 0xfffd
	v_add_co_ci_u32_e64 v23, null, s29, v23, vcc_lo
	v_add_co_u32 v18, vcc_lo, s28, v18
	v_lshlrev_b64_e32 v[28:29], 2, v[28:29]
	;; [unrolled: 4-line block ×3, first 2 shown]
	s_wait_alu 0xfffd
	v_add_co_ci_u32_e64 v25, null, s29, v25, vcc_lo
	v_add_co_u32 v26, vcc_lo, s28, v26
	v_add_nc_u32_e32 v32, s64, v48
	s_wait_alu 0xfffd
	v_add_co_ci_u32_e64 v27, null, s29, v27, vcc_lo
	v_add_co_u32 v28, vcc_lo, s28, v28
	v_add_nc_u32_e32 v34, s65, v48
	;; [unrolled: 4-line block ×3, first 2 shown]
	v_ashrrev_i32_e32 v33, 31, v32
	s_wait_alu 0xfffd
	v_add_co_ci_u32_e64 v31, null, s29, v31, vcc_lo
	s_clause 0x7
	global_load_b32 v66, v[20:21], off
	global_load_b32 v67, v[16:17], off
	;; [unrolled: 1-line block ×8, first 2 shown]
	v_add_nc_u32_e32 v18, s67, v48
	v_ashrrev_i32_e32 v35, 31, v34
	v_add_nc_u32_e32 v24, s68, v48
	v_ashrrev_i32_e32 v37, 31, v36
	v_lshlrev_b64_e32 v[32:33], 2, v[32:33]
	v_add_nc_u32_e32 v26, s7, v48
	v_ashrrev_i32_e32 v19, 31, v18
	v_lshlrev_b64_e32 v[16:17], 2, v[34:35]
	v_ashrrev_i32_e32 v25, 31, v24
	v_lshlrev_b64_e32 v[22:23], 2, v[36:37]
	v_ashrrev_i32_e32 v27, 31, v26
	v_add_co_u32 v20, vcc_lo, s28, v32
	v_lshlrev_b64_e32 v[18:19], 2, v[18:19]
	s_wait_alu 0xfffd
	v_add_co_ci_u32_e64 v21, null, s29, v33, vcc_lo
	v_add_co_u32 v16, vcc_lo, s28, v16
	v_lshlrev_b64_e32 v[24:25], 2, v[24:25]
	s_wait_alu 0xfffd
	v_add_co_ci_u32_e64 v17, null, s29, v17, vcc_lo
	;; [unrolled: 4-line block ×3, first 2 shown]
	v_add_co_u32 v18, vcc_lo, s28, v18
	s_wait_alu 0xfffd
	v_add_co_ci_u32_e64 v19, null, s29, v19, vcc_lo
	v_add_co_u32 v24, vcc_lo, s28, v24
	s_wait_alu 0xfffd
	v_add_co_ci_u32_e64 v25, null, s29, v25, vcc_lo
	;; [unrolled: 3-line block ×3, first 2 shown]
	s_clause 0x5
	global_load_b32 v20, v[20:21], off
	global_load_b32 v21, v[16:17], off
	;; [unrolled: 1-line block ×6, first 2 shown]
	s_and_not1_b32 vcc_lo, exec_lo, s16
	s_wait_loadcnt 0x1f
	ds_store_b32 v55, v38
	s_wait_loadcnt 0x1e
	ds_store_b32 v55, v39 offset:144
	s_wait_loadcnt 0x1d
	ds_store_b32 v55, v40 offset:288
	;; [unrolled: 2-line block ×15, first 2 shown]
	ds_load_b128 v[32:35], v56
	ds_load_b128 v[28:31], v56 offset:32
	ds_load_b128 v[24:27], v56 offset:64
	;; [unrolled: 1-line block ×3, first 2 shown]
	s_wait_loadcnt 0xf
	ds_store_b32 v55, v64
	s_wait_loadcnt 0xe
	ds_store_b32 v55, v65 offset:144
	s_wait_loadcnt 0xd
	ds_store_b32 v55, v66 offset:288
	;; [unrolled: 2-line block ×15, first 2 shown]
	ds_load_b128 v[44:47], v56
	ds_load_b128 v[40:43], v56 offset:32
	ds_load_b128 v[36:39], v56 offset:64
	ds_load_b128 v[20:23], v56 offset:96
	v_dual_mov_b32 v59, 0 :: v_dual_mov_b32 v58, 0
	s_wait_alu 0xfffe
	s_cbranch_vccnz .LBB39_9
; %bb.7:                                ;   in Loop: Header=BB39_6 Depth=1
	s_load_b32 s2, s[30:31], 0x0
	v_dual_mov_b32 v58, 0 :: v_dual_mov_b32 v59, 0
	s_wait_kmcnt 0x0
	s_mul_u64 s[70:71], s[2:3], s[34:35]
	s_wait_alu 0xfffe
	s_add_co_i32 s70, s2, s71
	s_wait_alu 0xfffe
	s_lshr_b32 s70, s70, s9
	s_wait_alu 0xfffe
	s_cmp_ge_i32 s70, s5
	s_cbranch_scc1 .LBB39_9
; %bb.8:                                ;   in Loop: Header=BB39_6 Depth=1
	v_mad_co_u64_u32 v[58:59], null, s70, s20, v[48:49]
	s_mul_i32 s70, s70, s10
	s_wait_alu 0xfffe
	s_sub_co_i32 s2, s2, s70
	s_wait_alu 0xfffe
	s_mul_i32 s2, s2, s17
	s_wait_alu 0xfffe
	v_lshl_add_u32 v58, v58, 1, s2
	s_delay_alu instid0(VALU_DEP_1) | instskip(NEXT) | instid1(VALU_DEP_1)
	v_ashrrev_i32_e32 v59, 31, v58
	v_lshlrev_b64_e32 v[58:59], 2, v[58:59]
	s_delay_alu instid0(VALU_DEP_1) | instskip(SKIP_1) | instid1(VALU_DEP_2)
	v_add_co_u32 v58, vcc_lo, s14, v58
	s_wait_alu 0xfffd
	v_add_co_ci_u32_e64 v59, null, s15, v59, vcc_lo
	global_load_b64 v[59:60], v[58:59], off
	s_wait_loadcnt 0x0
	v_cvt_f16_f32_e32 v59, v59
	v_cvt_f16_f32_e32 v58, v60
.LBB39_9:                               ;   in Loop: Header=BB39_6 Depth=1
	v_dual_mov_b32 v60, 0 :: v_dual_mov_b32 v61, 0
	v_mov_b32_e32 v62, 0
	s_and_not1_b32 vcc_lo, exec_lo, s38
	s_wait_alu 0xfffe
	s_cbranch_vccnz .LBB39_12
; %bb.10:                               ;   in Loop: Header=BB39_6 Depth=1
	s_load_b32 s2, s[30:31], 0x4
	v_dual_mov_b32 v61, 0 :: v_dual_mov_b32 v62, 0
	s_wait_kmcnt 0x0
	s_mul_u64 s[70:71], s[2:3], s[34:35]
	s_wait_alu 0xfffe
	s_add_co_i32 s70, s2, s71
	s_wait_alu 0xfffe
	s_lshr_b32 s70, s70, s9
	s_wait_alu 0xfffe
	s_cmp_ge_i32 s70, s5
	s_cbranch_scc1 .LBB39_12
; %bb.11:                               ;   in Loop: Header=BB39_6 Depth=1
	v_mad_co_u64_u32 v[61:62], null, s70, s20, v[48:49]
	s_mul_i32 s70, s70, s10
	s_wait_alu 0xfffe
	s_sub_co_i32 s2, s2, s70
	s_wait_alu 0xfffe
	s_mul_i32 s2, s2, s17
	s_wait_alu 0xfffe
	v_lshl_add_u32 v61, v61, 1, s2
	s_delay_alu instid0(VALU_DEP_1) | instskip(NEXT) | instid1(VALU_DEP_1)
	v_ashrrev_i32_e32 v62, 31, v61
	v_lshlrev_b64_e32 v[61:62], 2, v[61:62]
	s_delay_alu instid0(VALU_DEP_1) | instskip(SKIP_1) | instid1(VALU_DEP_2)
	v_add_co_u32 v61, vcc_lo, s14, v61
	s_wait_alu 0xfffd
	v_add_co_ci_u32_e64 v62, null, s15, v62, vcc_lo
	global_load_b64 v[62:63], v[61:62], off
	s_wait_loadcnt 0x0
	v_cvt_f16_f32_e32 v62, v62
	v_cvt_f16_f32_e32 v61, v63
.LBB39_12:                              ;   in Loop: Header=BB39_6 Depth=1
	v_mov_b32_e32 v63, 0
	s_and_not1_b32 vcc_lo, exec_lo, s39
	s_wait_alu 0xfffe
	s_cbranch_vccnz .LBB39_15
; %bb.13:                               ;   in Loop: Header=BB39_6 Depth=1
	s_load_b32 s2, s[30:31], 0x8
	v_dual_mov_b32 v63, 0 :: v_dual_mov_b32 v60, 0
	s_wait_kmcnt 0x0
	s_mul_u64 s[70:71], s[2:3], s[34:35]
	s_wait_alu 0xfffe
	s_add_co_i32 s70, s2, s71
	s_wait_alu 0xfffe
	s_lshr_b32 s70, s70, s9
	s_wait_alu 0xfffe
	s_cmp_ge_i32 s70, s5
	s_cbranch_scc1 .LBB39_15
; %bb.14:                               ;   in Loop: Header=BB39_6 Depth=1
	v_mad_co_u64_u32 v[63:64], null, s70, s20, v[48:49]
	s_mul_i32 s70, s70, s10
	s_wait_alu 0xfffe
	s_sub_co_i32 s2, s2, s70
	s_wait_alu 0xfffe
	s_mul_i32 s2, s2, s17
	s_wait_alu 0xfffe
	v_lshl_add_u32 v63, v63, 1, s2
	s_delay_alu instid0(VALU_DEP_1) | instskip(NEXT) | instid1(VALU_DEP_1)
	v_ashrrev_i32_e32 v64, 31, v63
	v_lshlrev_b64_e32 v[63:64], 2, v[63:64]
	s_delay_alu instid0(VALU_DEP_1) | instskip(SKIP_1) | instid1(VALU_DEP_2)
	v_add_co_u32 v63, vcc_lo, s14, v63
	s_wait_alu 0xfffd
	v_add_co_ci_u32_e64 v64, null, s15, v64, vcc_lo
	global_load_b64 v[63:64], v[63:64], off
	s_wait_loadcnt 0x0
	v_cvt_f16_f32_e32 v60, v63
	v_cvt_f16_f32_e32 v63, v64
.LBB39_15:                              ;   in Loop: Header=BB39_6 Depth=1
	v_dual_mov_b32 v64, 0 :: v_dual_mov_b32 v65, 0
	s_and_not1_b32 vcc_lo, exec_lo, s8
	s_wait_alu 0xfffe
	s_cbranch_vccnz .LBB39_5
; %bb.16:                               ;   in Loop: Header=BB39_6 Depth=1
	s_load_b32 s2, s[30:31], 0xc
	v_dual_mov_b32 v65, 0 :: v_dual_mov_b32 v64, 0
	s_wait_kmcnt 0x0
	s_mul_u64 s[70:71], s[2:3], s[34:35]
	s_wait_alu 0xfffe
	s_add_co_i32 s70, s2, s71
	s_wait_alu 0xfffe
	s_lshr_b32 s70, s70, s9
	s_wait_alu 0xfffe
	s_cmp_ge_i32 s70, s5
	s_cbranch_scc1 .LBB39_5
; %bb.17:                               ;   in Loop: Header=BB39_6 Depth=1
	v_mad_co_u64_u32 v[64:65], null, s70, s20, v[48:49]
	s_mul_i32 s70, s70, s10
	s_wait_alu 0xfffe
	s_sub_co_i32 s2, s2, s70
	s_wait_alu 0xfffe
	s_mul_i32 s2, s2, s17
	s_wait_alu 0xfffe
	v_lshl_add_u32 v64, v64, 1, s2
	s_delay_alu instid0(VALU_DEP_1) | instskip(NEXT) | instid1(VALU_DEP_1)
	v_ashrrev_i32_e32 v65, 31, v64
	v_lshlrev_b64_e32 v[64:65], 2, v[64:65]
	s_delay_alu instid0(VALU_DEP_1) | instskip(SKIP_1) | instid1(VALU_DEP_2)
	v_add_co_u32 v64, vcc_lo, s14, v64
	s_wait_alu 0xfffd
	v_add_co_ci_u32_e64 v65, null, s15, v65, vcc_lo
	global_load_b64 v[64:65], v[64:65], off
	s_wait_loadcnt 0x0
	v_cvt_f16_f32_e32 v64, v64
	v_cvt_f16_f32_e32 v65, v65
	s_branch .LBB39_5
.LBB39_18:
	s_or_b32 exec_lo, exec_lo, s69
.LBB39_19:
	s_delay_alu instid0(SALU_CYCLE_1)
	s_or_b32 exec_lo, exec_lo, s37
	s_load_b64 s[0:1], s[0:1], 0x18
	v_lshlrev_b32_e32 v16, 1, v51
	v_lshl_add_u32 v17, v53, 2, 0
	v_mul_u32_u24_e32 v18, 0x290, v54
	s_barrier_signal -1
	s_delay_alu instid0(VALU_DEP_3)
	v_and_b32_e32 v16, 0x7e0, v16
	s_barrier_wait -1
	global_inv scope:SCOPE_SE
	s_mov_b32 s2, exec_lo
	v_add3_u32 v16, v17, v18, v16
	ds_store_2addr_b32 v16, v8, v9 offset1:1
	ds_store_2addr_b32 v16, v10, v11 offset0:2 offset1:3
	ds_store_2addr_b32 v16, v12, v13 offset0:4 offset1:5
	;; [unrolled: 1-line block ×7, first 2 shown]
	s_wait_loadcnt_dscnt 0x0
	s_barrier_signal -1
	s_barrier_wait -1
	global_inv scope:SCOPE_SE
	v_cmpx_gt_u32_e32 4, v52
	s_cbranch_execz .LBB39_23
; %bb.20:
	v_or_b32_e32 v0, s36, v52
	s_cmp_gt_i32 s6, 0
	s_cselect_b32 s2, -1, 0
	s_delay_alu instid0(VALU_DEP_1)
	v_cmp_gt_i32_e32 vcc_lo, s19, v0
	s_wait_alu 0xfffe
	s_and_b32 s2, s2, vcc_lo
	s_wait_alu 0xfffe
	s_and_b32 exec_lo, exec_lo, s2
	s_cbranch_execz .LBB39_23
; %bb.21:
	v_lshlrev_b32_e32 v0, 2, v0
	s_lshl_b64 s[2:3], s[24:25], 2
	s_wait_kmcnt 0x0
	s_wait_alu 0xfffe
	s_add_nc_u64 s[0:1], s[0:1], s[2:3]
	global_load_b32 v1, v0, s[0:1]
	s_wait_loadcnt 0x0
	v_mul_hi_u32 v0, v1, s11
	s_delay_alu instid0(VALU_DEP_1) | instskip(NEXT) | instid1(VALU_DEP_1)
	v_add_nc_u32_e32 v0, v1, v0
	v_lshrrev_b32_e32 v0, s22, v0
	s_delay_alu instid0(VALU_DEP_1)
	v_cmp_gt_i32_e32 vcc_lo, s5, v0
	s_and_b32 exec_lo, exec_lo, vcc_lo
	s_cbranch_execz .LBB39_23
; %bb.22:
	v_mul_lo_u32 v7, v0, s23
	v_lshlrev_b32_e32 v2, 2, v51
	v_mul_u32_u24_e32 v3, 0x290, v52
	v_mul_lo_u32 v0, v0, s21
	s_delay_alu instid0(VALU_DEP_4) | instskip(NEXT) | instid1(VALU_DEP_1)
	v_sub_nc_u32_e32 v1, v1, v7
	v_mul_lo_u32 v7, v1, s18
	v_mov_b32_e32 v1, 0
	v_add3_u32 v6, 0, v2, v3
	ds_load_2addr_b32 v[2:3], v6 offset1:32
	ds_load_2addr_b32 v[4:5], v6 offset0:64 offset1:96
	ds_load_b32 v6, v6 offset:512
	s_wait_dscnt 0x2
	v_add_f32_e32 v2, 0, v2
	s_delay_alu instid0(VALU_DEP_1) | instskip(SKIP_1) | instid1(VALU_DEP_1)
	v_add_f32_e32 v2, v2, v3
	s_wait_dscnt 0x1
	v_dual_add_f32 v2, v2, v4 :: v_dual_add_nc_u32 v3, s33, v51
	s_delay_alu instid0(VALU_DEP_1) | instskip(NEXT) | instid1(VALU_DEP_2)
	v_add3_u32 v0, v3, v0, v7
	v_add_f32_e32 v2, v2, v5
	s_delay_alu instid0(VALU_DEP_2) | instskip(SKIP_1) | instid1(VALU_DEP_2)
	v_lshlrev_b64_e32 v[0:1], 2, v[0:1]
	s_wait_dscnt 0x0
	v_add_f32_e32 v2, v2, v6
	s_delay_alu instid0(VALU_DEP_2) | instskip(SKIP_1) | instid1(VALU_DEP_3)
	v_add_co_u32 v0, vcc_lo, s26, v0
	s_wait_alu 0xfffd
	v_add_co_ci_u32_e64 v1, null, s27, v1, vcc_lo
	global_store_b32 v[0:1], v2, off
.LBB39_23:
	s_endpgm
	.section	.rodata,"a",@progbits
	.p2align	6, 0x0
	.amdhsa_kernel _ZL13mul_mat_f_idsI7__half2Li32ELi4ELi5EEvPKT_PKfPKiS7_S7_Pfiiiiiiiiiiiiii15HIP_vector_typeIjLj3EESA_
		.amdhsa_group_segment_fixed_size 0
		.amdhsa_private_segment_fixed_size 0
		.amdhsa_kernarg_size 128
		.amdhsa_user_sgpr_count 2
		.amdhsa_user_sgpr_dispatch_ptr 0
		.amdhsa_user_sgpr_queue_ptr 0
		.amdhsa_user_sgpr_kernarg_segment_ptr 1
		.amdhsa_user_sgpr_dispatch_id 0
		.amdhsa_user_sgpr_private_segment_size 0
		.amdhsa_wavefront_size32 1
		.amdhsa_uses_dynamic_stack 0
		.amdhsa_enable_private_segment 0
		.amdhsa_system_sgpr_workgroup_id_x 1
		.amdhsa_system_sgpr_workgroup_id_y 1
		.amdhsa_system_sgpr_workgroup_id_z 1
		.amdhsa_system_sgpr_workgroup_info 0
		.amdhsa_system_vgpr_workitem_id 1
		.amdhsa_next_free_vgpr 74
		.amdhsa_next_free_sgpr 74
		.amdhsa_reserve_vcc 1
		.amdhsa_float_round_mode_32 0
		.amdhsa_float_round_mode_16_64 0
		.amdhsa_float_denorm_mode_32 3
		.amdhsa_float_denorm_mode_16_64 3
		.amdhsa_fp16_overflow 0
		.amdhsa_workgroup_processor_mode 1
		.amdhsa_memory_ordered 1
		.amdhsa_forward_progress 1
		.amdhsa_inst_pref_size 32
		.amdhsa_round_robin_scheduling 0
		.amdhsa_exception_fp_ieee_invalid_op 0
		.amdhsa_exception_fp_denorm_src 0
		.amdhsa_exception_fp_ieee_div_zero 0
		.amdhsa_exception_fp_ieee_overflow 0
		.amdhsa_exception_fp_ieee_underflow 0
		.amdhsa_exception_fp_ieee_inexact 0
		.amdhsa_exception_int_div_zero 0
	.end_amdhsa_kernel
	.section	.text._ZL13mul_mat_f_idsI7__half2Li32ELi4ELi5EEvPKT_PKfPKiS7_S7_Pfiiiiiiiiiiiiii15HIP_vector_typeIjLj3EESA_,"axG",@progbits,_ZL13mul_mat_f_idsI7__half2Li32ELi4ELi5EEvPKT_PKfPKiS7_S7_Pfiiiiiiiiiiiiii15HIP_vector_typeIjLj3EESA_,comdat
.Lfunc_end39:
	.size	_ZL13mul_mat_f_idsI7__half2Li32ELi4ELi5EEvPKT_PKfPKiS7_S7_Pfiiiiiiiiiiiiii15HIP_vector_typeIjLj3EESA_, .Lfunc_end39-_ZL13mul_mat_f_idsI7__half2Li32ELi4ELi5EEvPKT_PKfPKiS7_S7_Pfiiiiiiiiiiiiii15HIP_vector_typeIjLj3EESA_
                                        ; -- End function
	.set _ZL13mul_mat_f_idsI7__half2Li32ELi4ELi5EEvPKT_PKfPKiS7_S7_Pfiiiiiiiiiiiiii15HIP_vector_typeIjLj3EESA_.num_vgpr, 74
	.set _ZL13mul_mat_f_idsI7__half2Li32ELi4ELi5EEvPKT_PKfPKiS7_S7_Pfiiiiiiiiiiiiii15HIP_vector_typeIjLj3EESA_.num_agpr, 0
	.set _ZL13mul_mat_f_idsI7__half2Li32ELi4ELi5EEvPKT_PKfPKiS7_S7_Pfiiiiiiiiiiiiii15HIP_vector_typeIjLj3EESA_.numbered_sgpr, 74
	.set _ZL13mul_mat_f_idsI7__half2Li32ELi4ELi5EEvPKT_PKfPKiS7_S7_Pfiiiiiiiiiiiiii15HIP_vector_typeIjLj3EESA_.num_named_barrier, 0
	.set _ZL13mul_mat_f_idsI7__half2Li32ELi4ELi5EEvPKT_PKfPKiS7_S7_Pfiiiiiiiiiiiiii15HIP_vector_typeIjLj3EESA_.private_seg_size, 0
	.set _ZL13mul_mat_f_idsI7__half2Li32ELi4ELi5EEvPKT_PKfPKiS7_S7_Pfiiiiiiiiiiiiii15HIP_vector_typeIjLj3EESA_.uses_vcc, 1
	.set _ZL13mul_mat_f_idsI7__half2Li32ELi4ELi5EEvPKT_PKfPKiS7_S7_Pfiiiiiiiiiiiiii15HIP_vector_typeIjLj3EESA_.uses_flat_scratch, 0
	.set _ZL13mul_mat_f_idsI7__half2Li32ELi4ELi5EEvPKT_PKfPKiS7_S7_Pfiiiiiiiiiiiiii15HIP_vector_typeIjLj3EESA_.has_dyn_sized_stack, 0
	.set _ZL13mul_mat_f_idsI7__half2Li32ELi4ELi5EEvPKT_PKfPKiS7_S7_Pfiiiiiiiiiiiiii15HIP_vector_typeIjLj3EESA_.has_recursion, 0
	.set _ZL13mul_mat_f_idsI7__half2Li32ELi4ELi5EEvPKT_PKfPKiS7_S7_Pfiiiiiiiiiiiiii15HIP_vector_typeIjLj3EESA_.has_indirect_call, 0
	.section	.AMDGPU.csdata,"",@progbits
; Kernel info:
; codeLenInByte = 4048
; TotalNumSgprs: 76
; NumVgprs: 74
; ScratchSize: 0
; MemoryBound: 0
; FloatMode: 240
; IeeeMode: 1
; LDSByteSize: 0 bytes/workgroup (compile time only)
; SGPRBlocks: 0
; VGPRBlocks: 9
; NumSGPRsForWavesPerEU: 76
; NumVGPRsForWavesPerEU: 74
; Occupancy: 16
; WaveLimiterHint : 1
; COMPUTE_PGM_RSRC2:SCRATCH_EN: 0
; COMPUTE_PGM_RSRC2:USER_SGPR: 2
; COMPUTE_PGM_RSRC2:TRAP_HANDLER: 0
; COMPUTE_PGM_RSRC2:TGID_X_EN: 1
; COMPUTE_PGM_RSRC2:TGID_Y_EN: 1
; COMPUTE_PGM_RSRC2:TGID_Z_EN: 1
; COMPUTE_PGM_RSRC2:TIDIG_COMP_CNT: 1
	.section	.text._ZL9mul_mat_fI7__half2Li32ELi4ELi5ELb1EEvPKT_PKfPKiPfiiiiiiiiiiiiiiii,"axG",@progbits,_ZL9mul_mat_fI7__half2Li32ELi4ELi5ELb1EEvPKT_PKfPKiPfiiiiiiiiiiiiiiii,comdat
	.globl	_ZL9mul_mat_fI7__half2Li32ELi4ELi5ELb1EEvPKT_PKfPKiPfiiiiiiiiiiiiiiii ; -- Begin function _ZL9mul_mat_fI7__half2Li32ELi4ELi5ELb1EEvPKT_PKfPKiPfiiiiiiiiiiiiiiii
	.p2align	8
	.type	_ZL9mul_mat_fI7__half2Li32ELi4ELi5ELb1EEvPKT_PKfPKiPfiiiiiiiiiiiiiiii,@function
_ZL9mul_mat_fI7__half2Li32ELi4ELi5ELb1EEvPKT_PKfPKiPfiiiiiiiiiiiiiiii: ; @_ZL9mul_mat_fI7__half2Li32ELi4ELi5ELb1EEvPKT_PKfPKiPfiiiiiiiiiiiiiiii
; %bb.0:
	s_load_b256 s[4:11], s[0:1], 0x20
	s_mov_b32 s29, 0
	v_bfe_u32 v55, v0, 10, 10
	v_and_b32_e32 v48, 0x3ff, v0
	s_wait_kmcnt 0x0
	s_add_co_i32 s2, s5, 3
	s_delay_alu instid0(SALU_CYCLE_1) | instskip(NEXT) | instid1(SALU_CYCLE_1)
	s_ashr_i32 s3, s2, 31
	s_lshr_b32 s3, s3, 30
	s_delay_alu instid0(SALU_CYCLE_1) | instskip(NEXT) | instid1(SALU_CYCLE_1)
	s_add_co_i32 s2, s2, s3
	s_ashr_i32 s2, s2, 2
	s_delay_alu instid0(SALU_CYCLE_1) | instskip(SKIP_1) | instid1(SALU_CYCLE_2)
	s_cvt_f32_u32 s3, s2
	s_sub_co_i32 s13, 0, s2
	v_rcp_iflag_f32_e32 v1, s3
	s_load_b32 s3, s[0:1], 0x64
	s_delay_alu instid0(TRANS32_DEP_1) | instskip(SKIP_1) | instid1(SALU_CYCLE_3)
	v_readfirstlane_b32 s12, v1
	s_mul_f32 s12, s12, 0x4f7ffffe
	s_cvt_u32_f32 s12, s12
	s_delay_alu instid0(SALU_CYCLE_3) | instskip(NEXT) | instid1(SALU_CYCLE_1)
	s_mul_i32 s13, s13, s12
	s_mul_hi_u32 s13, s12, s13
	s_delay_alu instid0(SALU_CYCLE_1) | instskip(SKIP_4) | instid1(SALU_CYCLE_1)
	s_add_co_i32 s12, s12, s13
	s_wait_kmcnt 0x0
	s_mul_hi_u32 s16, s3, s12
	s_load_b128 s[12:15], s[0:1], 0x44
	s_mul_i32 s17, s16, s2
	s_sub_co_i32 s3, s3, s17
	s_add_co_i32 s17, s16, 1
	s_wait_alu 0xfffe
	s_sub_co_i32 s18, s3, s2
	s_cmp_ge_u32 s3, s2
	s_cselect_b32 s16, s17, s16
	s_cselect_b32 s3, s18, s3
	s_add_co_i32 s17, s16, 1
	s_wait_alu 0xfffe
	s_cmp_ge_u32 s3, s2
	s_mov_b32 s3, s29
	s_cselect_b32 s18, s17, s16
	s_lshr_b32 s24, ttmp7, 16
	s_cvt_f32_u32 s2, s18
	s_wait_alu 0xfffe
	s_delay_alu instid0(SALU_CYCLE_2) | instskip(SKIP_2) | instid1(SALU_CYCLE_1)
	v_rcp_iflag_f32_e32 v1, s2
	s_wait_kmcnt 0x0
	s_abs_i32 s33, s15
	s_cvt_f32_u32 s2, s33
	s_wait_alu 0xfffe
	s_delay_alu instid0(SALU_CYCLE_2) | instskip(NEXT) | instid1(TRANS32_DEP_2)
	v_rcp_iflag_f32_e32 v2, s2
	v_readfirstlane_b32 s2, v1
	s_mul_f32 s2, s2, 0x4f7ffffe
	s_delay_alu instid0(TRANS32_DEP_1) | instskip(SKIP_1) | instid1(SALU_CYCLE_1)
	v_readfirstlane_b32 s16, v2
	s_wait_alu 0xfffe
	s_cvt_u32_f32 s17, s2
	s_sub_co_i32 s2, 0, s18
	s_mul_f32 s16, s16, 0x4f7ffffe
	s_wait_alu 0xfffe
	s_mul_i32 s19, s2, s17
	s_and_b32 s2, ttmp7, 0xffff
	s_mul_hi_u32 s20, s17, s19
	s_cvt_u32_f32 s19, s16
	s_add_co_i32 s28, s17, s20
	s_sub_co_i32 s20, 0, s33
	s_wait_alu 0xfffe
	s_mul_u64 s[16:17], s[2:3], s[28:29]
	s_mul_i32 s20, s20, s19
	s_mov_b32 s16, exec_lo
	s_mul_hi_u32 s3, s19, s20
	v_cmpx_eq_u32_e32 0, v48
; %bb.1:
	v_lshl_add_u32 v1, v55, 2, 0x100
	v_mov_b32_e32 v2, -1
	ds_store_b32 v1, v2
; %bb.2:
	s_or_b32 exec_lo, exec_lo, s16
	s_mul_i32 s16, s17, s18
	s_load_b96 s[20:22], s[0:1], 0x54
	s_add_co_i32 s30, s19, s3
	s_sub_co_i32 s3, s2, s16
	s_abs_i32 s28, s24
	s_add_co_i32 s16, s17, 1
	s_wait_alu 0xfffe
	s_sub_co_i32 s19, s3, s18
	s_cmp_ge_u32 s3, s18
	v_mov_b32_e32 v3, 0
	s_cselect_b32 s16, s16, s17
	s_cselect_b32 s3, s19, s3
	s_add_co_i32 s17, s16, 1
	s_wait_alu 0xfffe
	s_cmp_ge_u32 s3, s18
	s_cselect_b32 s3, s17, s16
	s_add_nc_u64 s[16:17], s[0:1], 0x60
	s_wait_alu 0xfffe
	s_lshl_b32 s26, s3, 2
	s_mul_i32 s3, s3, s18
	v_add_nc_u32_e32 v1, s26, v55
	s_wait_alu 0xfffe
	s_sub_co_i32 s34, s2, s3
	s_ashr_i32 s27, s26, 31
	s_mov_b32 s3, exec_lo
	v_cmpx_gt_i32_e64 s5, v1
	s_cbranch_execz .LBB40_10
; %bb.3:
	v_mov_b32_e32 v3, 0
	s_mov_b32 s18, exec_lo
	v_cmpx_gt_i32_e64 s6, v48
	s_cbranch_execz .LBB40_9
; %bb.4:
	s_load_b64 s[36:37], s[0:1], 0x10
	v_mul_lo_u32 v1, v55, s11
	s_ashr_i32 s39, s11, 31
	s_mov_b32 s38, s11
	v_lshl_add_u32 v4, v55, 2, 0x100
	s_mul_u64 s[38:39], s[26:27], s[38:39]
	v_mov_b32_e32 v3, 0
	s_lshl_b64 s[38:39], s[38:39], 2
	v_mov_b32_e32 v7, v48
	v_ashrrev_i32_e32 v2, 31, v1
	s_lshl_b32 s11, s10, 5
	s_delay_alu instid0(VALU_DEP_1)
	v_lshlrev_b64_e32 v[5:6], 2, v[1:2]
	v_mul_lo_u32 v1, v48, s10
	s_mov_b32 s10, 0
	s_wait_kmcnt 0x0
	s_add_nc_u64 s[36:37], s[36:37], s[38:39]
	s_delay_alu instid0(VALU_DEP_2) | instid1(SALU_CYCLE_1)
	v_add_co_u32 v5, vcc_lo, s36, v5
	s_delay_alu instid0(VALU_DEP_1)
	v_add_co_ci_u32_e64 v6, null, s37, v6, vcc_lo
	s_branch .LBB40_6
.LBB40_5:                               ;   in Loop: Header=BB40_6 Depth=1
	s_or_b32 exec_lo, exec_lo, s19
	v_add_nc_u32_e32 v7, 32, v7
	s_xor_b32 s19, vcc_lo, -1
	s_wait_alu 0xfffe
	v_add_nc_u32_e32 v1, s11, v1
	s_delay_alu instid0(VALU_DEP_2)
	v_cmp_le_i32_e64 s2, s6, v7
	s_or_b32 s2, s19, s2
	s_wait_alu 0xfffe
	s_and_b32 s2, exec_lo, s2
	s_wait_alu 0xfffe
	s_or_b32 s10, s2, s10
	s_wait_alu 0xfffe
	s_and_not1_b32 exec_lo, exec_lo, s10
	s_cbranch_execz .LBB40_8
.LBB40_6:                               ; =>This Inner Loop Header: Depth=1
	s_delay_alu instid0(VALU_DEP_3) | instskip(SKIP_1) | instid1(VALU_DEP_1)
	v_ashrrev_i32_e32 v2, 31, v1
	s_mov_b32 s19, exec_lo
	v_lshlrev_b64_e32 v[8:9], 2, v[1:2]
	s_delay_alu instid0(VALU_DEP_1) | instskip(SKIP_1) | instid1(VALU_DEP_2)
	v_add_co_u32 v8, vcc_lo, v5, v8
	s_wait_alu 0xfffd
	v_add_co_ci_u32_e64 v9, null, v6, v9, vcc_lo
	global_load_b32 v2, v[8:9], off
	s_wait_loadcnt 0x0
	v_cmp_ne_u32_e32 vcc_lo, s34, v2
	v_cmpx_eq_u32_e64 s34, v2
	s_cbranch_execz .LBB40_5
; %bb.7:                                ;   in Loop: Header=BB40_6 Depth=1
	v_mov_b32_e32 v3, 1
	ds_store_b32 v4, v7
	s_branch .LBB40_5
.LBB40_8:
	s_or_b32 exec_lo, exec_lo, s10
.LBB40_9:
	s_delay_alu instid0(SALU_CYCLE_1)
	s_or_b32 exec_lo, exec_lo, s18
.LBB40_10:
	s_wait_alu 0xfffe
	s_or_b32 exec_lo, exec_lo, s3
	v_or_b32_dpp v1, v3, v3 row_shl:1 row_mask:0xf bank_mask:0xf bound_ctrl:1
	s_load_b64 s[10:11], s[16:17], 0xc
	s_mov_b32 s31, s29
	s_delay_alu instid0(VALU_DEP_1) | instskip(NEXT) | instid1(VALU_DEP_1)
	v_or_b32_dpp v1, v1, v1 row_shl:2 row_mask:0xf bank_mask:0xf bound_ctrl:1
	v_or_b32_dpp v1, v1, v1 row_shl:4 row_mask:0xf bank_mask:0xf bound_ctrl:1
	s_delay_alu instid0(VALU_DEP_1) | instskip(NEXT) | instid1(VALU_DEP_1)
	v_or_b32_dpp v1, v1, v1 row_shl:8 row_mask:0xf bank_mask:0xf bound_ctrl:1
	v_mov_b32_dpp v1, v1 row_share:0 row_mask:0xf bank_mask:0xf bound_ctrl:1
	s_wait_kmcnt 0x0
	s_lshr_b32 s3, s10, 16
	s_and_b32 s2, s10, 0xffff
	s_and_b32 s10, s11, 0xffff
	s_wait_alu 0xfffe
	s_mul_i32 s6, s3, s2
	v_permlanex16_b32 v2, v1, 0, 0 op_sel:[0,1]
	s_wait_alu 0xfffe
	s_bfe_i32 s6, s6, 0x180000
	s_wait_alu 0xfffe
	s_mul_i32 s6, s6, s10
	s_wait_alu 0xfffe
	s_add_co_i32 s6, s6, 31
	v_or_b32_e32 v2, v2, v1
	s_wait_alu 0xfffe
	s_and_not1_b32 s6, s6, 31
	s_wait_alu 0xfffe
	s_cmp_lg_u32 s6, 32
	s_cbranch_scc0 .LBB40_19
; %bb.11:
	v_bfe_u32 v0, v0, 20, 10
	s_delay_alu instid0(VALU_DEP_1) | instskip(NEXT) | instid1(VALU_DEP_1)
	v_mad_u32_u24 v0, v0, s3, v55
	v_mad_co_u64_u32 v[0:1], null, v0, s2, v[48:49]
	v_mbcnt_lo_u32_b32 v1, -1, 0
	s_mov_b32 s2, exec_lo
	s_delay_alu instid0(VALU_DEP_2) | instskip(NEXT) | instid1(VALU_DEP_1)
	v_lshrrev_b32_e32 v3, 5, v0
	v_or_b32_e32 v3, v1, v3
	s_delay_alu instid0(VALU_DEP_1)
	v_cmpx_eq_u32_e32 0, v3
; %bb.12:
	v_mov_b32_e32 v3, 0
	ds_store_b32 v3, v2
; %bb.13:
	s_wait_alu 0xfffe
	s_or_b32 exec_lo, exec_lo, s2
	v_cmp_eq_u32_e32 vcc_lo, 0, v1
	v_cmp_lt_u32_e64 s2, 31, v0
	s_mov_b32 s3, 0
	s_wait_dscnt 0x0
	s_barrier_signal -1
	s_barrier_wait -1
	s_and_b32 s6, s2, vcc_lo
	global_inv scope:SCOPE_SE
	s_wait_alu 0xfffe
	s_and_saveexec_b32 s2, s6
	s_cbranch_execz .LBB40_18
; %bb.14:
	s_mov_b32 s6, exec_lo
.LBB40_15:                              ; =>This Inner Loop Header: Depth=1
	s_wait_alu 0xfffe
	s_ctz_i32_b32 s10, s6
	s_wait_alu 0xfffe
	v_readlane_b32 s11, v2, s10
	s_lshl_b32 s10, 1, s10
	s_wait_alu 0xfffe
	s_and_not1_b32 s6, s6, s10
	s_or_b32 s3, s3, s11
	s_wait_alu 0xfffe
	s_cmp_lg_u32 s6, 0
	s_cbranch_scc1 .LBB40_15
; %bb.16:
	v_mbcnt_lo_u32_b32 v0, exec_lo, 0
	s_mov_b32 s6, exec_lo
	s_delay_alu instid0(VALU_DEP_1)
	v_cmpx_eq_u32_e32 0, v0
	s_wait_alu 0xfffe
	s_xor_b32 s6, exec_lo, s6
; %bb.17:
	v_dual_mov_b32 v0, 0 :: v_dual_mov_b32 v1, s3
	ds_or_b32 v0, v1
.LBB40_18:
	s_wait_alu 0xfffe
	s_or_b32 exec_lo, exec_lo, s2
	v_mov_b32_e32 v0, 0
	s_wait_loadcnt_dscnt 0x0
	s_barrier_signal -1
	s_barrier_wait -1
	global_inv scope:SCOPE_SE
	ds_load_b32 v2, v0
	s_wait_loadcnt_dscnt 0x0
	s_barrier_signal -1
	s_barrier_wait -1
	global_inv scope:SCOPE_SE
.LBB40_19:
	s_clause 0x1
	s_load_b128 s[16:19], s[0:1], 0x0
	s_load_b64 s[2:3], s[0:1], 0x18
	s_mul_u64 s[0:1], s[28:29], s[30:31]
	s_ashr_i32 s0, s15, 31
	s_mov_b32 s25, 0
	s_mov_b32 s6, exec_lo
	v_cmpx_ne_u32_e32 0, v2
	s_cbranch_execz .LBB40_45
; %bb.20:
	v_lshlrev_b32_e32 v56, 5, v55
	v_and_b32_e32 v57, 15, v48
	s_mov_b32 s6, exec_lo
	s_delay_alu instid0(VALU_DEP_2) | instskip(NEXT) | instid1(VALU_DEP_1)
	v_add_nc_u32_e32 v59, v56, v48
	v_cmpx_le_i32_e64 s4, v59
	s_wait_alu 0xfffe
	s_xor_b32 s6, exec_lo, s6
; %bb.21:
	v_and_b32_e32 v57, 15, v48
                                        ; implicit-def: $vgpr59
; %bb.22:
	s_wait_alu 0xfffe
	s_or_saveexec_b32 s23, s6
	v_dual_mov_b32 v15, 0 :: v_dual_lshlrev_b32 v58, 1, v48
	s_lshl_b32 s15, ttmp9, 5
	s_delay_alu instid0(VALU_DEP_1)
	v_dual_mov_b32 v14, v15 :: v_dual_mov_b32 v13, v15
	v_dual_mov_b32 v12, v15 :: v_dual_mov_b32 v11, v15
	;; [unrolled: 1-line block ×7, first 2 shown]
	v_mov_b32_e32 v0, v15
	s_xor_b32 exec_lo, exec_lo, s23
	s_cbranch_execz .LBB40_42
; %bb.23:
	s_mul_i32 s6, s1, s33
	s_add_co_i32 s11, s1, 1
	s_wait_alu 0xfffe
	s_sub_co_i32 s6, s28, s6
	s_mov_b32 s10, s20
	s_wait_alu 0xfffe
	s_sub_co_i32 s29, s6, s33
	s_cmp_ge_u32 s6, s33
	s_mul_i32 s28, s34, s12
	s_cselect_b32 s1, s11, s1
	s_cselect_b32 s6, s29, s6
	s_add_co_i32 s11, s1, 1
	s_wait_alu 0xfffe
	s_cmp_ge_u32 s6, s33
	s_mul_i32 s30, s7, s15
	s_cselect_b32 s1, s11, s1
	s_ashr_i32 s11, s20, 31
	s_xor_b32 s1, s1, s0
	s_ashr_i32 s29, s28, 31
	s_sub_co_i32 s0, s1, s0
	s_mov_b32 s34, s21
	s_ashr_i32 s1, s0, 31
	s_mov_b32 s36, s8
	s_wait_alu 0xfffe
	s_mul_u64 s[0:1], s[0:1], s[10:11]
	s_ashr_i32 s31, s30, 31
	s_lshl_b64 s[62:63], s[0:1], 2
	s_ashr_i32 s35, s21, 31
	s_ashr_i32 s37, s8, 31
	s_lshl_b64 s[60:61], s[28:29], 2
	s_wait_kmcnt 0x0
	s_add_nc_u64 s[0:1], s[16:17], s[62:63]
	s_lshl_b64 s[64:65], s[30:31], 2
	s_wait_alu 0xfffe
	s_mul_u64 s[20:21], s[36:37], s[26:27]
	s_add_nc_u64 s[0:1], s[0:1], s[60:61]
	s_mul_u64 s[28:29], s[34:35], s[24:25]
	s_add_nc_u64 s[10:11], s[0:1], s[64:65]
	s_lshl_b64 s[20:21], s[20:21], 3
	s_lshl_b64 s[0:1], s[28:29], 2
	s_movk_i32 s6, 0x900
	s_cmp_lt_i32 s26, s5
	s_wait_alu 0xfffe
	v_mad_u32_u24 v0, v55, s6, 0x100
	s_add_nc_u64 s[18:19], s[18:19], s[0:1]
	s_cselect_b32 s1, -1, 0
	s_or_b32 s0, s26, 1
	v_mul_u32_u24_e32 v1, 0x90, v57
	v_mov_b32_e32 v62, 0
	v_and_b32_e32 v2, 0x3f0, v48
	s_cmp_lt_i32 s0, s5
	s_add_nc_u64 s[62:63], s[62:63], s[64:65]
	s_cselect_b32 s12, -1, 0
	s_or_b32 s0, s26, 2
	v_lshl_add_u32 v60, v48, 2, v0
	v_add3_u32 v61, v0, v1, v2
	v_dual_mov_b32 v63, 0x100 :: v_dual_lshlrev_b32 v0, 2, v59
	s_cmp_lt_i32 s0, s5
	s_add_nc_u64 s[60:61], s[62:63], s[60:61]
	s_add_nc_u64 s[18:19], s[18:19], s[20:21]
	s_cselect_b32 s20, -1, 0
	s_or_b32 s0, s26, 3
	s_add_nc_u64 s[16:17], s[16:17], s[60:61]
	s_lshl_b32 s21, s8, 2
	s_cmp_lt_i32 s0, s5
	v_add_co_u32 v50, s0, s16, v0
	v_lshl_add_u32 v49, v55, 6, v58
	v_add_co_ci_u32_e64 v51, null, s17, 0, s0
	v_dual_mov_b32 v0, 0 :: v_dual_mov_b32 v3, v62
	v_dual_mov_b32 v1, v62 :: v_dual_mov_b32 v2, v62
	;; [unrolled: 1-line block ×8, first 2 shown]
	s_cselect_b32 s28, -1, 0
	s_ashr_i32 s67, s7, 31
	s_mov_b32 s66, s7
	s_add_co_i32 s29, s7, s7
	s_mul_i32 s30, s7, 3
	s_lshl_b32 s31, s7, 2
	s_mul_i32 s33, s7, 5
	s_mul_i32 s34, s7, 6
	;; [unrolled: 1-line block ×3, first 2 shown]
	s_lshl_b32 s36, s7, 3
	s_mul_i32 s37, s7, 9
	s_mul_i32 s38, s7, 10
	s_mul_i32 s39, s7, 11
	s_mul_i32 s40, s7, 12
	s_mul_i32 s41, s7, 13
	s_mul_i32 s42, s7, 14
	s_mul_i32 s43, s7, 15
	s_lshl_b32 s44, s7, 4
	s_mul_i32 s45, s7, 17
	s_mul_i32 s46, s7, 18
	;; [unrolled: 1-line block ×15, first 2 shown]
	s_lshl_b64 s[6:7], s[66:67], 2
	s_mul_i32 s16, s8, 6
	s_lshl_b32 s17, s8, 1
	s_mov_b32 s8, 0
	s_branch .LBB40_26
.LBB40_24:                              ;   in Loop: Header=BB40_26 Depth=1
	v_mul_lo_u32 v52, v52, s13
	s_delay_alu instid0(VALU_DEP_1) | instskip(NEXT) | instid1(VALU_DEP_1)
	v_add3_u32 v52, v52, s16, v49
	v_ashrrev_i32_e32 v53, 31, v52
	s_delay_alu instid0(VALU_DEP_1) | instskip(NEXT) | instid1(VALU_DEP_1)
	v_lshlrev_b64_e32 v[52:53], 2, v[52:53]
	v_add_co_u32 v52, vcc_lo, s18, v52
	s_wait_alu 0xfffd
	s_delay_alu instid0(VALU_DEP_2)
	v_add_co_ci_u32_e64 v53, null, s19, v53, vcc_lo
	global_load_b64 v[52:53], v[52:53], off
.LBB40_25:                              ;   in Loop: Header=BB40_26 Depth=1
	s_wait_loadcnt 0x0
	s_delay_alu instid0(VALU_DEP_1) | instskip(NEXT) | instid1(VALU_DEP_2)
	v_cvt_f16_f32_e32 v52, v52
	v_cvt_f16_f32_e32 v53, v53
	v_add_nc_u32_e32 v54, 0x400, v60
	v_add_nc_u32_e32 v64, 0x600, v60
	ds_store_2addr_b32 v60, v62, v62 offset0:196 offset1:232
	v_add_nc_u32_e32 v59, 0xa0, v59
	v_pack_b32_f16 v52, v52, v53
	ds_store_2addr_b32 v54, v62, v62 offset0:12 offset1:48
	ds_store_2addr_b32 v54, v62, v62 offset0:84 offset1:120
	;; [unrolled: 1-line block ×5, first 2 shown]
	ds_store_b32 v60, v62 offset:2224
	ds_load_b128 v[64:67], v61 offset:64
	ds_load_b128 v[68:71], v61 offset:96
	;; [unrolled: 1-line block ×4, first 2 shown]
	v_add_co_u32 v50, s0, 0x280, v50
	v_cmp_le_i32_e32 vcc_lo, s4, v59
	v_add_nc_u32_e32 v49, 0x140, v49
	s_wait_alu 0xf1ff
	v_add_co_ci_u32_e64 v51, null, 0, v51, s0
	s_or_b32 s8, vcc_lo, s8
	s_wait_dscnt 0x3
	v_wmma_f32_16x16x16_f16 v[8:15], v[32:35], v[64:67], v[8:15]
	v_wmma_f32_16x16x16_f16 v[0:7], v[44:47], v[64:67], v[0:7]
	s_wait_dscnt 0x2
	s_delay_alu instid0(VALU_DEP_2) | instskip(NEXT) | instid1(VALU_DEP_2)
	v_wmma_f32_16x16x16_f16 v[8:15], v[28:31], v[68:71], v[8:15]
	v_wmma_f32_16x16x16_f16 v[0:7], v[40:43], v[68:71], v[0:7]
	s_wait_dscnt 0x1
	s_delay_alu instid0(VALU_DEP_2) | instskip(NEXT) | instid1(VALU_DEP_2)
	;; [unrolled: 4-line block ×3, first 2 shown]
	v_wmma_f32_16x16x16_f16 v[8:15], v[16:19], v[76:79], v[8:15]
	v_wmma_f32_16x16x16_f16 v[0:7], v[20:23], v[76:79], v[0:7]
	s_and_not1_b32 exec_lo, exec_lo, s8
	s_cbranch_execz .LBB40_41
.LBB40_26:                              ; =>This Inner Loop Header: Depth=1
	v_add_nc_u32_e32 v22, s31, v59
	v_add_nc_u32_e32 v16, s29, v59
	s_wait_alu 0xfffe
	v_add_co_u32 v20, vcc_lo, v50, s6
	v_add_nc_u32_e32 v18, s30, v59
	s_wait_alu 0xfffd
	v_add_co_ci_u32_e64 v21, null, s7, v51, vcc_lo
	v_ashrrev_i32_e32 v23, 31, v22
	v_ashrrev_i32_e32 v17, 31, v16
	v_add_nc_u32_e32 v24, s33, v59
	v_ashrrev_i32_e32 v19, 31, v18
	s_clause 0x1
	global_load_b32 v38, v[50:51], off
	global_load_b32 v39, v[20:21], off
	v_lshlrev_b64_e32 v[20:21], 2, v[22:23]
	v_add_nc_u32_e32 v22, s34, v59
	v_lshlrev_b64_e32 v[16:17], 2, v[16:17]
	v_add_nc_u32_e32 v26, s35, v59
	v_ashrrev_i32_e32 v25, 31, v24
	v_lshlrev_b64_e32 v[18:19], 2, v[18:19]
	v_add_nc_u32_e32 v28, s36, v59
	v_ashrrev_i32_e32 v23, 31, v22
	v_add_nc_u32_e32 v30, s37, v59
	v_ashrrev_i32_e32 v27, 31, v26
	v_add_co_u32 v16, vcc_lo, s10, v16
	v_lshlrev_b64_e32 v[24:25], 2, v[24:25]
	v_ashrrev_i32_e32 v29, 31, v28
	s_wait_alu 0xfffd
	v_add_co_ci_u32_e64 v17, null, s11, v17, vcc_lo
	v_add_co_u32 v18, vcc_lo, s10, v18
	v_lshlrev_b64_e32 v[22:23], 2, v[22:23]
	v_ashrrev_i32_e32 v31, 31, v30
	s_wait_alu 0xfffd
	v_add_co_ci_u32_e64 v19, null, s11, v19, vcc_lo
	v_add_co_u32 v20, vcc_lo, s10, v20
	v_lshlrev_b64_e32 v[26:27], 2, v[26:27]
	s_wait_alu 0xfffd
	v_add_co_ci_u32_e64 v21, null, s11, v21, vcc_lo
	v_add_co_u32 v24, vcc_lo, s10, v24
	v_lshlrev_b64_e32 v[28:29], 2, v[28:29]
	;; [unrolled: 4-line block ×3, first 2 shown]
	s_wait_alu 0xfffd
	v_add_co_ci_u32_e64 v23, null, s11, v23, vcc_lo
	v_add_co_u32 v26, vcc_lo, s10, v26
	v_add_nc_u32_e32 v32, s38, v59
	s_wait_alu 0xfffd
	v_add_co_ci_u32_e64 v27, null, s11, v27, vcc_lo
	v_add_co_u32 v28, vcc_lo, s10, v28
	v_add_nc_u32_e32 v34, s39, v59
	;; [unrolled: 4-line block ×3, first 2 shown]
	v_ashrrev_i32_e32 v33, 31, v32
	s_wait_alu 0xfffd
	v_add_co_ci_u32_e64 v31, null, s11, v31, vcc_lo
	s_clause 0x7
	global_load_b32 v40, v[16:17], off
	global_load_b32 v41, v[18:19], off
	;; [unrolled: 1-line block ×8, first 2 shown]
	v_add_nc_u32_e32 v18, s41, v59
	v_ashrrev_i32_e32 v35, 31, v34
	v_add_nc_u32_e32 v24, s42, v59
	v_ashrrev_i32_e32 v37, 31, v36
	v_lshlrev_b64_e32 v[32:33], 2, v[32:33]
	v_add_nc_u32_e32 v26, s43, v59
	v_ashrrev_i32_e32 v19, 31, v18
	v_lshlrev_b64_e32 v[16:17], 2, v[34:35]
	;; [unrolled: 3-line block ×3, first 2 shown]
	v_add_nc_u32_e32 v30, s45, v59
	v_ashrrev_i32_e32 v27, 31, v26
	v_add_co_u32 v20, vcc_lo, s10, v32
	v_lshlrev_b64_e32 v[18:19], 2, v[18:19]
	v_ashrrev_i32_e32 v29, 31, v28
	s_wait_alu 0xfffd
	v_add_co_ci_u32_e64 v21, null, s11, v33, vcc_lo
	v_add_co_u32 v16, vcc_lo, s10, v16
	v_lshlrev_b64_e32 v[24:25], 2, v[24:25]
	v_ashrrev_i32_e32 v31, 31, v30
	s_wait_alu 0xfffd
	v_add_co_ci_u32_e64 v17, null, s11, v17, vcc_lo
	v_add_co_u32 v22, vcc_lo, s10, v22
	v_lshlrev_b64_e32 v[26:27], 2, v[26:27]
	s_wait_alu 0xfffd
	v_add_co_ci_u32_e64 v23, null, s11, v23, vcc_lo
	v_add_co_u32 v18, vcc_lo, s10, v18
	v_lshlrev_b64_e32 v[28:29], 2, v[28:29]
	;; [unrolled: 4-line block ×3, first 2 shown]
	s_wait_alu 0xfffd
	v_add_co_ci_u32_e64 v25, null, s11, v25, vcc_lo
	v_add_co_u32 v26, vcc_lo, s10, v26
	v_add_nc_u32_e32 v32, s46, v59
	s_wait_alu 0xfffd
	v_add_co_ci_u32_e64 v27, null, s11, v27, vcc_lo
	v_add_co_u32 v28, vcc_lo, s10, v28
	v_add_nc_u32_e32 v34, s47, v59
	;; [unrolled: 4-line block ×3, first 2 shown]
	v_ashrrev_i32_e32 v33, 31, v32
	s_wait_alu 0xfffd
	v_add_co_ci_u32_e64 v31, null, s11, v31, vcc_lo
	s_clause 0x7
	global_load_b32 v52, v[20:21], off
	global_load_b32 v53, v[16:17], off
	;; [unrolled: 1-line block ×8, first 2 shown]
	v_add_nc_u32_e32 v18, s49, v59
	v_ashrrev_i32_e32 v35, 31, v34
	v_add_nc_u32_e32 v24, s50, v59
	v_ashrrev_i32_e32 v37, 31, v36
	v_lshlrev_b64_e32 v[32:33], 2, v[32:33]
	v_add_nc_u32_e32 v26, s51, v59
	v_ashrrev_i32_e32 v19, 31, v18
	v_lshlrev_b64_e32 v[16:17], 2, v[34:35]
	;; [unrolled: 3-line block ×3, first 2 shown]
	v_add_nc_u32_e32 v30, s53, v59
	v_ashrrev_i32_e32 v27, 31, v26
	v_add_co_u32 v20, vcc_lo, s10, v32
	v_lshlrev_b64_e32 v[18:19], 2, v[18:19]
	v_ashrrev_i32_e32 v29, 31, v28
	s_wait_alu 0xfffd
	v_add_co_ci_u32_e64 v21, null, s11, v33, vcc_lo
	v_add_co_u32 v16, vcc_lo, s10, v16
	v_lshlrev_b64_e32 v[24:25], 2, v[24:25]
	v_ashrrev_i32_e32 v31, 31, v30
	s_wait_alu 0xfffd
	v_add_co_ci_u32_e64 v17, null, s11, v17, vcc_lo
	v_add_co_u32 v22, vcc_lo, s10, v22
	v_lshlrev_b64_e32 v[26:27], 2, v[26:27]
	s_wait_alu 0xfffd
	v_add_co_ci_u32_e64 v23, null, s11, v23, vcc_lo
	v_add_co_u32 v18, vcc_lo, s10, v18
	v_lshlrev_b64_e32 v[28:29], 2, v[28:29]
	;; [unrolled: 4-line block ×3, first 2 shown]
	s_wait_alu 0xfffd
	v_add_co_ci_u32_e64 v25, null, s11, v25, vcc_lo
	v_add_co_u32 v26, vcc_lo, s10, v26
	v_add_nc_u32_e32 v32, s54, v59
	s_wait_alu 0xfffd
	v_add_co_ci_u32_e64 v27, null, s11, v27, vcc_lo
	v_add_co_u32 v28, vcc_lo, s10, v28
	v_add_nc_u32_e32 v34, s55, v59
	;; [unrolled: 4-line block ×3, first 2 shown]
	v_ashrrev_i32_e32 v33, 31, v32
	s_wait_alu 0xfffd
	v_add_co_ci_u32_e64 v31, null, s11, v31, vcc_lo
	s_clause 0x7
	global_load_b32 v69, v[20:21], off
	global_load_b32 v70, v[16:17], off
	;; [unrolled: 1-line block ×8, first 2 shown]
	v_add_nc_u32_e32 v18, s57, v59
	v_ashrrev_i32_e32 v35, 31, v34
	v_add_nc_u32_e32 v24, s58, v59
	v_ashrrev_i32_e32 v37, 31, v36
	v_lshlrev_b64_e32 v[32:33], 2, v[32:33]
	v_add_nc_u32_e32 v26, s59, v59
	v_ashrrev_i32_e32 v19, 31, v18
	v_lshlrev_b64_e32 v[16:17], 2, v[34:35]
	v_ashrrev_i32_e32 v25, 31, v24
	v_lshlrev_b64_e32 v[22:23], 2, v[36:37]
	v_ashrrev_i32_e32 v27, 31, v26
	v_add_co_u32 v20, vcc_lo, s10, v32
	v_lshlrev_b64_e32 v[18:19], 2, v[18:19]
	s_wait_alu 0xfffd
	v_add_co_ci_u32_e64 v21, null, s11, v33, vcc_lo
	v_add_co_u32 v16, vcc_lo, s10, v16
	v_lshlrev_b64_e32 v[24:25], 2, v[24:25]
	s_wait_alu 0xfffd
	v_add_co_ci_u32_e64 v17, null, s11, v17, vcc_lo
	v_add_co_u32 v22, vcc_lo, s10, v22
	v_lshlrev_b64_e32 v[26:27], 2, v[26:27]
	s_wait_alu 0xfffd
	v_add_co_ci_u32_e64 v23, null, s11, v23, vcc_lo
	v_add_co_u32 v18, vcc_lo, s10, v18
	s_wait_alu 0xfffd
	v_add_co_ci_u32_e64 v19, null, s11, v19, vcc_lo
	v_add_co_u32 v24, vcc_lo, s10, v24
	s_wait_alu 0xfffd
	v_add_co_ci_u32_e64 v25, null, s11, v25, vcc_lo
	;; [unrolled: 3-line block ×3, first 2 shown]
	s_clause 0x5
	global_load_b32 v20, v[20:21], off
	global_load_b32 v21, v[16:17], off
	;; [unrolled: 1-line block ×6, first 2 shown]
	s_and_not1_b32 vcc_lo, exec_lo, s1
	s_wait_loadcnt 0x1f
	ds_store_b32 v60, v38 offset:64
	s_wait_loadcnt 0x1e
	ds_store_b32 v60, v39 offset:208
	;; [unrolled: 2-line block ×16, first 2 shown]
	ds_load_b128 v[32:35], v61 offset:64
	ds_load_b128 v[28:31], v61 offset:96
	;; [unrolled: 1-line block ×4, first 2 shown]
	s_wait_loadcnt 0xf
	ds_store_b32 v60, v67 offset:64
	s_wait_loadcnt 0xe
	ds_store_b32 v60, v68 offset:208
	;; [unrolled: 2-line block ×16, first 2 shown]
	ds_load_b128 v[44:47], v61 offset:64
	ds_load_b128 v[40:43], v61 offset:96
	;; [unrolled: 1-line block ×4, first 2 shown]
	v_dual_mov_b32 v52, 0 :: v_dual_mov_b32 v53, 0
	s_wait_alu 0xfffe
	s_cbranch_vccnz .LBB40_30
; %bb.27:                               ;   in Loop: Header=BB40_26 Depth=1
	ds_load_b32 v52, v63
	s_wait_dscnt 0x0
	v_cmp_gt_i32_e32 vcc_lo, 0, v52
	s_cbranch_vccnz .LBB40_29
; %bb.28:                               ;   in Loop: Header=BB40_26 Depth=1
	v_mad_co_u64_u32 v[52:53], null, v52, s13, v[49:50]
	s_delay_alu instid0(VALU_DEP_1) | instskip(NEXT) | instid1(VALU_DEP_1)
	v_ashrrev_i32_e32 v53, 31, v52
	v_lshlrev_b64_e32 v[52:53], 2, v[52:53]
	s_delay_alu instid0(VALU_DEP_1) | instskip(SKIP_1) | instid1(VALU_DEP_2)
	v_add_co_u32 v52, vcc_lo, s18, v52
	s_wait_alu 0xfffd
	v_add_co_ci_u32_e64 v53, null, s19, v53, vcc_lo
	global_load_b64 v[52:53], v[52:53], off
	s_branch .LBB40_30
.LBB40_29:                              ;   in Loop: Header=BB40_26 Depth=1
	v_dual_mov_b32 v52, 0 :: v_dual_mov_b32 v53, 0
.LBB40_30:                              ;   in Loop: Header=BB40_26 Depth=1
	s_wait_loadcnt 0x0
	s_delay_alu instid0(VALU_DEP_1) | instskip(NEXT) | instid1(VALU_DEP_2)
	v_cvt_f16_f32_e32 v52, v52
	v_cvt_f16_f32_e32 v53, v53
	v_mov_b32_e32 v54, 0
	s_and_not1_b32 vcc_lo, exec_lo, s12
	s_delay_alu instid0(VALU_DEP_2)
	v_pack_b32_f16 v64, v52, v53
	v_dual_mov_b32 v52, 0 :: v_dual_mov_b32 v53, 0
	ds_store_b32 v60, v64 offset:64
	s_wait_alu 0xfffe
	s_cbranch_vccnz .LBB40_34
; %bb.31:                               ;   in Loop: Header=BB40_26 Depth=1
	ds_load_b32 v53, v63 offset:4
	s_wait_dscnt 0x0
	v_cmp_gt_i32_e32 vcc_lo, 0, v53
	s_cbranch_vccnz .LBB40_33
; %bb.32:                               ;   in Loop: Header=BB40_26 Depth=1
	v_mul_lo_u32 v53, v53, s13
	s_delay_alu instid0(VALU_DEP_1) | instskip(NEXT) | instid1(VALU_DEP_1)
	v_add3_u32 v53, v53, s17, v49
	v_ashrrev_i32_e32 v54, 31, v53
	s_delay_alu instid0(VALU_DEP_1) | instskip(NEXT) | instid1(VALU_DEP_1)
	v_lshlrev_b64_e32 v[53:54], 2, v[53:54]
	v_add_co_u32 v53, vcc_lo, s18, v53
	s_wait_alu 0xfffd
	s_delay_alu instid0(VALU_DEP_2)
	v_add_co_ci_u32_e64 v54, null, s19, v54, vcc_lo
	global_load_b64 v[53:54], v[53:54], off
	s_branch .LBB40_34
.LBB40_33:                              ;   in Loop: Header=BB40_26 Depth=1
	v_dual_mov_b32 v53, 0 :: v_dual_mov_b32 v54, 0
.LBB40_34:                              ;   in Loop: Header=BB40_26 Depth=1
	s_wait_loadcnt 0x0
	s_delay_alu instid0(VALU_DEP_1) | instskip(NEXT) | instid1(VALU_DEP_2)
	v_cvt_f16_f32_e32 v53, v53
	v_cvt_f16_f32_e32 v54, v54
	s_and_not1_b32 vcc_lo, exec_lo, s20
	s_delay_alu instid0(VALU_DEP_1)
	v_pack_b32_f16 v54, v53, v54
	v_mov_b32_e32 v53, 0
	ds_store_b32 v60, v54 offset:208
	s_wait_alu 0xfffe
	s_cbranch_vccnz .LBB40_38
; %bb.35:                               ;   in Loop: Header=BB40_26 Depth=1
	ds_load_b32 v52, v63 offset:8
	s_wait_dscnt 0x0
	v_cmp_gt_i32_e32 vcc_lo, 0, v52
	s_cbranch_vccnz .LBB40_37
; %bb.36:                               ;   in Loop: Header=BB40_26 Depth=1
	v_mul_lo_u32 v52, v52, s13
	s_delay_alu instid0(VALU_DEP_1) | instskip(NEXT) | instid1(VALU_DEP_1)
	v_add3_u32 v52, v52, s21, v49
	v_ashrrev_i32_e32 v53, 31, v52
	s_delay_alu instid0(VALU_DEP_1) | instskip(NEXT) | instid1(VALU_DEP_1)
	v_lshlrev_b64_e32 v[52:53], 2, v[52:53]
	v_add_co_u32 v52, vcc_lo, s18, v52
	s_wait_alu 0xfffd
	s_delay_alu instid0(VALU_DEP_2)
	v_add_co_ci_u32_e64 v53, null, s19, v53, vcc_lo
	global_load_b64 v[52:53], v[52:53], off
	s_branch .LBB40_38
.LBB40_37:                              ;   in Loop: Header=BB40_26 Depth=1
	v_dual_mov_b32 v52, 0 :: v_dual_mov_b32 v53, 0
.LBB40_38:                              ;   in Loop: Header=BB40_26 Depth=1
	s_wait_loadcnt 0x0
	s_delay_alu instid0(VALU_DEP_1) | instskip(NEXT) | instid1(VALU_DEP_2)
	v_cvt_f16_f32_e32 v52, v52
	v_cvt_f16_f32_e32 v53, v53
	s_and_not1_b32 vcc_lo, exec_lo, s28
	s_delay_alu instid0(VALU_DEP_1)
	v_pack_b32_f16 v54, v52, v53
	v_dual_mov_b32 v52, 0 :: v_dual_mov_b32 v53, 0
	ds_store_b32 v60, v54 offset:352
	s_wait_alu 0xfffe
	s_cbranch_vccnz .LBB40_25
; %bb.39:                               ;   in Loop: Header=BB40_26 Depth=1
	ds_load_b32 v52, v63 offset:12
	s_wait_dscnt 0x0
	v_cmp_gt_i32_e32 vcc_lo, 0, v52
	s_cbranch_vccz .LBB40_24
; %bb.40:                               ;   in Loop: Header=BB40_26 Depth=1
	v_dual_mov_b32 v52, 0 :: v_dual_mov_b32 v53, 0
	s_branch .LBB40_25
.LBB40_41:
	s_or_b32 exec_lo, exec_lo, s8
.LBB40_42:
	s_delay_alu instid0(SALU_CYCLE_1)
	s_or_b32 exec_lo, exec_lo, s23
	v_lshl_add_u32 v16, v56, 2, 0x100
	v_mul_u32_u24_e32 v17, 0x290, v57
	v_and_b32_e32 v18, 0x7e0, v58
	v_cmp_gt_u32_e32 vcc_lo, 4, v55
	s_wait_loadcnt_dscnt 0x0
	s_barrier_signal -1
	s_barrier_wait -1
	v_add3_u32 v17, v16, v17, v18
	global_inv scope:SCOPE_SE
	ds_store_2addr_b32 v17, v8, v9 offset0:16 offset1:17
	ds_store_2addr_b32 v17, v10, v11 offset0:18 offset1:19
	;; [unrolled: 1-line block ×8, first 2 shown]
	s_wait_loadcnt_dscnt 0x0
	s_barrier_signal -1
	s_barrier_wait -1
	global_inv scope:SCOPE_SE
	s_and_b32 exec_lo, exec_lo, vcc_lo
	s_cbranch_execz .LBB40_45
; %bb.43:
	v_mad_i32_i24 v0, 0xffffff84, v55, v16
	v_or_b32_e32 v1, s26, v55
	ds_load_b32 v0, v0
	v_cmp_gt_i32_e64 s0, s5, v1
	s_wait_dscnt 0x0
	v_cmp_lt_i32_e32 vcc_lo, -1, v0
	s_and_b32 s0, vcc_lo, s0
	s_wait_alu 0xfffe
	s_and_b32 exec_lo, exec_lo, s0
	s_cbranch_execz .LBB40_45
; %bb.44:
	v_lshlrev_b32_e32 v1, 2, v48
	v_mul_u32_u24_e32 v2, 0x290, v55
	v_mul_lo_u32 v0, v0, s14
	v_mul_lo_u32 v7, v55, s9
	s_ashr_i32 s1, s22, 31
	s_mov_b32 s0, s22
	v_add3_u32 v5, 0x100, v1, v2
	s_ashr_i32 s5, s9, 31
	s_mov_b32 s4, s9
	s_wait_alu 0xfffe
	s_mul_u64 s[0:1], s[0:1], s[24:25]
	ds_load_2addr_b32 v[1:2], v5 offset0:16 offset1:48
	ds_load_2addr_b32 v[3:4], v5 offset0:80 offset1:112
	v_add_nc_u32_e32 v6, s15, v48
	ds_load_b32 v5, v5 offset:576
	s_mul_u64 s[4:5], s[26:27], s[4:5]
	s_wait_alu 0xfffe
	s_lshl_b64 s[0:1], s[0:1], 2
	s_lshl_b64 s[4:5], s[4:5], 2
	s_wait_kmcnt 0x0
	s_wait_alu 0xfffe
	s_add_nc_u64 s[0:1], s[2:3], s[0:1]
	s_wait_alu 0xfffe
	s_add_nc_u64 s[0:1], s[0:1], s[4:5]
	s_wait_dscnt 0x2
	v_add_f32_e32 v1, 0, v1
	v_add3_u32 v0, v6, v7, v0
	s_delay_alu instid0(VALU_DEP_2) | instskip(SKIP_1) | instid1(VALU_DEP_1)
	v_dual_add_f32 v2, v1, v2 :: v_dual_mov_b32 v1, 0
	s_wait_dscnt 0x1
	v_add_f32_e32 v2, v2, v3
	s_delay_alu instid0(VALU_DEP_2) | instskip(NEXT) | instid1(VALU_DEP_2)
	v_lshlrev_b64_e32 v[0:1], 2, v[0:1]
	v_add_f32_e32 v2, v2, v4
	s_wait_alu 0xfffe
	s_delay_alu instid0(VALU_DEP_2) | instskip(SKIP_1) | instid1(VALU_DEP_3)
	v_add_co_u32 v0, vcc_lo, s0, v0
	s_wait_alu 0xfffd
	v_add_co_ci_u32_e64 v1, null, s1, v1, vcc_lo
	s_wait_dscnt 0x0
	v_add_f32_e32 v2, v2, v5
	global_store_b32 v[0:1], v2, off
.LBB40_45:
	s_endpgm
	.section	.rodata,"a",@progbits
	.p2align	6, 0x0
	.amdhsa_kernel _ZL9mul_mat_fI7__half2Li32ELi4ELi5ELb1EEvPKT_PKfPKiPfiiiiiiiiiiiiiiii
		.amdhsa_group_segment_fixed_size 256
		.amdhsa_private_segment_fixed_size 0
		.amdhsa_kernarg_size 352
		.amdhsa_user_sgpr_count 2
		.amdhsa_user_sgpr_dispatch_ptr 0
		.amdhsa_user_sgpr_queue_ptr 0
		.amdhsa_user_sgpr_kernarg_segment_ptr 1
		.amdhsa_user_sgpr_dispatch_id 0
		.amdhsa_user_sgpr_private_segment_size 0
		.amdhsa_wavefront_size32 1
		.amdhsa_uses_dynamic_stack 0
		.amdhsa_enable_private_segment 0
		.amdhsa_system_sgpr_workgroup_id_x 1
		.amdhsa_system_sgpr_workgroup_id_y 1
		.amdhsa_system_sgpr_workgroup_id_z 1
		.amdhsa_system_sgpr_workgroup_info 0
		.amdhsa_system_vgpr_workitem_id 2
		.amdhsa_next_free_vgpr 80
		.amdhsa_next_free_sgpr 68
		.amdhsa_reserve_vcc 1
		.amdhsa_float_round_mode_32 0
		.amdhsa_float_round_mode_16_64 0
		.amdhsa_float_denorm_mode_32 3
		.amdhsa_float_denorm_mode_16_64 3
		.amdhsa_fp16_overflow 0
		.amdhsa_workgroup_processor_mode 1
		.amdhsa_memory_ordered 1
		.amdhsa_forward_progress 1
		.amdhsa_inst_pref_size 40
		.amdhsa_round_robin_scheduling 0
		.amdhsa_exception_fp_ieee_invalid_op 0
		.amdhsa_exception_fp_denorm_src 0
		.amdhsa_exception_fp_ieee_div_zero 0
		.amdhsa_exception_fp_ieee_overflow 0
		.amdhsa_exception_fp_ieee_underflow 0
		.amdhsa_exception_fp_ieee_inexact 0
		.amdhsa_exception_int_div_zero 0
	.end_amdhsa_kernel
	.section	.text._ZL9mul_mat_fI7__half2Li32ELi4ELi5ELb1EEvPKT_PKfPKiPfiiiiiiiiiiiiiiii,"axG",@progbits,_ZL9mul_mat_fI7__half2Li32ELi4ELi5ELb1EEvPKT_PKfPKiPfiiiiiiiiiiiiiiii,comdat
.Lfunc_end40:
	.size	_ZL9mul_mat_fI7__half2Li32ELi4ELi5ELb1EEvPKT_PKfPKiPfiiiiiiiiiiiiiiii, .Lfunc_end40-_ZL9mul_mat_fI7__half2Li32ELi4ELi5ELb1EEvPKT_PKfPKiPfiiiiiiiiiiiiiiii
                                        ; -- End function
	.set _ZL9mul_mat_fI7__half2Li32ELi4ELi5ELb1EEvPKT_PKfPKiPfiiiiiiiiiiiiiiii.num_vgpr, 80
	.set _ZL9mul_mat_fI7__half2Li32ELi4ELi5ELb1EEvPKT_PKfPKiPfiiiiiiiiiiiiiiii.num_agpr, 0
	.set _ZL9mul_mat_fI7__half2Li32ELi4ELi5ELb1EEvPKT_PKfPKiPfiiiiiiiiiiiiiiii.numbered_sgpr, 68
	.set _ZL9mul_mat_fI7__half2Li32ELi4ELi5ELb1EEvPKT_PKfPKiPfiiiiiiiiiiiiiiii.num_named_barrier, 0
	.set _ZL9mul_mat_fI7__half2Li32ELi4ELi5ELb1EEvPKT_PKfPKiPfiiiiiiiiiiiiiiii.private_seg_size, 0
	.set _ZL9mul_mat_fI7__half2Li32ELi4ELi5ELb1EEvPKT_PKfPKiPfiiiiiiiiiiiiiiii.uses_vcc, 1
	.set _ZL9mul_mat_fI7__half2Li32ELi4ELi5ELb1EEvPKT_PKfPKiPfiiiiiiiiiiiiiiii.uses_flat_scratch, 0
	.set _ZL9mul_mat_fI7__half2Li32ELi4ELi5ELb1EEvPKT_PKfPKiPfiiiiiiiiiiiiiiii.has_dyn_sized_stack, 0
	.set _ZL9mul_mat_fI7__half2Li32ELi4ELi5ELb1EEvPKT_PKfPKiPfiiiiiiiiiiiiiiii.has_recursion, 0
	.set _ZL9mul_mat_fI7__half2Li32ELi4ELi5ELb1EEvPKT_PKfPKiPfiiiiiiiiiiiiiiii.has_indirect_call, 0
	.section	.AMDGPU.csdata,"",@progbits
; Kernel info:
; codeLenInByte = 5092
; TotalNumSgprs: 70
; NumVgprs: 80
; ScratchSize: 0
; MemoryBound: 0
; FloatMode: 240
; IeeeMode: 1
; LDSByteSize: 256 bytes/workgroup (compile time only)
; SGPRBlocks: 0
; VGPRBlocks: 9
; NumSGPRsForWavesPerEU: 70
; NumVGPRsForWavesPerEU: 80
; Occupancy: 16
; WaveLimiterHint : 0
; COMPUTE_PGM_RSRC2:SCRATCH_EN: 0
; COMPUTE_PGM_RSRC2:USER_SGPR: 2
; COMPUTE_PGM_RSRC2:TRAP_HANDLER: 0
; COMPUTE_PGM_RSRC2:TGID_X_EN: 1
; COMPUTE_PGM_RSRC2:TGID_Y_EN: 1
; COMPUTE_PGM_RSRC2:TGID_Z_EN: 1
; COMPUTE_PGM_RSRC2:TIDIG_COMP_CNT: 2
	.section	.text._ZL9mul_mat_fI7__half2Li32ELi4ELi5ELb0EEvPKT_PKfPKiPfiiiiiiiiiiiiiiii,"axG",@progbits,_ZL9mul_mat_fI7__half2Li32ELi4ELi5ELb0EEvPKT_PKfPKiPfiiiiiiiiiiiiiiii,comdat
	.globl	_ZL9mul_mat_fI7__half2Li32ELi4ELi5ELb0EEvPKT_PKfPKiPfiiiiiiiiiiiiiiii ; -- Begin function _ZL9mul_mat_fI7__half2Li32ELi4ELi5ELb0EEvPKT_PKfPKiPfiiiiiiiiiiiiiiii
	.p2align	8
	.type	_ZL9mul_mat_fI7__half2Li32ELi4ELi5ELb0EEvPKT_PKfPKiPfiiiiiiiiiiiiiiii,@function
_ZL9mul_mat_fI7__half2Li32ELi4ELi5ELb0EEvPKT_PKfPKiPfiiiiiiiiiiiiiiii: ; @_ZL9mul_mat_fI7__half2Li32ELi4ELi5ELb0EEvPKT_PKfPKiPfiiiiiiiiiiiiiiii
; %bb.0:
	s_clause 0x1
	s_load_b256 s[4:11], s[0:1], 0x40
	s_load_b32 s21, s[0:1], 0x20
	v_bfe_u32 v37, v0, 10, 10
	v_and_b32_e32 v36, 0x3ff, v0
	s_mov_b32 s15, exec_lo
	s_delay_alu instid0(VALU_DEP_2) | instskip(NEXT) | instid1(VALU_DEP_2)
	v_lshlrev_b32_e32 v39, 5, v37
	v_and_b32_e32 v40, 15, v36
	s_delay_alu instid0(VALU_DEP_2)
	v_add_nc_u32_e32 v41, v39, v36
	s_wait_kmcnt 0x0
	s_abs_i32 s12, s4
	s_abs_i32 s23, s8
	s_cvt_f32_u32 s2, s12
	s_cvt_f32_u32 s3, s23
	s_delay_alu instid0(SALU_CYCLE_2) | instskip(NEXT) | instid1(SALU_CYCLE_2)
	v_rcp_iflag_f32_e32 v0, s2
	v_rcp_iflag_f32_e32 v1, s3
	s_mov_b32 s3, 0
	s_lshr_b32 s2, ttmp7, 16
	s_delay_alu instid0(TRANS32_DEP_2) | instskip(NEXT) | instid1(TRANS32_DEP_1)
	v_readfirstlane_b32 s13, v0
	v_readfirstlane_b32 s14, v1
	v_cmpx_le_i32_e64 s21, v41
	s_xor_b32 s15, exec_lo, s15
; %bb.1:
	v_and_b32_e32 v40, 15, v36
                                        ; implicit-def: $vgpr41
; %bb.2:
	s_or_saveexec_b32 s22, s15
	s_load_b96 s[16:18], s[0:1], 0x2c
	v_dual_mov_b32 v15, 0 :: v_dual_lshlrev_b32 v38, 2, v36
	s_and_b32 s19, ttmp7, 0xffff
	s_lshl_b32 s20, ttmp9, 5
	s_delay_alu instid0(VALU_DEP_1)
	v_dual_mov_b32 v14, v15 :: v_dual_mov_b32 v13, v15
	v_dual_mov_b32 v12, v15 :: v_dual_mov_b32 v11, v15
	;; [unrolled: 1-line block ×7, first 2 shown]
	v_mov_b32_e32 v0, v15
	s_xor_b32 exec_lo, exec_lo, s22
	s_cbranch_execz .LBB41_6
; %bb.3:
	s_mul_f32 s13, s13, 0x4f7ffffe
	s_mul_f32 s14, s14, 0x4f7ffffe
	s_sub_co_i32 s24, 0, s12
	s_sub_co_i32 s25, 0, s23
	s_cvt_u32_f32 s13, s13
	s_cvt_u32_f32 s27, s14
	s_abs_i32 s14, s19
	s_mov_b32 s15, s3
	s_mul_i32 s24, s24, s13
	s_mul_i32 s25, s25, s27
	s_mul_hi_u32 s24, s13, s24
	s_mul_hi_u32 s28, s27, s25
	s_add_co_i32 s24, s13, s24
	s_mov_b32 s25, s3
	s_abs_i32 s26, s2
	s_mul_u64 s[24:25], s[14:15], s[24:25]
	s_ashr_i32 s24, s8, 31
	s_mul_i32 s13, s25, s12
	s_add_co_i32 s28, s27, s28
	s_sub_co_i32 s8, s14, s13
	s_ashr_i32 s4, s4, 31
	s_add_co_i32 s13, s25, 1
	s_sub_co_i32 s14, s8, s12
	s_cmp_ge_u32 s8, s12
	s_mov_b32 s27, s3
	s_cselect_b32 s13, s13, s25
	s_mov_b32 s29, s3
	s_cselect_b32 s8, s14, s8
	s_add_co_i32 s14, s13, 1
	s_mul_u64 s[28:29], s[26:27], s[28:29]
	s_cmp_ge_u32 s8, s12
	s_mul_i32 s12, s29, s23
	s_cselect_b32 s8, s14, s13
	s_sub_co_i32 s25, s26, s12
	s_xor_b32 s8, s8, s4
	s_load_b128 s[12:15], s[0:1], 0x0
	s_sub_co_i32 s26, s8, s4
	s_add_co_i32 s4, s29, 1
	s_sub_co_i32 s8, s25, s23
	s_cmp_ge_u32 s25, s23
	v_mad_u32_u24 v0, 0x900, v37, 0
	s_cselect_b32 s4, s4, s29
	s_cselect_b32 s8, s8, s25
	s_add_co_i32 s25, s4, 1
	s_cmp_ge_u32 s8, s23
	s_mov_b32 s8, s9
	s_cselect_b32 s4, s25, s4
	s_ashr_i32 s9, s9, 31
	s_xor_b32 s4, s4, s24
	v_mul_u32_u24_e32 v1, 0x90, v40
	s_sub_co_i32 s24, s4, s24
	v_and_b32_e32 v2, 0x3f0, v36
	s_ashr_i32 s25, s24, 31
	v_add_nc_u32_e32 v42, v0, v38
	s_mul_u64 s[8:9], s[24:25], s[8:9]
	s_mul_i32 s24, s26, s5
	s_lshl_b64 s[54:55], s[8:9], 2
	s_ashr_i32 s25, s24, 31
	s_wait_kmcnt 0x0
	s_add_nc_u64 s[8:9], s[12:13], s[54:55]
	s_lshl_b64 s[56:57], s[24:25], 2
	s_mul_i32 s24, s16, s20
	v_add3_u32 v43, v0, v1, v2
	s_ashr_i32 s25, s24, 31
	v_dual_mov_b32 v0, 0 :: v_dual_lshlrev_b32 v1, 7, v37
	s_lshl_b64 s[60:61], s[24:25], 2
	s_add_nc_u64 s[8:9], s[8:9], s[56:57]
	s_add_nc_u64 s[56:57], s[56:57], s[60:61]
	s_mov_b32 s4, s10
	s_add_nc_u64 s[54:55], s[56:57], s[54:55]
	s_ashr_i32 s5, s10, 31
	v_add_co_u32 v1, s53, s54, v1
	s_delay_alu instid0(VALU_DEP_1) | instskip(SKIP_2) | instid1(VALU_DEP_3)
	v_add_co_ci_u32_e64 v2, null, s55, 0, s53
	v_dual_mov_b32 v44, 0 :: v_dual_lshlrev_b32 v3, 8, v37
	s_mul_u64 s[4:5], s[4:5], s[2:3]
	v_add_co_u32 v1, vcc_lo, v1, v38
	s_lshl_b64 s[58:59], s[4:5], 2
	v_add_co_ci_u32_e64 v2, null, 0, v2, vcc_lo
	v_add_co_u32 v3, s53, s58, v3
	v_lshlrev_b32_e32 v5, 3, v36
	s_mul_i32 s4, s6, s19
	s_wait_alu 0xf1ff
	v_add_co_ci_u32_e64 v4, null, s59, 0, s53
	v_add_co_u32 v32, vcc_lo, s12, v1
	s_ashr_i32 s5, s4, 31
	s_wait_alu 0xfffd
	v_add_co_ci_u32_e64 v33, null, s13, v2, vcc_lo
	v_add_co_u32 v1, vcc_lo, v3, v5
	s_lshl_b64 s[62:63], s[4:5], 2
	s_wait_alu 0xfffd
	v_add_co_ci_u32_e64 v2, null, 0, v4, vcc_lo
	s_add_nc_u64 s[12:13], s[14:15], s[62:63]
	v_dual_mov_b32 v3, v0 :: v_dual_mov_b32 v4, v0
	s_wait_alu 0xfffe
	v_add_co_u32 v34, vcc_lo, s12, v1
	s_wait_alu 0xfffd
	v_add_co_ci_u32_e64 v35, null, s13, v2, vcc_lo
	v_dual_mov_b32 v1, v0 :: v_dual_mov_b32 v2, v0
	v_dual_mov_b32 v5, v0 :: v_dual_mov_b32 v6, v0
	;; [unrolled: 1-line block ×6, first 2 shown]
	v_mov_b32_e32 v15, v0
	s_add_nc_u64 s[26:27], s[14:15], s[58:59]
	s_ashr_i32 s65, s16, 31
	s_mov_b32 s64, s16
	s_ashr_i32 s67, s17, 31
	s_mov_b32 s66, s17
	s_add_nc_u64 s[4:5], s[8:9], s[60:61]
	s_add_nc_u64 s[8:9], s[26:27], s[62:63]
	s_mov_b32 s6, 0
	s_add_co_i32 s10, s16, s16
	s_add_co_i32 s23, s17, s17
	s_mul_i32 s17, s17, 3
	s_mul_i32 s24, s16, 3
	s_lshl_b32 s25, s16, 2
	s_mul_i32 s26, s16, 5
	s_mul_i32 s27, s16, 6
	;; [unrolled: 1-line block ×3, first 2 shown]
	s_lshl_b32 s29, s16, 3
	s_mul_i32 s30, s16, 9
	s_mul_i32 s31, s16, 10
	;; [unrolled: 1-line block ×7, first 2 shown]
	s_lshl_b32 s38, s16, 4
	s_mul_i32 s39, s16, 17
	s_mul_i32 s40, s16, 18
	;; [unrolled: 1-line block ×15, first 2 shown]
	s_lshl_b64 s[12:13], s[64:65], 2
	s_lshl_b64 s[14:15], s[66:67], 3
.LBB41_4:                               ; =>This Inner Loop Header: Depth=1
	global_load_b32 v16, v[32:33], off
	v_add_nc_u32_e32 v45, s38, v41
	s_delay_alu instid0(VALU_DEP_1) | instskip(NEXT) | instid1(VALU_DEP_1)
	v_ashrrev_i32_e32 v46, 31, v45
	v_lshlrev_b64_e32 v[45:46], 2, v[45:46]
	s_wait_loadcnt 0x0
	ds_store_b32 v42, v16
	s_wait_alu 0xfffe
	v_add_co_u32 v16, vcc_lo, v32, s12
	s_wait_alu 0xfffd
	v_add_co_ci_u32_e64 v17, null, s13, v33, vcc_lo
	global_load_b32 v16, v[16:17], off
	s_wait_loadcnt 0x0
	ds_store_b32 v42, v16 offset:144
	v_add_nc_u32_e32 v16, s10, v41
	s_delay_alu instid0(VALU_DEP_1) | instskip(NEXT) | instid1(VALU_DEP_1)
	v_ashrrev_i32_e32 v17, 31, v16
	v_lshlrev_b64_e32 v[16:17], 2, v[16:17]
	s_delay_alu instid0(VALU_DEP_1) | instskip(SKIP_1) | instid1(VALU_DEP_2)
	v_add_co_u32 v16, vcc_lo, s4, v16
	s_wait_alu 0xfffd
	v_add_co_ci_u32_e64 v17, null, s5, v17, vcc_lo
	global_load_b32 v16, v[16:17], off
	s_wait_loadcnt 0x0
	ds_store_b32 v42, v16 offset:288
	v_add_nc_u32_e32 v16, s24, v41
	s_delay_alu instid0(VALU_DEP_1) | instskip(NEXT) | instid1(VALU_DEP_1)
	v_ashrrev_i32_e32 v17, 31, v16
	v_lshlrev_b64_e32 v[16:17], 2, v[16:17]
	s_delay_alu instid0(VALU_DEP_1) | instskip(SKIP_1) | instid1(VALU_DEP_2)
	;; [unrolled: 11-line block ×14, first 2 shown]
	v_add_co_u32 v16, vcc_lo, s4, v16
	s_wait_alu 0xfffd
	v_add_co_ci_u32_e64 v17, null, s5, v17, vcc_lo
	v_add_co_u32 v45, vcc_lo, s4, v45
	s_wait_alu 0xfffd
	v_add_co_ci_u32_e64 v46, null, s5, v46, vcc_lo
	global_load_b32 v16, v[16:17], off
	s_wait_loadcnt 0x0
	ds_store_b32 v42, v16 offset:2160
	ds_load_b128 v[28:31], v43
	ds_load_b128 v[24:27], v43 offset:32
	ds_load_b128 v[20:23], v43 offset:64
	;; [unrolled: 1-line block ×3, first 2 shown]
	global_load_b32 v45, v[45:46], off
	s_wait_loadcnt 0x0
	ds_store_b32 v42, v45
	v_add_nc_u32_e32 v45, s39, v41
	s_delay_alu instid0(VALU_DEP_1) | instskip(NEXT) | instid1(VALU_DEP_1)
	v_ashrrev_i32_e32 v46, 31, v45
	v_lshlrev_b64_e32 v[45:46], 2, v[45:46]
	s_delay_alu instid0(VALU_DEP_1) | instskip(SKIP_1) | instid1(VALU_DEP_2)
	v_add_co_u32 v45, vcc_lo, s4, v45
	s_wait_alu 0xfffd
	v_add_co_ci_u32_e64 v46, null, s5, v46, vcc_lo
	global_load_b32 v45, v[45:46], off
	s_wait_loadcnt 0x0
	ds_store_b32 v42, v45 offset:144
	v_add_nc_u32_e32 v45, s40, v41
	s_delay_alu instid0(VALU_DEP_1) | instskip(NEXT) | instid1(VALU_DEP_1)
	v_ashrrev_i32_e32 v46, 31, v45
	v_lshlrev_b64_e32 v[45:46], 2, v[45:46]
	s_delay_alu instid0(VALU_DEP_1) | instskip(SKIP_1) | instid1(VALU_DEP_2)
	v_add_co_u32 v45, vcc_lo, s4, v45
	s_wait_alu 0xfffd
	v_add_co_ci_u32_e64 v46, null, s5, v46, vcc_lo
	global_load_b32 v45, v[45:46], off
	s_wait_loadcnt 0x0
	ds_store_b32 v42, v45 offset:288
	;; [unrolled: 11-line block ×15, first 2 shown]
	ds_load_b128 v[45:48], v43
	ds_load_b128 v[49:52], v43 offset:32
	ds_load_b128 v[53:56], v43 offset:64
	;; [unrolled: 1-line block ×3, first 2 shown]
	global_load_b64 v[61:62], v[34:35], off
	s_wait_loadcnt 0x0
	v_cvt_f16_f32_e32 v61, v61
	v_cvt_f16_f32_e32 v62, v62
	s_delay_alu instid0(VALU_DEP_1)
	v_pack_b32_f16 v61, v61, v62
	ds_store_b32 v42, v61
	v_add_co_u32 v61, vcc_lo, v34, s14
	s_wait_alu 0xfffd
	v_add_co_ci_u32_e64 v62, null, s15, v35, vcc_lo
	global_load_b64 v[61:62], v[61:62], off
	s_wait_loadcnt 0x0
	v_cvt_f16_f32_e32 v61, v61
	v_cvt_f16_f32_e32 v62, v62
	s_delay_alu instid0(VALU_DEP_1) | instskip(SKIP_2) | instid1(VALU_DEP_1)
	v_pack_b32_f16 v61, v61, v62
	ds_store_b32 v42, v61 offset:144
	v_add_nc_u32_e32 v61, s23, v41
	v_ashrrev_i32_e32 v62, 31, v61
	s_delay_alu instid0(VALU_DEP_1) | instskip(NEXT) | instid1(VALU_DEP_1)
	v_lshlrev_b64_e32 v[61:62], 3, v[61:62]
	v_add_co_u32 v61, vcc_lo, s8, v61
	s_wait_alu 0xfffd
	s_delay_alu instid0(VALU_DEP_2) | instskip(SKIP_4) | instid1(VALU_DEP_1)
	v_add_co_ci_u32_e64 v62, null, s9, v62, vcc_lo
	global_load_b64 v[61:62], v[61:62], off
	s_wait_loadcnt 0x0
	v_cvt_f16_f32_e32 v61, v61
	v_cvt_f16_f32_e32 v62, v62
	v_pack_b32_f16 v61, v61, v62
	ds_store_b32 v42, v61 offset:288
	v_add_nc_u32_e32 v61, s17, v41
	v_add_nc_u32_e32 v41, 0xa0, v41
	s_delay_alu instid0(VALU_DEP_2) | instskip(NEXT) | instid1(VALU_DEP_1)
	v_ashrrev_i32_e32 v62, 31, v61
	v_lshlrev_b64_e32 v[61:62], 3, v[61:62]
	s_delay_alu instid0(VALU_DEP_1) | instskip(SKIP_1) | instid1(VALU_DEP_2)
	v_add_co_u32 v61, vcc_lo, s8, v61
	s_wait_alu 0xfffd
	v_add_co_ci_u32_e64 v62, null, s9, v62, vcc_lo
	v_add_co_u32 v32, vcc_lo, 0x280, v32
	s_wait_alu 0xfffd
	v_add_co_ci_u32_e64 v33, null, 0, v33, vcc_lo
	global_load_b64 v[61:62], v[61:62], off
	v_add_co_u32 v34, vcc_lo, 0x500, v34
	s_wait_alu 0xfffd
	v_add_co_ci_u32_e64 v35, null, 0, v35, vcc_lo
	v_cmp_le_i32_e32 vcc_lo, s21, v41
	s_or_b32 s6, vcc_lo, s6
	s_wait_loadcnt 0x0
	v_cvt_f16_f32_e32 v61, v61
	v_cvt_f16_f32_e32 v62, v62
	s_delay_alu instid0(VALU_DEP_1)
	v_pack_b32_f16 v61, v61, v62
	ds_store_b32 v42, v61 offset:432
	ds_store_b32 v42, v44 offset:576
	;; [unrolled: 1-line block ×13, first 2 shown]
	ds_load_b128 v[61:64], v43
	ds_load_b128 v[65:68], v43 offset:32
	s_wait_dscnt 0x1
	v_wmma_f32_16x16x16_f16 v[8:15], v[28:31], v[61:64], v[8:15]
	v_wmma_f32_16x16x16_f16 v[0:7], v[45:48], v[61:64], v[0:7]
	s_wait_dscnt 0x0
	s_delay_alu instid0(VALU_DEP_2)
	v_wmma_f32_16x16x16_f16 v[8:15], v[24:27], v[65:68], v[8:15]
	ds_load_b128 v[24:27], v43 offset:64
	v_wmma_f32_16x16x16_f16 v[0:7], v[49:52], v[65:68], v[0:7]
	s_wait_dscnt 0x0
	v_wmma_f32_16x16x16_f16 v[8:15], v[20:23], v[24:27], v[8:15]
	ds_load_b128 v[20:23], v43 offset:96
	v_wmma_f32_16x16x16_f16 v[0:7], v[53:56], v[24:27], v[0:7]
	s_wait_dscnt 0x0
	v_wmma_f32_16x16x16_f16 v[8:15], v[16:19], v[20:23], v[8:15]
	s_delay_alu instid0(VALU_DEP_2)
	v_wmma_f32_16x16x16_f16 v[0:7], v[57:60], v[20:23], v[0:7]
	s_and_not1_b32 exec_lo, exec_lo, s6
	s_cbranch_execnz .LBB41_4
; %bb.5:
	s_or_b32 exec_lo, exec_lo, s6
.LBB41_6:
	s_delay_alu instid0(SALU_CYCLE_1)
	s_or_b32 exec_lo, exec_lo, s22
	s_load_b64 s[0:1], s[0:1], 0x18
	v_lshlrev_b32_e32 v16, 1, v36
	v_lshl_add_u32 v17, v39, 2, 0
	v_mul_u32_u24_e32 v18, 0x290, v40
	s_barrier_signal -1
	s_delay_alu instid0(VALU_DEP_3)
	v_and_b32_e32 v16, 0x7e0, v16
	s_barrier_wait -1
	global_inv scope:SCOPE_SE
	s_mov_b32 s4, exec_lo
	v_add3_u32 v16, v17, v18, v16
	ds_store_2addr_b32 v16, v8, v9 offset1:1
	ds_store_2addr_b32 v16, v10, v11 offset0:2 offset1:3
	ds_store_2addr_b32 v16, v12, v13 offset0:4 offset1:5
	ds_store_2addr_b32 v16, v14, v15 offset0:6 offset1:7
	ds_store_2addr_b32 v16, v0, v1 offset0:16 offset1:17
	ds_store_2addr_b32 v16, v2, v3 offset0:18 offset1:19
	ds_store_2addr_b32 v16, v4, v5 offset0:20 offset1:21
	ds_store_2addr_b32 v16, v6, v7 offset0:22 offset1:23
	s_wait_loadcnt_dscnt 0x0
	s_barrier_signal -1
	s_barrier_wait -1
	global_inv scope:SCOPE_SE
	v_cmpx_gt_u32_e32 4, v37
	s_cbranch_execz .LBB41_8
; %bb.7:
	v_mul_u32_u24_e32 v0, 0x290, v37
	s_wait_kmcnt 0x0
	v_mul_lo_u32 v5, v37, s18
	s_ashr_i32 s5, s11, 31
	s_mov_b32 s4, s11
	s_mul_i32 s6, s7, s19
	v_add3_u32 v4, 0, v38, v0
	s_wait_alu 0xfffe
	s_mul_u64 s[2:3], s[4:5], s[2:3]
	s_ashr_i32 s7, s6, 31
	s_wait_alu 0xfffe
	s_lshl_b64 s[2:3], s[2:3], 2
	s_lshl_b64 s[4:5], s[6:7], 2
	ds_load_2addr_b32 v[0:1], v4 offset1:32
	ds_load_2addr_b32 v[2:3], v4 offset0:64 offset1:96
	ds_load_b32 v4, v4 offset:512
	s_wait_alu 0xfffe
	s_add_nc_u64 s[0:1], s[0:1], s[2:3]
	s_delay_alu instid0(SALU_CYCLE_1) | instskip(SKIP_2) | instid1(VALU_DEP_1)
	s_add_nc_u64 s[0:1], s[0:1], s[4:5]
	s_wait_dscnt 0x2
	v_add_f32_e32 v0, 0, v0
	v_dual_add_f32 v0, v0, v1 :: v_dual_mov_b32 v1, 0
	s_wait_dscnt 0x1
	s_delay_alu instid0(VALU_DEP_1) | instskip(SKIP_1) | instid1(VALU_DEP_2)
	v_add_f32_e32 v2, v0, v2
	v_add3_u32 v0, s20, v36, v5
	v_add_f32_e32 v2, v2, v3
	s_delay_alu instid0(VALU_DEP_2) | instskip(SKIP_1) | instid1(VALU_DEP_2)
	v_lshlrev_b64_e32 v[0:1], 2, v[0:1]
	s_wait_dscnt 0x0
	v_add_f32_e32 v2, v2, v4
	s_delay_alu instid0(VALU_DEP_2) | instskip(SKIP_1) | instid1(VALU_DEP_3)
	v_add_co_u32 v0, vcc_lo, s0, v0
	s_wait_alu 0xfffd
	v_add_co_ci_u32_e64 v1, null, s1, v1, vcc_lo
	global_store_b32 v[0:1], v2, off
.LBB41_8:
	s_endpgm
	.section	.rodata,"a",@progbits
	.p2align	6, 0x0
	.amdhsa_kernel _ZL9mul_mat_fI7__half2Li32ELi4ELi5ELb0EEvPKT_PKfPKiPfiiiiiiiiiiiiiiii
		.amdhsa_group_segment_fixed_size 0
		.amdhsa_private_segment_fixed_size 0
		.amdhsa_kernarg_size 96
		.amdhsa_user_sgpr_count 2
		.amdhsa_user_sgpr_dispatch_ptr 0
		.amdhsa_user_sgpr_queue_ptr 0
		.amdhsa_user_sgpr_kernarg_segment_ptr 1
		.amdhsa_user_sgpr_dispatch_id 0
		.amdhsa_user_sgpr_private_segment_size 0
		.amdhsa_wavefront_size32 1
		.amdhsa_uses_dynamic_stack 0
		.amdhsa_enable_private_segment 0
		.amdhsa_system_sgpr_workgroup_id_x 1
		.amdhsa_system_sgpr_workgroup_id_y 1
		.amdhsa_system_sgpr_workgroup_id_z 1
		.amdhsa_system_sgpr_workgroup_info 0
		.amdhsa_system_vgpr_workitem_id 1
		.amdhsa_next_free_vgpr 69
		.amdhsa_next_free_sgpr 68
		.amdhsa_reserve_vcc 1
		.amdhsa_float_round_mode_32 0
		.amdhsa_float_round_mode_16_64 0
		.amdhsa_float_denorm_mode_32 3
		.amdhsa_float_denorm_mode_16_64 3
		.amdhsa_fp16_overflow 0
		.amdhsa_workgroup_processor_mode 1
		.amdhsa_memory_ordered 1
		.amdhsa_forward_progress 1
		.amdhsa_inst_pref_size 31
		.amdhsa_round_robin_scheduling 0
		.amdhsa_exception_fp_ieee_invalid_op 0
		.amdhsa_exception_fp_denorm_src 0
		.amdhsa_exception_fp_ieee_div_zero 0
		.amdhsa_exception_fp_ieee_overflow 0
		.amdhsa_exception_fp_ieee_underflow 0
		.amdhsa_exception_fp_ieee_inexact 0
		.amdhsa_exception_int_div_zero 0
	.end_amdhsa_kernel
	.section	.text._ZL9mul_mat_fI7__half2Li32ELi4ELi5ELb0EEvPKT_PKfPKiPfiiiiiiiiiiiiiiii,"axG",@progbits,_ZL9mul_mat_fI7__half2Li32ELi4ELi5ELb0EEvPKT_PKfPKiPfiiiiiiiiiiiiiiii,comdat
.Lfunc_end41:
	.size	_ZL9mul_mat_fI7__half2Li32ELi4ELi5ELb0EEvPKT_PKfPKiPfiiiiiiiiiiiiiiii, .Lfunc_end41-_ZL9mul_mat_fI7__half2Li32ELi4ELi5ELb0EEvPKT_PKfPKiPfiiiiiiiiiiiiiiii
                                        ; -- End function
	.set _ZL9mul_mat_fI7__half2Li32ELi4ELi5ELb0EEvPKT_PKfPKiPfiiiiiiiiiiiiiiii.num_vgpr, 69
	.set _ZL9mul_mat_fI7__half2Li32ELi4ELi5ELb0EEvPKT_PKfPKiPfiiiiiiiiiiiiiiii.num_agpr, 0
	.set _ZL9mul_mat_fI7__half2Li32ELi4ELi5ELb0EEvPKT_PKfPKiPfiiiiiiiiiiiiiiii.numbered_sgpr, 68
	.set _ZL9mul_mat_fI7__half2Li32ELi4ELi5ELb0EEvPKT_PKfPKiPfiiiiiiiiiiiiiiii.num_named_barrier, 0
	.set _ZL9mul_mat_fI7__half2Li32ELi4ELi5ELb0EEvPKT_PKfPKiPfiiiiiiiiiiiiiiii.private_seg_size, 0
	.set _ZL9mul_mat_fI7__half2Li32ELi4ELi5ELb0EEvPKT_PKfPKiPfiiiiiiiiiiiiiiii.uses_vcc, 1
	.set _ZL9mul_mat_fI7__half2Li32ELi4ELi5ELb0EEvPKT_PKfPKiPfiiiiiiiiiiiiiiii.uses_flat_scratch, 0
	.set _ZL9mul_mat_fI7__half2Li32ELi4ELi5ELb0EEvPKT_PKfPKiPfiiiiiiiiiiiiiiii.has_dyn_sized_stack, 0
	.set _ZL9mul_mat_fI7__half2Li32ELi4ELi5ELb0EEvPKT_PKfPKiPfiiiiiiiiiiiiiiii.has_recursion, 0
	.set _ZL9mul_mat_fI7__half2Li32ELi4ELi5ELb0EEvPKT_PKfPKiPfiiiiiiiiiiiiiiii.has_indirect_call, 0
	.section	.AMDGPU.csdata,"",@progbits
; Kernel info:
; codeLenInByte = 3928
; TotalNumSgprs: 70
; NumVgprs: 69
; ScratchSize: 0
; MemoryBound: 0
; FloatMode: 240
; IeeeMode: 1
; LDSByteSize: 0 bytes/workgroup (compile time only)
; SGPRBlocks: 0
; VGPRBlocks: 8
; NumSGPRsForWavesPerEU: 70
; NumVGPRsForWavesPerEU: 69
; Occupancy: 16
; WaveLimiterHint : 0
; COMPUTE_PGM_RSRC2:SCRATCH_EN: 0
; COMPUTE_PGM_RSRC2:USER_SGPR: 2
; COMPUTE_PGM_RSRC2:TRAP_HANDLER: 0
; COMPUTE_PGM_RSRC2:TGID_X_EN: 1
; COMPUTE_PGM_RSRC2:TGID_Y_EN: 1
; COMPUTE_PGM_RSRC2:TGID_Z_EN: 1
; COMPUTE_PGM_RSRC2:TIDIG_COMP_CNT: 1
	.section	.text._ZL13mul_mat_f_idsI7__half2Li32ELi4ELi6EEvPKT_PKfPKiS7_S7_Pfiiiiiiiiiiiiii15HIP_vector_typeIjLj3EESA_,"axG",@progbits,_ZL13mul_mat_f_idsI7__half2Li32ELi4ELi6EEvPKT_PKfPKiS7_S7_Pfiiiiiiiiiiiiii15HIP_vector_typeIjLj3EESA_,comdat
	.globl	_ZL13mul_mat_f_idsI7__half2Li32ELi4ELi6EEvPKT_PKfPKiS7_S7_Pfiiiiiiiiiiiiii15HIP_vector_typeIjLj3EESA_ ; -- Begin function _ZL13mul_mat_f_idsI7__half2Li32ELi4ELi6EEvPKT_PKfPKiS7_S7_Pfiiiiiiiiiiiiii15HIP_vector_typeIjLj3EESA_
	.p2align	8
	.type	_ZL13mul_mat_f_idsI7__half2Li32ELi4ELi6EEvPKT_PKfPKiS7_S7_Pfiiiiiiiiiiiiii15HIP_vector_typeIjLj3EESA_,@function
_ZL13mul_mat_f_idsI7__half2Li32ELi4ELi6EEvPKT_PKfPKiS7_S7_Pfiiiiiiiiiiiiii15HIP_vector_typeIjLj3EESA_: ; @_ZL13mul_mat_f_idsI7__half2Li32ELi4ELi6EEvPKT_PKfPKiS7_S7_Pfiiiiiiiiiiiiii15HIP_vector_typeIjLj3EESA_
; %bb.0:
	s_load_b64 s[4:5], s[0:1], 0x20
	s_and_b32 s2, ttmp7, 0xffff
	s_delay_alu instid0(SALU_CYCLE_1) | instskip(SKIP_4) | instid1(SALU_CYCLE_1)
	s_lshl_b32 s3, s2, 2
	s_wait_kmcnt 0x0
	s_load_b64 s[24:25], s[4:5], s3 offset:0x0
	s_wait_kmcnt 0x0
	s_sub_co_i32 s19, s25, s24
	s_add_co_i32 s3, s19, 3
	s_delay_alu instid0(SALU_CYCLE_1) | instskip(NEXT) | instid1(SALU_CYCLE_1)
	s_ashr_i32 s4, s3, 31
	s_lshr_b32 s4, s4, 30
	s_delay_alu instid0(SALU_CYCLE_1) | instskip(NEXT) | instid1(SALU_CYCLE_1)
	s_add_co_i32 s3, s3, s4
	s_ashr_i32 s4, s3, 2
	s_lshr_b32 s3, ttmp7, 16
	s_delay_alu instid0(SALU_CYCLE_1)
	s_cmp_ge_i32 s3, s4
	s_cbranch_scc1 .LBB42_23
; %bb.1:
	s_clause 0x3
	s_load_b128 s[4:7], s[0:1], 0x30
	s_load_b64 s[20:21], s[0:1], 0x40
	s_load_b128 s[8:11], s[0:1], 0x68
	s_load_b64 s[22:23], s[0:1], 0x78
	v_bfe_u32 v52, v0, 10, 10
	v_and_b32_e32 v51, 0x3ff, v0
	s_ashr_i32 s25, s24, 31
	s_mov_b32 s12, exec_lo
	s_delay_alu instid0(VALU_DEP_2) | instskip(NEXT) | instid1(VALU_DEP_2)
	v_lshlrev_b32_e32 v53, 5, v52
	v_and_b32_e32 v54, 15, v51
	s_delay_alu instid0(VALU_DEP_2) | instskip(SKIP_1) | instid1(VALU_DEP_1)
	v_add_nc_u32_e32 v48, v53, v51
	s_wait_kmcnt 0x0
	v_cmpx_le_i32_e64 s4, v48
	s_xor_b32 s12, exec_lo, s12
; %bb.2:
	v_and_b32_e32 v54, 15, v51
                                        ; implicit-def: $vgpr48
; %bb.3:
	s_or_saveexec_b32 s37, s12
	s_clause 0x1
	s_load_b64 s[26:27], s[0:1], 0x28
	s_load_b96 s[16:18], s[0:1], 0x4c
	v_mov_b32_e32 v7, 0
	s_lshl_b32 s33, ttmp9, 5
	s_lshl_b32 s36, s3, 2
	s_delay_alu instid0(VALU_DEP_1)
	v_dual_mov_b32 v6, v7 :: v_dual_mov_b32 v5, v7
	v_dual_mov_b32 v4, v7 :: v_dual_mov_b32 v3, v7
	;; [unrolled: 1-line block ×7, first 2 shown]
	v_mov_b32_e32 v8, v7
	s_xor_b32 exec_lo, exec_lo, s37
	s_cbranch_execz .LBB42_19
; %bb.4:
	s_clause 0x1
	s_load_b128 s[12:15], s[0:1], 0x0
	s_load_b64 s[28:29], s[0:1], 0x10
	s_wait_kmcnt 0x0
	s_mul_i32 s30, s16, s2
	s_mul_i32 s34, s7, s33
	s_ashr_i32 s31, s30, 31
	s_ashr_i32 s35, s34, 31
	s_lshl_b64 s[38:39], s[24:25], 2
	s_lshl_b64 s[68:69], s[30:31], 2
	;; [unrolled: 1-line block ×3, first 2 shown]
	s_cmp_lt_i32 s36, s19
	v_mad_u32_u24 v0, 0x900, v52, 0
	v_dual_mov_b32 v8, 0 :: v_dual_lshlrev_b32 v1, 2, v51
	v_mul_u32_u24_e32 v2, 0x90, v54
	s_cselect_b32 s16, -1, 0
	s_or_b32 s30, s36, 1
	v_mov_b32_e32 v57, 0
	v_and_b32_e32 v3, 0x3f0, v51
	s_lshl_b32 s2, s36, 2
	s_cmp_lt_i32 s30, s19
	s_add_nc_u64 s[30:31], s[12:13], s[68:69]
	s_add_nc_u64 s[34:35], s[28:29], s[38:39]
	;; [unrolled: 1-line block ×3, first 2 shown]
	s_cselect_b32 s38, -1, 0
	s_or_b32 s30, s36, 2
	v_dual_mov_b32 v10, v57 :: v_dual_add_nc_u32 v55, v0, v1
	v_add3_u32 v56, v0, v2, v3
	v_dual_mov_b32 v9, v57 :: v_dual_lshlrev_b32 v0, 7, v52
	s_mov_b32 s3, 0
	s_cmp_lt_i32 s30, s19
	s_add_nc_u64 s[30:31], s[34:35], s[2:3]
	s_cselect_b32 s39, -1, 0
	s_or_b32 s2, s36, 3
	s_add_nc_u64 s[68:69], s[68:69], s[70:71]
	s_cmp_lt_i32 s2, s19
	v_add_co_u32 v0, s2, s68, v0
	s_delay_alu instid0(VALU_DEP_1) | instskip(SKIP_2) | instid1(VALU_DEP_1)
	v_add_co_ci_u32_e64 v2, null, s69, 0, s2
	s_mov_b32 s34, s8
	v_add_co_u32 v0, vcc_lo, v0, v1
	v_add_co_ci_u32_e64 v1, null, 0, v2, vcc_lo
	s_cselect_b32 s8, -1, 0
	v_add_co_u32 v49, vcc_lo, s12, v0
	s_wait_alu 0xfffd
	v_add_co_ci_u32_e64 v50, null, s13, v1, vcc_lo
	v_dual_mov_b32 v0, 0 :: v_dual_mov_b32 v11, v57
	v_mov_b32_e32 v14, v57
	v_dual_mov_b32 v12, v57 :: v_dual_mov_b32 v13, v57
	v_dual_mov_b32 v2, v57 :: v_dual_mov_b32 v15, v57
	v_dual_mov_b32 v4, v57 :: v_dual_mov_b32 v1, v57
	v_dual_mov_b32 v6, v57 :: v_dual_mov_b32 v3, v57
	v_mov_b32_e32 v5, v57
	v_mov_b32_e32 v7, v57
	s_ashr_i32 s73, s7, 31
	s_mov_b32 s72, s7
	s_mov_b32 s35, s3
	s_add_co_i32 s40, s7, s7
	s_mul_i32 s41, s7, 3
	s_lshl_b32 s42, s7, 2
	s_mul_i32 s43, s7, 5
	s_mul_i32 s44, s7, 6
	;; [unrolled: 1-line block ×3, first 2 shown]
	s_lshl_b32 s46, s7, 3
	s_mul_i32 s47, s7, 9
	s_mul_i32 s48, s7, 10
	;; [unrolled: 1-line block ×7, first 2 shown]
	s_lshl_b32 s54, s7, 4
	s_mul_i32 s55, s7, 17
	s_mul_i32 s56, s7, 18
	;; [unrolled: 1-line block ×15, first 2 shown]
	s_lshl_b64 s[12:13], s[72:73], 2
	s_mov_b32 s69, 0
	s_branch .LBB42_6
.LBB42_5:                               ;   in Loop: Header=BB42_6 Depth=1
	v_perm_b32 v58, v58, v59, 0x5040100
	v_perm_b32 v59, v61, v62, 0x5040100
	;; [unrolled: 1-line block ×4, first 2 shown]
	v_add_nc_u32_e32 v62, 0x400, v55
	ds_store_2addr_b32 v55, v58, v59 offset1:36
	ds_store_2addr_b32 v55, v60, v61 offset0:72 offset1:108
	ds_store_2addr_b32 v55, v57, v57 offset0:144 offset1:180
	v_add_nc_u32_e32 v58, 0x600, v55
	ds_store_2addr_b32 v55, v57, v57 offset0:216 offset1:252
	ds_store_2addr_b32 v62, v57, v57 offset0:32 offset1:68
	;; [unrolled: 1-line block ×5, first 2 shown]
	ds_load_b128 v[58:61], v56
	ds_load_b128 v[62:65], v56 offset:32
	ds_load_b128 v[66:69], v56 offset:64
	;; [unrolled: 1-line block ×3, first 2 shown]
	v_add_nc_u32_e32 v48, 0xc0, v48
	v_add_co_u32 v49, s2, 0x300, v49
	s_wait_alu 0xf1ff
	v_add_co_ci_u32_e64 v50, null, 0, v50, s2
	s_delay_alu instid0(VALU_DEP_3)
	v_cmp_le_i32_e32 vcc_lo, s4, v48
	s_or_b32 s69, vcc_lo, s69
	s_wait_dscnt 0x3
	v_wmma_f32_16x16x16_f16 v[8:15], v[32:35], v[58:61], v[8:15]
	v_wmma_f32_16x16x16_f16 v[0:7], v[44:47], v[58:61], v[0:7]
	s_wait_dscnt 0x2
	s_delay_alu instid0(VALU_DEP_2) | instskip(NEXT) | instid1(VALU_DEP_2)
	v_wmma_f32_16x16x16_f16 v[8:15], v[28:31], v[62:65], v[8:15]
	v_wmma_f32_16x16x16_f16 v[0:7], v[40:43], v[62:65], v[0:7]
	s_wait_dscnt 0x1
	s_delay_alu instid0(VALU_DEP_2) | instskip(NEXT) | instid1(VALU_DEP_2)
	;; [unrolled: 4-line block ×3, first 2 shown]
	v_wmma_f32_16x16x16_f16 v[8:15], v[16:19], v[70:73], v[8:15]
	v_wmma_f32_16x16x16_f16 v[0:7], v[20:23], v[70:73], v[0:7]
	s_wait_alu 0xfffe
	s_and_not1_b32 exec_lo, exec_lo, s69
	s_cbranch_execz .LBB42_18
.LBB42_6:                               ; =>This Inner Loop Header: Depth=1
	v_add_nc_u32_e32 v22, s42, v48
	v_add_nc_u32_e32 v16, s40, v48
	s_wait_alu 0xfffe
	v_add_co_u32 v20, vcc_lo, v49, s12
	v_add_nc_u32_e32 v18, s41, v48
	s_wait_alu 0xfffd
	v_add_co_ci_u32_e64 v21, null, s13, v50, vcc_lo
	v_ashrrev_i32_e32 v23, 31, v22
	v_ashrrev_i32_e32 v17, 31, v16
	v_add_nc_u32_e32 v24, s43, v48
	v_ashrrev_i32_e32 v19, 31, v18
	s_clause 0x1
	global_load_b32 v38, v[49:50], off
	global_load_b32 v39, v[20:21], off
	v_lshlrev_b64_e32 v[20:21], 2, v[22:23]
	v_add_nc_u32_e32 v22, s44, v48
	v_lshlrev_b64_e32 v[16:17], 2, v[16:17]
	v_add_nc_u32_e32 v26, s45, v48
	v_ashrrev_i32_e32 v25, 31, v24
	v_lshlrev_b64_e32 v[18:19], 2, v[18:19]
	v_add_nc_u32_e32 v28, s46, v48
	v_ashrrev_i32_e32 v23, 31, v22
	v_add_nc_u32_e32 v30, s47, v48
	v_ashrrev_i32_e32 v27, 31, v26
	v_add_co_u32 v16, vcc_lo, s28, v16
	v_lshlrev_b64_e32 v[24:25], 2, v[24:25]
	v_ashrrev_i32_e32 v29, 31, v28
	s_wait_alu 0xfffd
	v_add_co_ci_u32_e64 v17, null, s29, v17, vcc_lo
	v_add_co_u32 v18, vcc_lo, s28, v18
	v_lshlrev_b64_e32 v[22:23], 2, v[22:23]
	v_ashrrev_i32_e32 v31, 31, v30
	s_wait_alu 0xfffd
	v_add_co_ci_u32_e64 v19, null, s29, v19, vcc_lo
	v_add_co_u32 v20, vcc_lo, s28, v20
	v_lshlrev_b64_e32 v[26:27], 2, v[26:27]
	s_wait_alu 0xfffd
	v_add_co_ci_u32_e64 v21, null, s29, v21, vcc_lo
	v_add_co_u32 v24, vcc_lo, s28, v24
	v_lshlrev_b64_e32 v[28:29], 2, v[28:29]
	;; [unrolled: 4-line block ×3, first 2 shown]
	s_wait_alu 0xfffd
	v_add_co_ci_u32_e64 v23, null, s29, v23, vcc_lo
	v_add_co_u32 v26, vcc_lo, s28, v26
	v_add_nc_u32_e32 v32, s48, v48
	s_wait_alu 0xfffd
	v_add_co_ci_u32_e64 v27, null, s29, v27, vcc_lo
	v_add_co_u32 v28, vcc_lo, s28, v28
	v_add_nc_u32_e32 v34, s49, v48
	;; [unrolled: 4-line block ×3, first 2 shown]
	v_ashrrev_i32_e32 v33, 31, v32
	s_wait_alu 0xfffd
	v_add_co_ci_u32_e64 v31, null, s29, v31, vcc_lo
	s_clause 0x7
	global_load_b32 v40, v[16:17], off
	global_load_b32 v41, v[18:19], off
	;; [unrolled: 1-line block ×8, first 2 shown]
	v_add_nc_u32_e32 v18, s51, v48
	v_ashrrev_i32_e32 v35, 31, v34
	v_add_nc_u32_e32 v24, s52, v48
	v_ashrrev_i32_e32 v37, 31, v36
	v_lshlrev_b64_e32 v[32:33], 2, v[32:33]
	v_add_nc_u32_e32 v26, s53, v48
	v_ashrrev_i32_e32 v19, 31, v18
	v_lshlrev_b64_e32 v[16:17], 2, v[34:35]
	;; [unrolled: 3-line block ×3, first 2 shown]
	v_add_nc_u32_e32 v30, s55, v48
	v_ashrrev_i32_e32 v27, 31, v26
	v_add_co_u32 v20, vcc_lo, s28, v32
	v_lshlrev_b64_e32 v[18:19], 2, v[18:19]
	v_ashrrev_i32_e32 v29, 31, v28
	s_wait_alu 0xfffd
	v_add_co_ci_u32_e64 v21, null, s29, v33, vcc_lo
	v_add_co_u32 v16, vcc_lo, s28, v16
	v_lshlrev_b64_e32 v[24:25], 2, v[24:25]
	v_ashrrev_i32_e32 v31, 31, v30
	s_wait_alu 0xfffd
	v_add_co_ci_u32_e64 v17, null, s29, v17, vcc_lo
	v_add_co_u32 v22, vcc_lo, s28, v22
	v_lshlrev_b64_e32 v[26:27], 2, v[26:27]
	s_wait_alu 0xfffd
	v_add_co_ci_u32_e64 v23, null, s29, v23, vcc_lo
	v_add_co_u32 v18, vcc_lo, s28, v18
	v_lshlrev_b64_e32 v[28:29], 2, v[28:29]
	;; [unrolled: 4-line block ×3, first 2 shown]
	s_wait_alu 0xfffd
	v_add_co_ci_u32_e64 v25, null, s29, v25, vcc_lo
	v_add_co_u32 v26, vcc_lo, s28, v26
	v_add_nc_u32_e32 v32, s56, v48
	s_wait_alu 0xfffd
	v_add_co_ci_u32_e64 v27, null, s29, v27, vcc_lo
	v_add_co_u32 v28, vcc_lo, s28, v28
	v_add_nc_u32_e32 v34, s57, v48
	;; [unrolled: 4-line block ×3, first 2 shown]
	v_ashrrev_i32_e32 v33, 31, v32
	s_wait_alu 0xfffd
	v_add_co_ci_u32_e64 v31, null, s29, v31, vcc_lo
	s_clause 0x7
	global_load_b32 v58, v[20:21], off
	global_load_b32 v59, v[16:17], off
	;; [unrolled: 1-line block ×8, first 2 shown]
	v_add_nc_u32_e32 v18, s59, v48
	v_ashrrev_i32_e32 v35, 31, v34
	v_add_nc_u32_e32 v24, s60, v48
	v_ashrrev_i32_e32 v37, 31, v36
	v_lshlrev_b64_e32 v[32:33], 2, v[32:33]
	v_add_nc_u32_e32 v26, s61, v48
	v_ashrrev_i32_e32 v19, 31, v18
	v_lshlrev_b64_e32 v[16:17], 2, v[34:35]
	;; [unrolled: 3-line block ×3, first 2 shown]
	v_add_nc_u32_e32 v30, s63, v48
	v_ashrrev_i32_e32 v27, 31, v26
	v_add_co_u32 v20, vcc_lo, s28, v32
	v_lshlrev_b64_e32 v[18:19], 2, v[18:19]
	v_ashrrev_i32_e32 v29, 31, v28
	s_wait_alu 0xfffd
	v_add_co_ci_u32_e64 v21, null, s29, v33, vcc_lo
	v_add_co_u32 v16, vcc_lo, s28, v16
	v_lshlrev_b64_e32 v[24:25], 2, v[24:25]
	v_ashrrev_i32_e32 v31, 31, v30
	s_wait_alu 0xfffd
	v_add_co_ci_u32_e64 v17, null, s29, v17, vcc_lo
	v_add_co_u32 v22, vcc_lo, s28, v22
	v_lshlrev_b64_e32 v[26:27], 2, v[26:27]
	s_wait_alu 0xfffd
	v_add_co_ci_u32_e64 v23, null, s29, v23, vcc_lo
	v_add_co_u32 v18, vcc_lo, s28, v18
	v_lshlrev_b64_e32 v[28:29], 2, v[28:29]
	;; [unrolled: 4-line block ×3, first 2 shown]
	s_wait_alu 0xfffd
	v_add_co_ci_u32_e64 v25, null, s29, v25, vcc_lo
	v_add_co_u32 v26, vcc_lo, s28, v26
	v_add_nc_u32_e32 v32, s64, v48
	s_wait_alu 0xfffd
	v_add_co_ci_u32_e64 v27, null, s29, v27, vcc_lo
	v_add_co_u32 v28, vcc_lo, s28, v28
	v_add_nc_u32_e32 v34, s65, v48
	;; [unrolled: 4-line block ×3, first 2 shown]
	v_ashrrev_i32_e32 v33, 31, v32
	s_wait_alu 0xfffd
	v_add_co_ci_u32_e64 v31, null, s29, v31, vcc_lo
	s_clause 0x7
	global_load_b32 v66, v[20:21], off
	global_load_b32 v67, v[16:17], off
	;; [unrolled: 1-line block ×8, first 2 shown]
	v_add_nc_u32_e32 v18, s67, v48
	v_ashrrev_i32_e32 v35, 31, v34
	v_add_nc_u32_e32 v24, s68, v48
	v_ashrrev_i32_e32 v37, 31, v36
	v_lshlrev_b64_e32 v[32:33], 2, v[32:33]
	v_add_nc_u32_e32 v26, s7, v48
	v_ashrrev_i32_e32 v19, 31, v18
	v_lshlrev_b64_e32 v[16:17], 2, v[34:35]
	v_ashrrev_i32_e32 v25, 31, v24
	v_lshlrev_b64_e32 v[22:23], 2, v[36:37]
	v_ashrrev_i32_e32 v27, 31, v26
	v_add_co_u32 v20, vcc_lo, s28, v32
	v_lshlrev_b64_e32 v[18:19], 2, v[18:19]
	s_wait_alu 0xfffd
	v_add_co_ci_u32_e64 v21, null, s29, v33, vcc_lo
	v_add_co_u32 v16, vcc_lo, s28, v16
	v_lshlrev_b64_e32 v[24:25], 2, v[24:25]
	s_wait_alu 0xfffd
	v_add_co_ci_u32_e64 v17, null, s29, v17, vcc_lo
	;; [unrolled: 4-line block ×3, first 2 shown]
	v_add_co_u32 v18, vcc_lo, s28, v18
	s_wait_alu 0xfffd
	v_add_co_ci_u32_e64 v19, null, s29, v19, vcc_lo
	v_add_co_u32 v24, vcc_lo, s28, v24
	s_wait_alu 0xfffd
	v_add_co_ci_u32_e64 v25, null, s29, v25, vcc_lo
	;; [unrolled: 3-line block ×3, first 2 shown]
	s_clause 0x5
	global_load_b32 v20, v[20:21], off
	global_load_b32 v21, v[16:17], off
	;; [unrolled: 1-line block ×6, first 2 shown]
	s_and_not1_b32 vcc_lo, exec_lo, s16
	s_wait_loadcnt 0x1f
	ds_store_b32 v55, v38
	s_wait_loadcnt 0x1e
	ds_store_b32 v55, v39 offset:144
	s_wait_loadcnt 0x1d
	ds_store_b32 v55, v40 offset:288
	;; [unrolled: 2-line block ×15, first 2 shown]
	ds_load_b128 v[32:35], v56
	ds_load_b128 v[28:31], v56 offset:32
	ds_load_b128 v[24:27], v56 offset:64
	;; [unrolled: 1-line block ×3, first 2 shown]
	s_wait_loadcnt 0xf
	ds_store_b32 v55, v64
	s_wait_loadcnt 0xe
	ds_store_b32 v55, v65 offset:144
	s_wait_loadcnt 0xd
	ds_store_b32 v55, v66 offset:288
	;; [unrolled: 2-line block ×15, first 2 shown]
	ds_load_b128 v[44:47], v56
	ds_load_b128 v[40:43], v56 offset:32
	ds_load_b128 v[36:39], v56 offset:64
	;; [unrolled: 1-line block ×3, first 2 shown]
	v_dual_mov_b32 v59, 0 :: v_dual_mov_b32 v58, 0
	s_wait_alu 0xfffe
	s_cbranch_vccnz .LBB42_9
; %bb.7:                                ;   in Loop: Header=BB42_6 Depth=1
	s_load_b32 s2, s[30:31], 0x0
	v_dual_mov_b32 v58, 0 :: v_dual_mov_b32 v59, 0
	s_wait_kmcnt 0x0
	s_mul_u64 s[70:71], s[2:3], s[34:35]
	s_wait_alu 0xfffe
	s_add_co_i32 s70, s2, s71
	s_wait_alu 0xfffe
	s_lshr_b32 s70, s70, s9
	s_wait_alu 0xfffe
	s_cmp_ge_i32 s70, s5
	s_cbranch_scc1 .LBB42_9
; %bb.8:                                ;   in Loop: Header=BB42_6 Depth=1
	v_mad_co_u64_u32 v[58:59], null, s70, s20, v[48:49]
	s_mul_i32 s70, s70, s10
	s_wait_alu 0xfffe
	s_sub_co_i32 s2, s2, s70
	s_wait_alu 0xfffe
	s_mul_i32 s2, s2, s17
	s_wait_alu 0xfffe
	v_lshl_add_u32 v58, v58, 1, s2
	s_delay_alu instid0(VALU_DEP_1) | instskip(NEXT) | instid1(VALU_DEP_1)
	v_ashrrev_i32_e32 v59, 31, v58
	v_lshlrev_b64_e32 v[58:59], 2, v[58:59]
	s_delay_alu instid0(VALU_DEP_1) | instskip(SKIP_1) | instid1(VALU_DEP_2)
	v_add_co_u32 v58, vcc_lo, s14, v58
	s_wait_alu 0xfffd
	v_add_co_ci_u32_e64 v59, null, s15, v59, vcc_lo
	global_load_b64 v[59:60], v[58:59], off
	s_wait_loadcnt 0x0
	v_cvt_f16_f32_e32 v59, v59
	v_cvt_f16_f32_e32 v58, v60
.LBB42_9:                               ;   in Loop: Header=BB42_6 Depth=1
	v_dual_mov_b32 v60, 0 :: v_dual_mov_b32 v61, 0
	v_mov_b32_e32 v62, 0
	s_and_not1_b32 vcc_lo, exec_lo, s38
	s_wait_alu 0xfffe
	s_cbranch_vccnz .LBB42_12
; %bb.10:                               ;   in Loop: Header=BB42_6 Depth=1
	s_load_b32 s2, s[30:31], 0x4
	v_dual_mov_b32 v61, 0 :: v_dual_mov_b32 v62, 0
	s_wait_kmcnt 0x0
	s_mul_u64 s[70:71], s[2:3], s[34:35]
	s_wait_alu 0xfffe
	s_add_co_i32 s70, s2, s71
	s_wait_alu 0xfffe
	s_lshr_b32 s70, s70, s9
	s_wait_alu 0xfffe
	s_cmp_ge_i32 s70, s5
	s_cbranch_scc1 .LBB42_12
; %bb.11:                               ;   in Loop: Header=BB42_6 Depth=1
	v_mad_co_u64_u32 v[61:62], null, s70, s20, v[48:49]
	s_mul_i32 s70, s70, s10
	s_wait_alu 0xfffe
	s_sub_co_i32 s2, s2, s70
	s_wait_alu 0xfffe
	s_mul_i32 s2, s2, s17
	s_wait_alu 0xfffe
	v_lshl_add_u32 v61, v61, 1, s2
	s_delay_alu instid0(VALU_DEP_1) | instskip(NEXT) | instid1(VALU_DEP_1)
	v_ashrrev_i32_e32 v62, 31, v61
	v_lshlrev_b64_e32 v[61:62], 2, v[61:62]
	s_delay_alu instid0(VALU_DEP_1) | instskip(SKIP_1) | instid1(VALU_DEP_2)
	v_add_co_u32 v61, vcc_lo, s14, v61
	s_wait_alu 0xfffd
	v_add_co_ci_u32_e64 v62, null, s15, v62, vcc_lo
	global_load_b64 v[62:63], v[61:62], off
	s_wait_loadcnt 0x0
	v_cvt_f16_f32_e32 v62, v62
	v_cvt_f16_f32_e32 v61, v63
.LBB42_12:                              ;   in Loop: Header=BB42_6 Depth=1
	v_mov_b32_e32 v63, 0
	s_and_not1_b32 vcc_lo, exec_lo, s39
	s_wait_alu 0xfffe
	s_cbranch_vccnz .LBB42_15
; %bb.13:                               ;   in Loop: Header=BB42_6 Depth=1
	s_load_b32 s2, s[30:31], 0x8
	v_dual_mov_b32 v63, 0 :: v_dual_mov_b32 v60, 0
	s_wait_kmcnt 0x0
	s_mul_u64 s[70:71], s[2:3], s[34:35]
	s_wait_alu 0xfffe
	s_add_co_i32 s70, s2, s71
	s_wait_alu 0xfffe
	s_lshr_b32 s70, s70, s9
	s_wait_alu 0xfffe
	s_cmp_ge_i32 s70, s5
	s_cbranch_scc1 .LBB42_15
; %bb.14:                               ;   in Loop: Header=BB42_6 Depth=1
	v_mad_co_u64_u32 v[63:64], null, s70, s20, v[48:49]
	s_mul_i32 s70, s70, s10
	s_wait_alu 0xfffe
	s_sub_co_i32 s2, s2, s70
	s_wait_alu 0xfffe
	s_mul_i32 s2, s2, s17
	s_wait_alu 0xfffe
	v_lshl_add_u32 v63, v63, 1, s2
	s_delay_alu instid0(VALU_DEP_1) | instskip(NEXT) | instid1(VALU_DEP_1)
	v_ashrrev_i32_e32 v64, 31, v63
	v_lshlrev_b64_e32 v[63:64], 2, v[63:64]
	s_delay_alu instid0(VALU_DEP_1) | instskip(SKIP_1) | instid1(VALU_DEP_2)
	v_add_co_u32 v63, vcc_lo, s14, v63
	s_wait_alu 0xfffd
	v_add_co_ci_u32_e64 v64, null, s15, v64, vcc_lo
	global_load_b64 v[63:64], v[63:64], off
	s_wait_loadcnt 0x0
	v_cvt_f16_f32_e32 v60, v63
	v_cvt_f16_f32_e32 v63, v64
.LBB42_15:                              ;   in Loop: Header=BB42_6 Depth=1
	v_dual_mov_b32 v64, 0 :: v_dual_mov_b32 v65, 0
	s_and_not1_b32 vcc_lo, exec_lo, s8
	s_wait_alu 0xfffe
	s_cbranch_vccnz .LBB42_5
; %bb.16:                               ;   in Loop: Header=BB42_6 Depth=1
	s_load_b32 s2, s[30:31], 0xc
	v_dual_mov_b32 v65, 0 :: v_dual_mov_b32 v64, 0
	s_wait_kmcnt 0x0
	s_mul_u64 s[70:71], s[2:3], s[34:35]
	s_wait_alu 0xfffe
	s_add_co_i32 s70, s2, s71
	s_wait_alu 0xfffe
	s_lshr_b32 s70, s70, s9
	s_wait_alu 0xfffe
	s_cmp_ge_i32 s70, s5
	s_cbranch_scc1 .LBB42_5
; %bb.17:                               ;   in Loop: Header=BB42_6 Depth=1
	v_mad_co_u64_u32 v[64:65], null, s70, s20, v[48:49]
	s_mul_i32 s70, s70, s10
	s_wait_alu 0xfffe
	s_sub_co_i32 s2, s2, s70
	s_wait_alu 0xfffe
	s_mul_i32 s2, s2, s17
	s_wait_alu 0xfffe
	v_lshl_add_u32 v64, v64, 1, s2
	s_delay_alu instid0(VALU_DEP_1) | instskip(NEXT) | instid1(VALU_DEP_1)
	v_ashrrev_i32_e32 v65, 31, v64
	v_lshlrev_b64_e32 v[64:65], 2, v[64:65]
	s_delay_alu instid0(VALU_DEP_1) | instskip(SKIP_1) | instid1(VALU_DEP_2)
	v_add_co_u32 v64, vcc_lo, s14, v64
	s_wait_alu 0xfffd
	v_add_co_ci_u32_e64 v65, null, s15, v65, vcc_lo
	global_load_b64 v[64:65], v[64:65], off
	s_wait_loadcnt 0x0
	v_cvt_f16_f32_e32 v64, v64
	v_cvt_f16_f32_e32 v65, v65
	s_branch .LBB42_5
.LBB42_18:
	s_or_b32 exec_lo, exec_lo, s69
.LBB42_19:
	s_delay_alu instid0(SALU_CYCLE_1)
	s_or_b32 exec_lo, exec_lo, s37
	s_load_b64 s[0:1], s[0:1], 0x18
	v_lshlrev_b32_e32 v16, 1, v51
	v_lshl_add_u32 v17, v53, 2, 0
	v_mul_u32_u24_e32 v18, 0x310, v54
	s_barrier_signal -1
	s_delay_alu instid0(VALU_DEP_3)
	v_and_b32_e32 v16, 0x7e0, v16
	s_barrier_wait -1
	global_inv scope:SCOPE_SE
	s_mov_b32 s2, exec_lo
	v_add3_u32 v16, v17, v18, v16
	ds_store_2addr_b32 v16, v8, v9 offset1:1
	ds_store_2addr_b32 v16, v10, v11 offset0:2 offset1:3
	ds_store_2addr_b32 v16, v12, v13 offset0:4 offset1:5
	;; [unrolled: 1-line block ×7, first 2 shown]
	s_wait_loadcnt_dscnt 0x0
	s_barrier_signal -1
	s_barrier_wait -1
	global_inv scope:SCOPE_SE
	v_cmpx_gt_u32_e32 4, v52
	s_cbranch_execz .LBB42_23
; %bb.20:
	v_or_b32_e32 v0, s36, v52
	s_cmp_gt_i32 s6, 0
	s_cselect_b32 s2, -1, 0
	s_delay_alu instid0(VALU_DEP_1)
	v_cmp_gt_i32_e32 vcc_lo, s19, v0
	s_wait_alu 0xfffe
	s_and_b32 s2, s2, vcc_lo
	s_wait_alu 0xfffe
	s_and_b32 exec_lo, exec_lo, s2
	s_cbranch_execz .LBB42_23
; %bb.21:
	v_lshlrev_b32_e32 v0, 2, v0
	s_lshl_b64 s[2:3], s[24:25], 2
	s_wait_kmcnt 0x0
	s_wait_alu 0xfffe
	s_add_nc_u64 s[0:1], s[0:1], s[2:3]
	global_load_b32 v0, v0, s[0:1]
	s_wait_loadcnt 0x0
	v_mul_hi_u32 v1, v0, s11
	s_delay_alu instid0(VALU_DEP_1) | instskip(NEXT) | instid1(VALU_DEP_1)
	v_add_nc_u32_e32 v1, v0, v1
	v_lshrrev_b32_e32 v1, s22, v1
	s_delay_alu instid0(VALU_DEP_1)
	v_cmp_gt_i32_e32 vcc_lo, s5, v1
	s_and_b32 exec_lo, exec_lo, vcc_lo
	s_cbranch_execz .LBB42_23
; %bb.22:
	v_lshlrev_b32_e32 v2, 2, v51
	v_mul_u32_u24_e32 v3, 0x310, v52
	v_mul_lo_u32 v8, v1, s23
	s_delay_alu instid0(VALU_DEP_2)
	v_add3_u32 v6, 0, v2, v3
	ds_load_2addr_b32 v[2:3], v6 offset1:32
	ds_load_2addr_b32 v[4:5], v6 offset0:64 offset1:96
	v_sub_nc_u32_e32 v0, v0, v8
	ds_load_2addr_b32 v[6:7], v6 offset0:128 offset1:160
	v_mul_lo_u32 v0, v0, s18
	s_wait_dscnt 0x2
	v_add_f32_e32 v2, 0, v2
	s_delay_alu instid0(VALU_DEP_1) | instskip(SKIP_2) | instid1(VALU_DEP_2)
	v_add_f32_e32 v2, v2, v3
	v_mul_lo_u32 v3, v1, s21
	s_wait_dscnt 0x1
	v_dual_mov_b32 v1, 0 :: v_dual_add_f32 v2, v2, v4
	v_add_nc_u32_e32 v4, s33, v51
	s_delay_alu instid0(VALU_DEP_2) | instskip(NEXT) | instid1(VALU_DEP_2)
	v_add_f32_e32 v2, v2, v5
	v_add3_u32 v0, v4, v3, v0
	s_wait_dscnt 0x0
	s_delay_alu instid0(VALU_DEP_2) | instskip(NEXT) | instid1(VALU_DEP_2)
	v_add_f32_e32 v2, v2, v6
	v_lshlrev_b64_e32 v[0:1], 2, v[0:1]
	s_delay_alu instid0(VALU_DEP_2) | instskip(NEXT) | instid1(VALU_DEP_2)
	v_add_f32_e32 v2, v2, v7
	v_add_co_u32 v0, vcc_lo, s26, v0
	s_wait_alu 0xfffd
	s_delay_alu instid0(VALU_DEP_3)
	v_add_co_ci_u32_e64 v1, null, s27, v1, vcc_lo
	global_store_b32 v[0:1], v2, off
.LBB42_23:
	s_endpgm
	.section	.rodata,"a",@progbits
	.p2align	6, 0x0
	.amdhsa_kernel _ZL13mul_mat_f_idsI7__half2Li32ELi4ELi6EEvPKT_PKfPKiS7_S7_Pfiiiiiiiiiiiiii15HIP_vector_typeIjLj3EESA_
		.amdhsa_group_segment_fixed_size 0
		.amdhsa_private_segment_fixed_size 0
		.amdhsa_kernarg_size 128
		.amdhsa_user_sgpr_count 2
		.amdhsa_user_sgpr_dispatch_ptr 0
		.amdhsa_user_sgpr_queue_ptr 0
		.amdhsa_user_sgpr_kernarg_segment_ptr 1
		.amdhsa_user_sgpr_dispatch_id 0
		.amdhsa_user_sgpr_private_segment_size 0
		.amdhsa_wavefront_size32 1
		.amdhsa_uses_dynamic_stack 0
		.amdhsa_enable_private_segment 0
		.amdhsa_system_sgpr_workgroup_id_x 1
		.amdhsa_system_sgpr_workgroup_id_y 1
		.amdhsa_system_sgpr_workgroup_id_z 1
		.amdhsa_system_sgpr_workgroup_info 0
		.amdhsa_system_vgpr_workitem_id 1
		.amdhsa_next_free_vgpr 74
		.amdhsa_next_free_sgpr 74
		.amdhsa_reserve_vcc 1
		.amdhsa_float_round_mode_32 0
		.amdhsa_float_round_mode_16_64 0
		.amdhsa_float_denorm_mode_32 3
		.amdhsa_float_denorm_mode_16_64 3
		.amdhsa_fp16_overflow 0
		.amdhsa_workgroup_processor_mode 1
		.amdhsa_memory_ordered 1
		.amdhsa_forward_progress 1
		.amdhsa_inst_pref_size 32
		.amdhsa_round_robin_scheduling 0
		.amdhsa_exception_fp_ieee_invalid_op 0
		.amdhsa_exception_fp_denorm_src 0
		.amdhsa_exception_fp_ieee_div_zero 0
		.amdhsa_exception_fp_ieee_overflow 0
		.amdhsa_exception_fp_ieee_underflow 0
		.amdhsa_exception_fp_ieee_inexact 0
		.amdhsa_exception_int_div_zero 0
	.end_amdhsa_kernel
	.section	.text._ZL13mul_mat_f_idsI7__half2Li32ELi4ELi6EEvPKT_PKfPKiS7_S7_Pfiiiiiiiiiiiiii15HIP_vector_typeIjLj3EESA_,"axG",@progbits,_ZL13mul_mat_f_idsI7__half2Li32ELi4ELi6EEvPKT_PKfPKiS7_S7_Pfiiiiiiiiiiiiii15HIP_vector_typeIjLj3EESA_,comdat
.Lfunc_end42:
	.size	_ZL13mul_mat_f_idsI7__half2Li32ELi4ELi6EEvPKT_PKfPKiS7_S7_Pfiiiiiiiiiiiiii15HIP_vector_typeIjLj3EESA_, .Lfunc_end42-_ZL13mul_mat_f_idsI7__half2Li32ELi4ELi6EEvPKT_PKfPKiS7_S7_Pfiiiiiiiiiiiiii15HIP_vector_typeIjLj3EESA_
                                        ; -- End function
	.set _ZL13mul_mat_f_idsI7__half2Li32ELi4ELi6EEvPKT_PKfPKiS7_S7_Pfiiiiiiiiiiiiii15HIP_vector_typeIjLj3EESA_.num_vgpr, 74
	.set _ZL13mul_mat_f_idsI7__half2Li32ELi4ELi6EEvPKT_PKfPKiS7_S7_Pfiiiiiiiiiiiiii15HIP_vector_typeIjLj3EESA_.num_agpr, 0
	.set _ZL13mul_mat_f_idsI7__half2Li32ELi4ELi6EEvPKT_PKfPKiS7_S7_Pfiiiiiiiiiiiiii15HIP_vector_typeIjLj3EESA_.numbered_sgpr, 74
	.set _ZL13mul_mat_f_idsI7__half2Li32ELi4ELi6EEvPKT_PKfPKiS7_S7_Pfiiiiiiiiiiiiii15HIP_vector_typeIjLj3EESA_.num_named_barrier, 0
	.set _ZL13mul_mat_f_idsI7__half2Li32ELi4ELi6EEvPKT_PKfPKiS7_S7_Pfiiiiiiiiiiiiii15HIP_vector_typeIjLj3EESA_.private_seg_size, 0
	.set _ZL13mul_mat_f_idsI7__half2Li32ELi4ELi6EEvPKT_PKfPKiS7_S7_Pfiiiiiiiiiiiiii15HIP_vector_typeIjLj3EESA_.uses_vcc, 1
	.set _ZL13mul_mat_f_idsI7__half2Li32ELi4ELi6EEvPKT_PKfPKiS7_S7_Pfiiiiiiiiiiiiii15HIP_vector_typeIjLj3EESA_.uses_flat_scratch, 0
	.set _ZL13mul_mat_f_idsI7__half2Li32ELi4ELi6EEvPKT_PKfPKiS7_S7_Pfiiiiiiiiiiiiii15HIP_vector_typeIjLj3EESA_.has_dyn_sized_stack, 0
	.set _ZL13mul_mat_f_idsI7__half2Li32ELi4ELi6EEvPKT_PKfPKiS7_S7_Pfiiiiiiiiiiiiii15HIP_vector_typeIjLj3EESA_.has_recursion, 0
	.set _ZL13mul_mat_f_idsI7__half2Li32ELi4ELi6EEvPKT_PKfPKiS7_S7_Pfiiiiiiiiiiiiii15HIP_vector_typeIjLj3EESA_.has_indirect_call, 0
	.section	.AMDGPU.csdata,"",@progbits
; Kernel info:
; codeLenInByte = 4056
; TotalNumSgprs: 76
; NumVgprs: 74
; ScratchSize: 0
; MemoryBound: 0
; FloatMode: 240
; IeeeMode: 1
; LDSByteSize: 0 bytes/workgroup (compile time only)
; SGPRBlocks: 0
; VGPRBlocks: 9
; NumSGPRsForWavesPerEU: 76
; NumVGPRsForWavesPerEU: 74
; Occupancy: 16
; WaveLimiterHint : 1
; COMPUTE_PGM_RSRC2:SCRATCH_EN: 0
; COMPUTE_PGM_RSRC2:USER_SGPR: 2
; COMPUTE_PGM_RSRC2:TRAP_HANDLER: 0
; COMPUTE_PGM_RSRC2:TGID_X_EN: 1
; COMPUTE_PGM_RSRC2:TGID_Y_EN: 1
; COMPUTE_PGM_RSRC2:TGID_Z_EN: 1
; COMPUTE_PGM_RSRC2:TIDIG_COMP_CNT: 1
	.section	.text._ZL9mul_mat_fI7__half2Li32ELi4ELi6ELb1EEvPKT_PKfPKiPfiiiiiiiiiiiiiiii,"axG",@progbits,_ZL9mul_mat_fI7__half2Li32ELi4ELi6ELb1EEvPKT_PKfPKiPfiiiiiiiiiiiiiiii,comdat
	.globl	_ZL9mul_mat_fI7__half2Li32ELi4ELi6ELb1EEvPKT_PKfPKiPfiiiiiiiiiiiiiiii ; -- Begin function _ZL9mul_mat_fI7__half2Li32ELi4ELi6ELb1EEvPKT_PKfPKiPfiiiiiiiiiiiiiiii
	.p2align	8
	.type	_ZL9mul_mat_fI7__half2Li32ELi4ELi6ELb1EEvPKT_PKfPKiPfiiiiiiiiiiiiiiii,@function
_ZL9mul_mat_fI7__half2Li32ELi4ELi6ELb1EEvPKT_PKfPKiPfiiiiiiiiiiiiiiii: ; @_ZL9mul_mat_fI7__half2Li32ELi4ELi6ELb1EEvPKT_PKfPKiPfiiiiiiiiiiiiiiii
; %bb.0:
	s_load_b256 s[4:11], s[0:1], 0x20
	s_mov_b32 s29, 0
	v_bfe_u32 v55, v0, 10, 10
	v_and_b32_e32 v48, 0x3ff, v0
	s_wait_kmcnt 0x0
	s_add_co_i32 s2, s5, 3
	s_delay_alu instid0(SALU_CYCLE_1) | instskip(NEXT) | instid1(SALU_CYCLE_1)
	s_ashr_i32 s3, s2, 31
	s_lshr_b32 s3, s3, 30
	s_delay_alu instid0(SALU_CYCLE_1) | instskip(NEXT) | instid1(SALU_CYCLE_1)
	s_add_co_i32 s2, s2, s3
	s_ashr_i32 s2, s2, 2
	s_delay_alu instid0(SALU_CYCLE_1) | instskip(SKIP_1) | instid1(SALU_CYCLE_2)
	s_cvt_f32_u32 s3, s2
	s_sub_co_i32 s13, 0, s2
	v_rcp_iflag_f32_e32 v1, s3
	s_load_b32 s3, s[0:1], 0x64
	s_delay_alu instid0(TRANS32_DEP_1) | instskip(SKIP_1) | instid1(SALU_CYCLE_3)
	v_readfirstlane_b32 s12, v1
	s_mul_f32 s12, s12, 0x4f7ffffe
	s_cvt_u32_f32 s12, s12
	s_delay_alu instid0(SALU_CYCLE_3) | instskip(NEXT) | instid1(SALU_CYCLE_1)
	s_mul_i32 s13, s13, s12
	s_mul_hi_u32 s13, s12, s13
	s_delay_alu instid0(SALU_CYCLE_1) | instskip(SKIP_4) | instid1(SALU_CYCLE_1)
	s_add_co_i32 s12, s12, s13
	s_wait_kmcnt 0x0
	s_mul_hi_u32 s16, s3, s12
	s_load_b128 s[12:15], s[0:1], 0x44
	s_mul_i32 s17, s16, s2
	s_sub_co_i32 s3, s3, s17
	s_add_co_i32 s17, s16, 1
	s_wait_alu 0xfffe
	s_sub_co_i32 s18, s3, s2
	s_cmp_ge_u32 s3, s2
	s_cselect_b32 s16, s17, s16
	s_cselect_b32 s3, s18, s3
	s_add_co_i32 s17, s16, 1
	s_wait_alu 0xfffe
	s_cmp_ge_u32 s3, s2
	s_mov_b32 s3, s29
	s_cselect_b32 s18, s17, s16
	s_lshr_b32 s24, ttmp7, 16
	s_cvt_f32_u32 s2, s18
	s_wait_alu 0xfffe
	s_delay_alu instid0(SALU_CYCLE_2) | instskip(SKIP_2) | instid1(SALU_CYCLE_1)
	v_rcp_iflag_f32_e32 v1, s2
	s_wait_kmcnt 0x0
	s_abs_i32 s33, s15
	s_cvt_f32_u32 s2, s33
	s_wait_alu 0xfffe
	s_delay_alu instid0(SALU_CYCLE_2) | instskip(NEXT) | instid1(TRANS32_DEP_2)
	v_rcp_iflag_f32_e32 v2, s2
	v_readfirstlane_b32 s2, v1
	s_mul_f32 s2, s2, 0x4f7ffffe
	s_delay_alu instid0(TRANS32_DEP_1) | instskip(SKIP_1) | instid1(SALU_CYCLE_1)
	v_readfirstlane_b32 s16, v2
	s_wait_alu 0xfffe
	s_cvt_u32_f32 s17, s2
	s_sub_co_i32 s2, 0, s18
	s_mul_f32 s16, s16, 0x4f7ffffe
	s_wait_alu 0xfffe
	s_mul_i32 s19, s2, s17
	s_and_b32 s2, ttmp7, 0xffff
	s_mul_hi_u32 s20, s17, s19
	s_cvt_u32_f32 s19, s16
	s_add_co_i32 s28, s17, s20
	s_sub_co_i32 s20, 0, s33
	s_wait_alu 0xfffe
	s_mul_u64 s[16:17], s[2:3], s[28:29]
	s_mul_i32 s20, s20, s19
	s_mov_b32 s16, exec_lo
	s_mul_hi_u32 s3, s19, s20
	v_cmpx_eq_u32_e32 0, v48
; %bb.1:
	v_lshl_add_u32 v1, v55, 2, 0x100
	v_mov_b32_e32 v2, -1
	ds_store_b32 v1, v2
; %bb.2:
	s_or_b32 exec_lo, exec_lo, s16
	s_mul_i32 s16, s17, s18
	s_load_b96 s[20:22], s[0:1], 0x54
	s_add_co_i32 s30, s19, s3
	s_sub_co_i32 s3, s2, s16
	s_abs_i32 s28, s24
	s_add_co_i32 s16, s17, 1
	s_wait_alu 0xfffe
	s_sub_co_i32 s19, s3, s18
	s_cmp_ge_u32 s3, s18
	v_mov_b32_e32 v3, 0
	s_cselect_b32 s16, s16, s17
	s_cselect_b32 s3, s19, s3
	s_add_co_i32 s17, s16, 1
	s_wait_alu 0xfffe
	s_cmp_ge_u32 s3, s18
	s_cselect_b32 s3, s17, s16
	s_add_nc_u64 s[16:17], s[0:1], 0x60
	s_wait_alu 0xfffe
	s_lshl_b32 s26, s3, 2
	s_mul_i32 s3, s3, s18
	v_add_nc_u32_e32 v1, s26, v55
	s_wait_alu 0xfffe
	s_sub_co_i32 s34, s2, s3
	s_ashr_i32 s27, s26, 31
	s_mov_b32 s3, exec_lo
	v_cmpx_gt_i32_e64 s5, v1
	s_cbranch_execz .LBB43_10
; %bb.3:
	v_mov_b32_e32 v3, 0
	s_mov_b32 s18, exec_lo
	v_cmpx_gt_i32_e64 s6, v48
	s_cbranch_execz .LBB43_9
; %bb.4:
	s_load_b64 s[36:37], s[0:1], 0x10
	v_mul_lo_u32 v1, v55, s11
	s_ashr_i32 s39, s11, 31
	s_mov_b32 s38, s11
	v_lshl_add_u32 v4, v55, 2, 0x100
	s_mul_u64 s[38:39], s[26:27], s[38:39]
	v_mov_b32_e32 v3, 0
	s_lshl_b64 s[38:39], s[38:39], 2
	v_mov_b32_e32 v7, v48
	v_ashrrev_i32_e32 v2, 31, v1
	s_lshl_b32 s11, s10, 5
	s_delay_alu instid0(VALU_DEP_1)
	v_lshlrev_b64_e32 v[5:6], 2, v[1:2]
	v_mul_lo_u32 v1, v48, s10
	s_mov_b32 s10, 0
	s_wait_kmcnt 0x0
	s_add_nc_u64 s[36:37], s[36:37], s[38:39]
	s_delay_alu instid0(VALU_DEP_2) | instid1(SALU_CYCLE_1)
	v_add_co_u32 v5, vcc_lo, s36, v5
	s_delay_alu instid0(VALU_DEP_1)
	v_add_co_ci_u32_e64 v6, null, s37, v6, vcc_lo
	s_branch .LBB43_6
.LBB43_5:                               ;   in Loop: Header=BB43_6 Depth=1
	s_or_b32 exec_lo, exec_lo, s19
	v_add_nc_u32_e32 v7, 32, v7
	s_xor_b32 s19, vcc_lo, -1
	s_wait_alu 0xfffe
	v_add_nc_u32_e32 v1, s11, v1
	s_delay_alu instid0(VALU_DEP_2)
	v_cmp_le_i32_e64 s2, s6, v7
	s_or_b32 s2, s19, s2
	s_wait_alu 0xfffe
	s_and_b32 s2, exec_lo, s2
	s_wait_alu 0xfffe
	s_or_b32 s10, s2, s10
	s_wait_alu 0xfffe
	s_and_not1_b32 exec_lo, exec_lo, s10
	s_cbranch_execz .LBB43_8
.LBB43_6:                               ; =>This Inner Loop Header: Depth=1
	s_delay_alu instid0(VALU_DEP_3) | instskip(SKIP_1) | instid1(VALU_DEP_1)
	v_ashrrev_i32_e32 v2, 31, v1
	s_mov_b32 s19, exec_lo
	v_lshlrev_b64_e32 v[8:9], 2, v[1:2]
	s_delay_alu instid0(VALU_DEP_1) | instskip(SKIP_1) | instid1(VALU_DEP_2)
	v_add_co_u32 v8, vcc_lo, v5, v8
	s_wait_alu 0xfffd
	v_add_co_ci_u32_e64 v9, null, v6, v9, vcc_lo
	global_load_b32 v2, v[8:9], off
	s_wait_loadcnt 0x0
	v_cmp_ne_u32_e32 vcc_lo, s34, v2
	v_cmpx_eq_u32_e64 s34, v2
	s_cbranch_execz .LBB43_5
; %bb.7:                                ;   in Loop: Header=BB43_6 Depth=1
	v_mov_b32_e32 v3, 1
	ds_store_b32 v4, v7
	s_branch .LBB43_5
.LBB43_8:
	s_or_b32 exec_lo, exec_lo, s10
.LBB43_9:
	s_delay_alu instid0(SALU_CYCLE_1)
	s_or_b32 exec_lo, exec_lo, s18
.LBB43_10:
	s_wait_alu 0xfffe
	s_or_b32 exec_lo, exec_lo, s3
	v_or_b32_dpp v1, v3, v3 row_shl:1 row_mask:0xf bank_mask:0xf bound_ctrl:1
	s_load_b64 s[10:11], s[16:17], 0xc
	s_mov_b32 s31, s29
	s_delay_alu instid0(VALU_DEP_1) | instskip(NEXT) | instid1(VALU_DEP_1)
	v_or_b32_dpp v1, v1, v1 row_shl:2 row_mask:0xf bank_mask:0xf bound_ctrl:1
	v_or_b32_dpp v1, v1, v1 row_shl:4 row_mask:0xf bank_mask:0xf bound_ctrl:1
	s_delay_alu instid0(VALU_DEP_1) | instskip(NEXT) | instid1(VALU_DEP_1)
	v_or_b32_dpp v1, v1, v1 row_shl:8 row_mask:0xf bank_mask:0xf bound_ctrl:1
	v_mov_b32_dpp v1, v1 row_share:0 row_mask:0xf bank_mask:0xf bound_ctrl:1
	s_wait_kmcnt 0x0
	s_lshr_b32 s3, s10, 16
	s_and_b32 s2, s10, 0xffff
	s_and_b32 s10, s11, 0xffff
	s_wait_alu 0xfffe
	s_mul_i32 s6, s3, s2
	v_permlanex16_b32 v2, v1, 0, 0 op_sel:[0,1]
	s_wait_alu 0xfffe
	s_bfe_i32 s6, s6, 0x180000
	s_wait_alu 0xfffe
	s_mul_i32 s6, s6, s10
	s_wait_alu 0xfffe
	s_add_co_i32 s6, s6, 31
	v_or_b32_e32 v2, v2, v1
	s_wait_alu 0xfffe
	s_and_not1_b32 s6, s6, 31
	s_wait_alu 0xfffe
	s_cmp_lg_u32 s6, 32
	s_cbranch_scc0 .LBB43_19
; %bb.11:
	v_bfe_u32 v0, v0, 20, 10
	s_delay_alu instid0(VALU_DEP_1) | instskip(NEXT) | instid1(VALU_DEP_1)
	v_mad_u32_u24 v0, v0, s3, v55
	v_mad_co_u64_u32 v[0:1], null, v0, s2, v[48:49]
	v_mbcnt_lo_u32_b32 v1, -1, 0
	s_mov_b32 s2, exec_lo
	s_delay_alu instid0(VALU_DEP_2) | instskip(NEXT) | instid1(VALU_DEP_1)
	v_lshrrev_b32_e32 v3, 5, v0
	v_or_b32_e32 v3, v1, v3
	s_delay_alu instid0(VALU_DEP_1)
	v_cmpx_eq_u32_e32 0, v3
; %bb.12:
	v_mov_b32_e32 v3, 0
	ds_store_b32 v3, v2
; %bb.13:
	s_wait_alu 0xfffe
	s_or_b32 exec_lo, exec_lo, s2
	v_cmp_eq_u32_e32 vcc_lo, 0, v1
	v_cmp_lt_u32_e64 s2, 31, v0
	s_mov_b32 s3, 0
	s_wait_dscnt 0x0
	s_barrier_signal -1
	s_barrier_wait -1
	s_and_b32 s6, s2, vcc_lo
	global_inv scope:SCOPE_SE
	s_wait_alu 0xfffe
	s_and_saveexec_b32 s2, s6
	s_cbranch_execz .LBB43_18
; %bb.14:
	s_mov_b32 s6, exec_lo
.LBB43_15:                              ; =>This Inner Loop Header: Depth=1
	s_wait_alu 0xfffe
	s_ctz_i32_b32 s10, s6
	s_wait_alu 0xfffe
	v_readlane_b32 s11, v2, s10
	s_lshl_b32 s10, 1, s10
	s_wait_alu 0xfffe
	s_and_not1_b32 s6, s6, s10
	s_or_b32 s3, s3, s11
	s_wait_alu 0xfffe
	s_cmp_lg_u32 s6, 0
	s_cbranch_scc1 .LBB43_15
; %bb.16:
	v_mbcnt_lo_u32_b32 v0, exec_lo, 0
	s_mov_b32 s6, exec_lo
	s_delay_alu instid0(VALU_DEP_1)
	v_cmpx_eq_u32_e32 0, v0
	s_wait_alu 0xfffe
	s_xor_b32 s6, exec_lo, s6
; %bb.17:
	v_dual_mov_b32 v0, 0 :: v_dual_mov_b32 v1, s3
	ds_or_b32 v0, v1
.LBB43_18:
	s_wait_alu 0xfffe
	s_or_b32 exec_lo, exec_lo, s2
	v_mov_b32_e32 v0, 0
	s_wait_loadcnt_dscnt 0x0
	s_barrier_signal -1
	s_barrier_wait -1
	global_inv scope:SCOPE_SE
	ds_load_b32 v2, v0
	s_wait_loadcnt_dscnt 0x0
	s_barrier_signal -1
	s_barrier_wait -1
	global_inv scope:SCOPE_SE
.LBB43_19:
	s_clause 0x1
	s_load_b128 s[16:19], s[0:1], 0x0
	s_load_b64 s[2:3], s[0:1], 0x18
	s_mul_u64 s[0:1], s[28:29], s[30:31]
	s_ashr_i32 s0, s15, 31
	s_mov_b32 s25, 0
	s_mov_b32 s6, exec_lo
	v_cmpx_ne_u32_e32 0, v2
	s_cbranch_execz .LBB43_45
; %bb.20:
	v_lshlrev_b32_e32 v56, 5, v55
	v_and_b32_e32 v57, 15, v48
	s_mov_b32 s6, exec_lo
	s_delay_alu instid0(VALU_DEP_2) | instskip(NEXT) | instid1(VALU_DEP_1)
	v_add_nc_u32_e32 v59, v56, v48
	v_cmpx_le_i32_e64 s4, v59
	s_wait_alu 0xfffe
	s_xor_b32 s6, exec_lo, s6
; %bb.21:
	v_and_b32_e32 v57, 15, v48
                                        ; implicit-def: $vgpr59
; %bb.22:
	s_wait_alu 0xfffe
	s_or_saveexec_b32 s23, s6
	v_dual_mov_b32 v15, 0 :: v_dual_lshlrev_b32 v58, 1, v48
	s_lshl_b32 s15, ttmp9, 5
	s_delay_alu instid0(VALU_DEP_1)
	v_dual_mov_b32 v14, v15 :: v_dual_mov_b32 v13, v15
	v_dual_mov_b32 v12, v15 :: v_dual_mov_b32 v11, v15
	;; [unrolled: 1-line block ×7, first 2 shown]
	v_mov_b32_e32 v0, v15
	s_xor_b32 exec_lo, exec_lo, s23
	s_cbranch_execz .LBB43_42
; %bb.23:
	s_mul_i32 s6, s1, s33
	s_add_co_i32 s11, s1, 1
	s_wait_alu 0xfffe
	s_sub_co_i32 s6, s28, s6
	s_mov_b32 s10, s20
	s_wait_alu 0xfffe
	s_sub_co_i32 s29, s6, s33
	s_cmp_ge_u32 s6, s33
	s_mul_i32 s28, s34, s12
	s_cselect_b32 s1, s11, s1
	s_cselect_b32 s6, s29, s6
	s_add_co_i32 s11, s1, 1
	s_wait_alu 0xfffe
	s_cmp_ge_u32 s6, s33
	s_mul_i32 s30, s7, s15
	s_cselect_b32 s1, s11, s1
	s_ashr_i32 s11, s20, 31
	s_xor_b32 s1, s1, s0
	s_ashr_i32 s29, s28, 31
	s_sub_co_i32 s0, s1, s0
	s_mov_b32 s34, s21
	s_ashr_i32 s1, s0, 31
	s_mov_b32 s36, s8
	s_wait_alu 0xfffe
	s_mul_u64 s[0:1], s[0:1], s[10:11]
	s_ashr_i32 s31, s30, 31
	s_lshl_b64 s[62:63], s[0:1], 2
	s_ashr_i32 s35, s21, 31
	s_ashr_i32 s37, s8, 31
	s_lshl_b64 s[60:61], s[28:29], 2
	s_wait_kmcnt 0x0
	s_add_nc_u64 s[0:1], s[16:17], s[62:63]
	s_lshl_b64 s[64:65], s[30:31], 2
	s_wait_alu 0xfffe
	s_mul_u64 s[20:21], s[36:37], s[26:27]
	s_add_nc_u64 s[0:1], s[0:1], s[60:61]
	s_mul_u64 s[28:29], s[34:35], s[24:25]
	s_add_nc_u64 s[10:11], s[0:1], s[64:65]
	s_lshl_b64 s[20:21], s[20:21], 3
	s_lshl_b64 s[0:1], s[28:29], 2
	s_movk_i32 s6, 0x900
	s_cmp_lt_i32 s26, s5
	s_wait_alu 0xfffe
	v_mad_u32_u24 v0, v55, s6, 0x100
	s_add_nc_u64 s[18:19], s[18:19], s[0:1]
	s_cselect_b32 s1, -1, 0
	s_or_b32 s0, s26, 1
	v_mul_u32_u24_e32 v1, 0x90, v57
	v_mov_b32_e32 v62, 0
	v_and_b32_e32 v2, 0x3f0, v48
	s_cmp_lt_i32 s0, s5
	s_add_nc_u64 s[62:63], s[62:63], s[64:65]
	s_cselect_b32 s12, -1, 0
	s_or_b32 s0, s26, 2
	v_lshl_add_u32 v60, v48, 2, v0
	v_add3_u32 v61, v0, v1, v2
	v_dual_mov_b32 v63, 0x100 :: v_dual_lshlrev_b32 v0, 2, v59
	s_cmp_lt_i32 s0, s5
	s_add_nc_u64 s[60:61], s[62:63], s[60:61]
	s_add_nc_u64 s[18:19], s[18:19], s[20:21]
	s_cselect_b32 s20, -1, 0
	s_or_b32 s0, s26, 3
	s_add_nc_u64 s[16:17], s[16:17], s[60:61]
	s_lshl_b32 s21, s8, 2
	s_cmp_lt_i32 s0, s5
	v_add_co_u32 v50, s0, s16, v0
	v_lshl_add_u32 v49, v55, 6, v58
	v_add_co_ci_u32_e64 v51, null, s17, 0, s0
	v_dual_mov_b32 v0, 0 :: v_dual_mov_b32 v3, v62
	v_dual_mov_b32 v1, v62 :: v_dual_mov_b32 v2, v62
	v_dual_mov_b32 v5, v62 :: v_dual_mov_b32 v4, v62
	v_dual_mov_b32 v7, v62 :: v_dual_mov_b32 v6, v62
	v_dual_mov_b32 v9, v62 :: v_dual_mov_b32 v8, 0
	v_dual_mov_b32 v11, v62 :: v_dual_mov_b32 v10, v62
	v_dual_mov_b32 v13, v62 :: v_dual_mov_b32 v12, v62
	v_dual_mov_b32 v15, v62 :: v_dual_mov_b32 v14, v62
	s_cselect_b32 s28, -1, 0
	s_ashr_i32 s67, s7, 31
	s_mov_b32 s66, s7
	s_add_co_i32 s29, s7, s7
	s_mul_i32 s30, s7, 3
	s_lshl_b32 s31, s7, 2
	s_mul_i32 s33, s7, 5
	s_mul_i32 s34, s7, 6
	;; [unrolled: 1-line block ×3, first 2 shown]
	s_lshl_b32 s36, s7, 3
	s_mul_i32 s37, s7, 9
	s_mul_i32 s38, s7, 10
	;; [unrolled: 1-line block ×7, first 2 shown]
	s_lshl_b32 s44, s7, 4
	s_mul_i32 s45, s7, 17
	s_mul_i32 s46, s7, 18
	;; [unrolled: 1-line block ×15, first 2 shown]
	s_lshl_b64 s[6:7], s[66:67], 2
	s_mul_i32 s16, s8, 6
	s_lshl_b32 s17, s8, 1
	s_mov_b32 s8, 0
	s_branch .LBB43_26
.LBB43_24:                              ;   in Loop: Header=BB43_26 Depth=1
	v_mul_lo_u32 v52, v52, s13
	s_delay_alu instid0(VALU_DEP_1) | instskip(NEXT) | instid1(VALU_DEP_1)
	v_add3_u32 v52, v52, s16, v49
	v_ashrrev_i32_e32 v53, 31, v52
	s_delay_alu instid0(VALU_DEP_1) | instskip(NEXT) | instid1(VALU_DEP_1)
	v_lshlrev_b64_e32 v[52:53], 2, v[52:53]
	v_add_co_u32 v52, vcc_lo, s18, v52
	s_wait_alu 0xfffd
	s_delay_alu instid0(VALU_DEP_2)
	v_add_co_ci_u32_e64 v53, null, s19, v53, vcc_lo
	global_load_b64 v[52:53], v[52:53], off
.LBB43_25:                              ;   in Loop: Header=BB43_26 Depth=1
	s_wait_loadcnt 0x0
	s_delay_alu instid0(VALU_DEP_1) | instskip(NEXT) | instid1(VALU_DEP_2)
	v_cvt_f16_f32_e32 v52, v52
	v_cvt_f16_f32_e32 v53, v53
	v_add_nc_u32_e32 v54, 0x400, v60
	v_add_nc_u32_e32 v64, 0x600, v60
	ds_store_2addr_b32 v60, v62, v62 offset0:196 offset1:232
	v_add_nc_u32_e32 v59, 0xc0, v59
	v_pack_b32_f16 v52, v52, v53
	ds_store_2addr_b32 v54, v62, v62 offset0:12 offset1:48
	ds_store_2addr_b32 v54, v62, v62 offset0:84 offset1:120
	;; [unrolled: 1-line block ×5, first 2 shown]
	ds_store_b32 v60, v62 offset:2224
	ds_load_b128 v[64:67], v61 offset:64
	ds_load_b128 v[68:71], v61 offset:96
	;; [unrolled: 1-line block ×4, first 2 shown]
	v_add_co_u32 v50, s0, 0x300, v50
	v_cmp_le_i32_e32 vcc_lo, s4, v59
	v_add_nc_u32_e32 v49, 0x180, v49
	s_wait_alu 0xf1ff
	v_add_co_ci_u32_e64 v51, null, 0, v51, s0
	s_or_b32 s8, vcc_lo, s8
	s_wait_dscnt 0x3
	v_wmma_f32_16x16x16_f16 v[8:15], v[32:35], v[64:67], v[8:15]
	v_wmma_f32_16x16x16_f16 v[0:7], v[44:47], v[64:67], v[0:7]
	s_wait_dscnt 0x2
	s_delay_alu instid0(VALU_DEP_2) | instskip(NEXT) | instid1(VALU_DEP_2)
	v_wmma_f32_16x16x16_f16 v[8:15], v[28:31], v[68:71], v[8:15]
	v_wmma_f32_16x16x16_f16 v[0:7], v[40:43], v[68:71], v[0:7]
	s_wait_dscnt 0x1
	s_delay_alu instid0(VALU_DEP_2) | instskip(NEXT) | instid1(VALU_DEP_2)
	;; [unrolled: 4-line block ×3, first 2 shown]
	v_wmma_f32_16x16x16_f16 v[8:15], v[16:19], v[76:79], v[8:15]
	v_wmma_f32_16x16x16_f16 v[0:7], v[20:23], v[76:79], v[0:7]
	s_and_not1_b32 exec_lo, exec_lo, s8
	s_cbranch_execz .LBB43_41
.LBB43_26:                              ; =>This Inner Loop Header: Depth=1
	v_add_nc_u32_e32 v22, s31, v59
	v_add_nc_u32_e32 v16, s29, v59
	s_wait_alu 0xfffe
	v_add_co_u32 v20, vcc_lo, v50, s6
	v_add_nc_u32_e32 v18, s30, v59
	s_wait_alu 0xfffd
	v_add_co_ci_u32_e64 v21, null, s7, v51, vcc_lo
	v_ashrrev_i32_e32 v23, 31, v22
	v_ashrrev_i32_e32 v17, 31, v16
	v_add_nc_u32_e32 v24, s33, v59
	v_ashrrev_i32_e32 v19, 31, v18
	s_clause 0x1
	global_load_b32 v38, v[50:51], off
	global_load_b32 v39, v[20:21], off
	v_lshlrev_b64_e32 v[20:21], 2, v[22:23]
	v_add_nc_u32_e32 v22, s34, v59
	v_lshlrev_b64_e32 v[16:17], 2, v[16:17]
	v_add_nc_u32_e32 v26, s35, v59
	v_ashrrev_i32_e32 v25, 31, v24
	v_lshlrev_b64_e32 v[18:19], 2, v[18:19]
	v_add_nc_u32_e32 v28, s36, v59
	v_ashrrev_i32_e32 v23, 31, v22
	v_add_nc_u32_e32 v30, s37, v59
	v_ashrrev_i32_e32 v27, 31, v26
	v_add_co_u32 v16, vcc_lo, s10, v16
	v_lshlrev_b64_e32 v[24:25], 2, v[24:25]
	v_ashrrev_i32_e32 v29, 31, v28
	s_wait_alu 0xfffd
	v_add_co_ci_u32_e64 v17, null, s11, v17, vcc_lo
	v_add_co_u32 v18, vcc_lo, s10, v18
	v_lshlrev_b64_e32 v[22:23], 2, v[22:23]
	v_ashrrev_i32_e32 v31, 31, v30
	s_wait_alu 0xfffd
	v_add_co_ci_u32_e64 v19, null, s11, v19, vcc_lo
	v_add_co_u32 v20, vcc_lo, s10, v20
	v_lshlrev_b64_e32 v[26:27], 2, v[26:27]
	s_wait_alu 0xfffd
	v_add_co_ci_u32_e64 v21, null, s11, v21, vcc_lo
	v_add_co_u32 v24, vcc_lo, s10, v24
	v_lshlrev_b64_e32 v[28:29], 2, v[28:29]
	;; [unrolled: 4-line block ×3, first 2 shown]
	s_wait_alu 0xfffd
	v_add_co_ci_u32_e64 v23, null, s11, v23, vcc_lo
	v_add_co_u32 v26, vcc_lo, s10, v26
	v_add_nc_u32_e32 v32, s38, v59
	s_wait_alu 0xfffd
	v_add_co_ci_u32_e64 v27, null, s11, v27, vcc_lo
	v_add_co_u32 v28, vcc_lo, s10, v28
	v_add_nc_u32_e32 v34, s39, v59
	;; [unrolled: 4-line block ×3, first 2 shown]
	v_ashrrev_i32_e32 v33, 31, v32
	s_wait_alu 0xfffd
	v_add_co_ci_u32_e64 v31, null, s11, v31, vcc_lo
	s_clause 0x7
	global_load_b32 v40, v[16:17], off
	global_load_b32 v41, v[18:19], off
	;; [unrolled: 1-line block ×8, first 2 shown]
	v_add_nc_u32_e32 v18, s41, v59
	v_ashrrev_i32_e32 v35, 31, v34
	v_add_nc_u32_e32 v24, s42, v59
	v_ashrrev_i32_e32 v37, 31, v36
	v_lshlrev_b64_e32 v[32:33], 2, v[32:33]
	v_add_nc_u32_e32 v26, s43, v59
	v_ashrrev_i32_e32 v19, 31, v18
	v_lshlrev_b64_e32 v[16:17], 2, v[34:35]
	;; [unrolled: 3-line block ×3, first 2 shown]
	v_add_nc_u32_e32 v30, s45, v59
	v_ashrrev_i32_e32 v27, 31, v26
	v_add_co_u32 v20, vcc_lo, s10, v32
	v_lshlrev_b64_e32 v[18:19], 2, v[18:19]
	v_ashrrev_i32_e32 v29, 31, v28
	s_wait_alu 0xfffd
	v_add_co_ci_u32_e64 v21, null, s11, v33, vcc_lo
	v_add_co_u32 v16, vcc_lo, s10, v16
	v_lshlrev_b64_e32 v[24:25], 2, v[24:25]
	v_ashrrev_i32_e32 v31, 31, v30
	s_wait_alu 0xfffd
	v_add_co_ci_u32_e64 v17, null, s11, v17, vcc_lo
	v_add_co_u32 v22, vcc_lo, s10, v22
	v_lshlrev_b64_e32 v[26:27], 2, v[26:27]
	s_wait_alu 0xfffd
	v_add_co_ci_u32_e64 v23, null, s11, v23, vcc_lo
	v_add_co_u32 v18, vcc_lo, s10, v18
	v_lshlrev_b64_e32 v[28:29], 2, v[28:29]
	;; [unrolled: 4-line block ×3, first 2 shown]
	s_wait_alu 0xfffd
	v_add_co_ci_u32_e64 v25, null, s11, v25, vcc_lo
	v_add_co_u32 v26, vcc_lo, s10, v26
	v_add_nc_u32_e32 v32, s46, v59
	s_wait_alu 0xfffd
	v_add_co_ci_u32_e64 v27, null, s11, v27, vcc_lo
	v_add_co_u32 v28, vcc_lo, s10, v28
	v_add_nc_u32_e32 v34, s47, v59
	;; [unrolled: 4-line block ×3, first 2 shown]
	v_ashrrev_i32_e32 v33, 31, v32
	s_wait_alu 0xfffd
	v_add_co_ci_u32_e64 v31, null, s11, v31, vcc_lo
	s_clause 0x7
	global_load_b32 v52, v[20:21], off
	global_load_b32 v53, v[16:17], off
	;; [unrolled: 1-line block ×8, first 2 shown]
	v_add_nc_u32_e32 v18, s49, v59
	v_ashrrev_i32_e32 v35, 31, v34
	v_add_nc_u32_e32 v24, s50, v59
	v_ashrrev_i32_e32 v37, 31, v36
	v_lshlrev_b64_e32 v[32:33], 2, v[32:33]
	v_add_nc_u32_e32 v26, s51, v59
	v_ashrrev_i32_e32 v19, 31, v18
	v_lshlrev_b64_e32 v[16:17], 2, v[34:35]
	;; [unrolled: 3-line block ×3, first 2 shown]
	v_add_nc_u32_e32 v30, s53, v59
	v_ashrrev_i32_e32 v27, 31, v26
	v_add_co_u32 v20, vcc_lo, s10, v32
	v_lshlrev_b64_e32 v[18:19], 2, v[18:19]
	v_ashrrev_i32_e32 v29, 31, v28
	s_wait_alu 0xfffd
	v_add_co_ci_u32_e64 v21, null, s11, v33, vcc_lo
	v_add_co_u32 v16, vcc_lo, s10, v16
	v_lshlrev_b64_e32 v[24:25], 2, v[24:25]
	v_ashrrev_i32_e32 v31, 31, v30
	s_wait_alu 0xfffd
	v_add_co_ci_u32_e64 v17, null, s11, v17, vcc_lo
	v_add_co_u32 v22, vcc_lo, s10, v22
	v_lshlrev_b64_e32 v[26:27], 2, v[26:27]
	s_wait_alu 0xfffd
	v_add_co_ci_u32_e64 v23, null, s11, v23, vcc_lo
	v_add_co_u32 v18, vcc_lo, s10, v18
	v_lshlrev_b64_e32 v[28:29], 2, v[28:29]
	;; [unrolled: 4-line block ×3, first 2 shown]
	s_wait_alu 0xfffd
	v_add_co_ci_u32_e64 v25, null, s11, v25, vcc_lo
	v_add_co_u32 v26, vcc_lo, s10, v26
	v_add_nc_u32_e32 v32, s54, v59
	s_wait_alu 0xfffd
	v_add_co_ci_u32_e64 v27, null, s11, v27, vcc_lo
	v_add_co_u32 v28, vcc_lo, s10, v28
	v_add_nc_u32_e32 v34, s55, v59
	;; [unrolled: 4-line block ×3, first 2 shown]
	v_ashrrev_i32_e32 v33, 31, v32
	s_wait_alu 0xfffd
	v_add_co_ci_u32_e64 v31, null, s11, v31, vcc_lo
	s_clause 0x7
	global_load_b32 v69, v[20:21], off
	global_load_b32 v70, v[16:17], off
	;; [unrolled: 1-line block ×8, first 2 shown]
	v_add_nc_u32_e32 v18, s57, v59
	v_ashrrev_i32_e32 v35, 31, v34
	v_add_nc_u32_e32 v24, s58, v59
	v_ashrrev_i32_e32 v37, 31, v36
	v_lshlrev_b64_e32 v[32:33], 2, v[32:33]
	v_add_nc_u32_e32 v26, s59, v59
	v_ashrrev_i32_e32 v19, 31, v18
	v_lshlrev_b64_e32 v[16:17], 2, v[34:35]
	v_ashrrev_i32_e32 v25, 31, v24
	v_lshlrev_b64_e32 v[22:23], 2, v[36:37]
	v_ashrrev_i32_e32 v27, 31, v26
	v_add_co_u32 v20, vcc_lo, s10, v32
	v_lshlrev_b64_e32 v[18:19], 2, v[18:19]
	s_wait_alu 0xfffd
	v_add_co_ci_u32_e64 v21, null, s11, v33, vcc_lo
	v_add_co_u32 v16, vcc_lo, s10, v16
	v_lshlrev_b64_e32 v[24:25], 2, v[24:25]
	s_wait_alu 0xfffd
	v_add_co_ci_u32_e64 v17, null, s11, v17, vcc_lo
	;; [unrolled: 4-line block ×3, first 2 shown]
	v_add_co_u32 v18, vcc_lo, s10, v18
	s_wait_alu 0xfffd
	v_add_co_ci_u32_e64 v19, null, s11, v19, vcc_lo
	v_add_co_u32 v24, vcc_lo, s10, v24
	s_wait_alu 0xfffd
	v_add_co_ci_u32_e64 v25, null, s11, v25, vcc_lo
	;; [unrolled: 3-line block ×3, first 2 shown]
	s_clause 0x5
	global_load_b32 v20, v[20:21], off
	global_load_b32 v21, v[16:17], off
	;; [unrolled: 1-line block ×6, first 2 shown]
	s_and_not1_b32 vcc_lo, exec_lo, s1
	s_wait_loadcnt 0x1f
	ds_store_b32 v60, v38 offset:64
	s_wait_loadcnt 0x1e
	ds_store_b32 v60, v39 offset:208
	;; [unrolled: 2-line block ×16, first 2 shown]
	ds_load_b128 v[32:35], v61 offset:64
	ds_load_b128 v[28:31], v61 offset:96
	;; [unrolled: 1-line block ×4, first 2 shown]
	s_wait_loadcnt 0xf
	ds_store_b32 v60, v67 offset:64
	s_wait_loadcnt 0xe
	ds_store_b32 v60, v68 offset:208
	;; [unrolled: 2-line block ×16, first 2 shown]
	ds_load_b128 v[44:47], v61 offset:64
	ds_load_b128 v[40:43], v61 offset:96
	;; [unrolled: 1-line block ×4, first 2 shown]
	v_dual_mov_b32 v52, 0 :: v_dual_mov_b32 v53, 0
	s_wait_alu 0xfffe
	s_cbranch_vccnz .LBB43_30
; %bb.27:                               ;   in Loop: Header=BB43_26 Depth=1
	ds_load_b32 v52, v63
	s_wait_dscnt 0x0
	v_cmp_gt_i32_e32 vcc_lo, 0, v52
	s_cbranch_vccnz .LBB43_29
; %bb.28:                               ;   in Loop: Header=BB43_26 Depth=1
	v_mad_co_u64_u32 v[52:53], null, v52, s13, v[49:50]
	s_delay_alu instid0(VALU_DEP_1) | instskip(NEXT) | instid1(VALU_DEP_1)
	v_ashrrev_i32_e32 v53, 31, v52
	v_lshlrev_b64_e32 v[52:53], 2, v[52:53]
	s_delay_alu instid0(VALU_DEP_1) | instskip(SKIP_1) | instid1(VALU_DEP_2)
	v_add_co_u32 v52, vcc_lo, s18, v52
	s_wait_alu 0xfffd
	v_add_co_ci_u32_e64 v53, null, s19, v53, vcc_lo
	global_load_b64 v[52:53], v[52:53], off
	s_branch .LBB43_30
.LBB43_29:                              ;   in Loop: Header=BB43_26 Depth=1
	v_dual_mov_b32 v52, 0 :: v_dual_mov_b32 v53, 0
.LBB43_30:                              ;   in Loop: Header=BB43_26 Depth=1
	s_wait_loadcnt 0x0
	s_delay_alu instid0(VALU_DEP_1) | instskip(NEXT) | instid1(VALU_DEP_2)
	v_cvt_f16_f32_e32 v52, v52
	v_cvt_f16_f32_e32 v53, v53
	v_mov_b32_e32 v54, 0
	s_and_not1_b32 vcc_lo, exec_lo, s12
	s_delay_alu instid0(VALU_DEP_2)
	v_pack_b32_f16 v64, v52, v53
	v_dual_mov_b32 v52, 0 :: v_dual_mov_b32 v53, 0
	ds_store_b32 v60, v64 offset:64
	s_wait_alu 0xfffe
	s_cbranch_vccnz .LBB43_34
; %bb.31:                               ;   in Loop: Header=BB43_26 Depth=1
	ds_load_b32 v53, v63 offset:4
	s_wait_dscnt 0x0
	v_cmp_gt_i32_e32 vcc_lo, 0, v53
	s_cbranch_vccnz .LBB43_33
; %bb.32:                               ;   in Loop: Header=BB43_26 Depth=1
	v_mul_lo_u32 v53, v53, s13
	s_delay_alu instid0(VALU_DEP_1) | instskip(NEXT) | instid1(VALU_DEP_1)
	v_add3_u32 v53, v53, s17, v49
	v_ashrrev_i32_e32 v54, 31, v53
	s_delay_alu instid0(VALU_DEP_1) | instskip(NEXT) | instid1(VALU_DEP_1)
	v_lshlrev_b64_e32 v[53:54], 2, v[53:54]
	v_add_co_u32 v53, vcc_lo, s18, v53
	s_wait_alu 0xfffd
	s_delay_alu instid0(VALU_DEP_2)
	v_add_co_ci_u32_e64 v54, null, s19, v54, vcc_lo
	global_load_b64 v[53:54], v[53:54], off
	s_branch .LBB43_34
.LBB43_33:                              ;   in Loop: Header=BB43_26 Depth=1
	v_dual_mov_b32 v53, 0 :: v_dual_mov_b32 v54, 0
.LBB43_34:                              ;   in Loop: Header=BB43_26 Depth=1
	s_wait_loadcnt 0x0
	s_delay_alu instid0(VALU_DEP_1) | instskip(NEXT) | instid1(VALU_DEP_2)
	v_cvt_f16_f32_e32 v53, v53
	v_cvt_f16_f32_e32 v54, v54
	s_and_not1_b32 vcc_lo, exec_lo, s20
	s_delay_alu instid0(VALU_DEP_1)
	v_pack_b32_f16 v54, v53, v54
	v_mov_b32_e32 v53, 0
	ds_store_b32 v60, v54 offset:208
	s_wait_alu 0xfffe
	s_cbranch_vccnz .LBB43_38
; %bb.35:                               ;   in Loop: Header=BB43_26 Depth=1
	ds_load_b32 v52, v63 offset:8
	s_wait_dscnt 0x0
	v_cmp_gt_i32_e32 vcc_lo, 0, v52
	s_cbranch_vccnz .LBB43_37
; %bb.36:                               ;   in Loop: Header=BB43_26 Depth=1
	v_mul_lo_u32 v52, v52, s13
	s_delay_alu instid0(VALU_DEP_1) | instskip(NEXT) | instid1(VALU_DEP_1)
	v_add3_u32 v52, v52, s21, v49
	v_ashrrev_i32_e32 v53, 31, v52
	s_delay_alu instid0(VALU_DEP_1) | instskip(NEXT) | instid1(VALU_DEP_1)
	v_lshlrev_b64_e32 v[52:53], 2, v[52:53]
	v_add_co_u32 v52, vcc_lo, s18, v52
	s_wait_alu 0xfffd
	s_delay_alu instid0(VALU_DEP_2)
	v_add_co_ci_u32_e64 v53, null, s19, v53, vcc_lo
	global_load_b64 v[52:53], v[52:53], off
	s_branch .LBB43_38
.LBB43_37:                              ;   in Loop: Header=BB43_26 Depth=1
	v_dual_mov_b32 v52, 0 :: v_dual_mov_b32 v53, 0
.LBB43_38:                              ;   in Loop: Header=BB43_26 Depth=1
	s_wait_loadcnt 0x0
	s_delay_alu instid0(VALU_DEP_1) | instskip(NEXT) | instid1(VALU_DEP_2)
	v_cvt_f16_f32_e32 v52, v52
	v_cvt_f16_f32_e32 v53, v53
	s_and_not1_b32 vcc_lo, exec_lo, s28
	s_delay_alu instid0(VALU_DEP_1)
	v_pack_b32_f16 v54, v52, v53
	v_dual_mov_b32 v52, 0 :: v_dual_mov_b32 v53, 0
	ds_store_b32 v60, v54 offset:352
	s_wait_alu 0xfffe
	s_cbranch_vccnz .LBB43_25
; %bb.39:                               ;   in Loop: Header=BB43_26 Depth=1
	ds_load_b32 v52, v63 offset:12
	s_wait_dscnt 0x0
	v_cmp_gt_i32_e32 vcc_lo, 0, v52
	s_cbranch_vccz .LBB43_24
; %bb.40:                               ;   in Loop: Header=BB43_26 Depth=1
	v_dual_mov_b32 v52, 0 :: v_dual_mov_b32 v53, 0
	s_branch .LBB43_25
.LBB43_41:
	s_or_b32 exec_lo, exec_lo, s8
.LBB43_42:
	s_delay_alu instid0(SALU_CYCLE_1)
	s_or_b32 exec_lo, exec_lo, s23
	v_lshl_add_u32 v16, v56, 2, 0x100
	v_mul_u32_u24_e32 v17, 0x310, v57
	v_and_b32_e32 v18, 0x7e0, v58
	v_cmp_gt_u32_e32 vcc_lo, 4, v55
	s_wait_loadcnt_dscnt 0x0
	s_barrier_signal -1
	s_barrier_wait -1
	v_add3_u32 v17, v16, v17, v18
	global_inv scope:SCOPE_SE
	ds_store_2addr_b32 v17, v8, v9 offset0:16 offset1:17
	ds_store_2addr_b32 v17, v10, v11 offset0:18 offset1:19
	;; [unrolled: 1-line block ×8, first 2 shown]
	s_wait_loadcnt_dscnt 0x0
	s_barrier_signal -1
	s_barrier_wait -1
	global_inv scope:SCOPE_SE
	s_and_b32 exec_lo, exec_lo, vcc_lo
	s_cbranch_execz .LBB43_45
; %bb.43:
	v_mad_i32_i24 v0, 0xffffff84, v55, v16
	v_or_b32_e32 v1, s26, v55
	ds_load_b32 v0, v0
	v_cmp_gt_i32_e64 s0, s5, v1
	s_wait_dscnt 0x0
	v_cmp_lt_i32_e32 vcc_lo, -1, v0
	s_and_b32 s0, vcc_lo, s0
	s_wait_alu 0xfffe
	s_and_b32 exec_lo, exec_lo, s0
	s_cbranch_execz .LBB43_45
; %bb.44:
	v_lshlrev_b32_e32 v1, 2, v48
	v_mul_u32_u24_e32 v2, 0x310, v55
	v_mul_lo_u32 v0, v0, s14
	v_add_nc_u32_e32 v7, s15, v48
	s_ashr_i32 s1, s22, 31
	s_mov_b32 s0, s22
	v_add3_u32 v5, 0x100, v1, v2
	s_ashr_i32 s5, s9, 31
	s_mov_b32 s4, s9
	s_wait_alu 0xfffe
	s_mul_u64 s[0:1], s[0:1], s[24:25]
	ds_load_2addr_b32 v[1:2], v5 offset0:16 offset1:48
	ds_load_2addr_b32 v[3:4], v5 offset0:80 offset1:112
	;; [unrolled: 1-line block ×3, first 2 shown]
	s_mul_u64 s[4:5], s[26:27], s[4:5]
	s_wait_alu 0xfffe
	s_lshl_b64 s[0:1], s[0:1], 2
	s_lshl_b64 s[4:5], s[4:5], 2
	s_wait_kmcnt 0x0
	s_wait_alu 0xfffe
	s_add_nc_u64 s[0:1], s[2:3], s[0:1]
	s_wait_alu 0xfffe
	s_add_nc_u64 s[0:1], s[0:1], s[4:5]
	s_wait_dscnt 0x2
	v_add_f32_e32 v1, 0, v1
	s_delay_alu instid0(VALU_DEP_1) | instskip(SKIP_2) | instid1(VALU_DEP_2)
	v_add_f32_e32 v1, v1, v2
	v_mul_lo_u32 v2, v55, s9
	s_wait_dscnt 0x1
	v_add_f32_e32 v3, v1, v3
	v_mov_b32_e32 v1, 0
	s_delay_alu instid0(VALU_DEP_3) | instskip(NEXT) | instid1(VALU_DEP_3)
	v_add3_u32 v0, v7, v2, v0
	v_add_f32_e32 v3, v3, v4
	s_delay_alu instid0(VALU_DEP_2) | instskip(SKIP_1) | instid1(VALU_DEP_2)
	v_lshlrev_b64_e32 v[0:1], 2, v[0:1]
	s_wait_dscnt 0x0
	v_add_f32_e32 v2, v3, v5
	s_wait_alu 0xfffe
	s_delay_alu instid0(VALU_DEP_2) | instskip(NEXT) | instid1(VALU_DEP_2)
	v_add_co_u32 v0, vcc_lo, s0, v0
	v_add_f32_e32 v2, v2, v6
	s_wait_alu 0xfffd
	v_add_co_ci_u32_e64 v1, null, s1, v1, vcc_lo
	global_store_b32 v[0:1], v2, off
.LBB43_45:
	s_endpgm
	.section	.rodata,"a",@progbits
	.p2align	6, 0x0
	.amdhsa_kernel _ZL9mul_mat_fI7__half2Li32ELi4ELi6ELb1EEvPKT_PKfPKiPfiiiiiiiiiiiiiiii
		.amdhsa_group_segment_fixed_size 256
		.amdhsa_private_segment_fixed_size 0
		.amdhsa_kernarg_size 352
		.amdhsa_user_sgpr_count 2
		.amdhsa_user_sgpr_dispatch_ptr 0
		.amdhsa_user_sgpr_queue_ptr 0
		.amdhsa_user_sgpr_kernarg_segment_ptr 1
		.amdhsa_user_sgpr_dispatch_id 0
		.amdhsa_user_sgpr_private_segment_size 0
		.amdhsa_wavefront_size32 1
		.amdhsa_uses_dynamic_stack 0
		.amdhsa_enable_private_segment 0
		.amdhsa_system_sgpr_workgroup_id_x 1
		.amdhsa_system_sgpr_workgroup_id_y 1
		.amdhsa_system_sgpr_workgroup_id_z 1
		.amdhsa_system_sgpr_workgroup_info 0
		.amdhsa_system_vgpr_workitem_id 2
		.amdhsa_next_free_vgpr 80
		.amdhsa_next_free_sgpr 68
		.amdhsa_reserve_vcc 1
		.amdhsa_float_round_mode_32 0
		.amdhsa_float_round_mode_16_64 0
		.amdhsa_float_denorm_mode_32 3
		.amdhsa_float_denorm_mode_16_64 3
		.amdhsa_fp16_overflow 0
		.amdhsa_workgroup_processor_mode 1
		.amdhsa_memory_ordered 1
		.amdhsa_forward_progress 1
		.amdhsa_inst_pref_size 40
		.amdhsa_round_robin_scheduling 0
		.amdhsa_exception_fp_ieee_invalid_op 0
		.amdhsa_exception_fp_denorm_src 0
		.amdhsa_exception_fp_ieee_div_zero 0
		.amdhsa_exception_fp_ieee_overflow 0
		.amdhsa_exception_fp_ieee_underflow 0
		.amdhsa_exception_fp_ieee_inexact 0
		.amdhsa_exception_int_div_zero 0
	.end_amdhsa_kernel
	.section	.text._ZL9mul_mat_fI7__half2Li32ELi4ELi6ELb1EEvPKT_PKfPKiPfiiiiiiiiiiiiiiii,"axG",@progbits,_ZL9mul_mat_fI7__half2Li32ELi4ELi6ELb1EEvPKT_PKfPKiPfiiiiiiiiiiiiiiii,comdat
.Lfunc_end43:
	.size	_ZL9mul_mat_fI7__half2Li32ELi4ELi6ELb1EEvPKT_PKfPKiPfiiiiiiiiiiiiiiii, .Lfunc_end43-_ZL9mul_mat_fI7__half2Li32ELi4ELi6ELb1EEvPKT_PKfPKiPfiiiiiiiiiiiiiiii
                                        ; -- End function
	.set _ZL9mul_mat_fI7__half2Li32ELi4ELi6ELb1EEvPKT_PKfPKiPfiiiiiiiiiiiiiiii.num_vgpr, 80
	.set _ZL9mul_mat_fI7__half2Li32ELi4ELi6ELb1EEvPKT_PKfPKiPfiiiiiiiiiiiiiiii.num_agpr, 0
	.set _ZL9mul_mat_fI7__half2Li32ELi4ELi6ELb1EEvPKT_PKfPKiPfiiiiiiiiiiiiiiii.numbered_sgpr, 68
	.set _ZL9mul_mat_fI7__half2Li32ELi4ELi6ELb1EEvPKT_PKfPKiPfiiiiiiiiiiiiiiii.num_named_barrier, 0
	.set _ZL9mul_mat_fI7__half2Li32ELi4ELi6ELb1EEvPKT_PKfPKiPfiiiiiiiiiiiiiiii.private_seg_size, 0
	.set _ZL9mul_mat_fI7__half2Li32ELi4ELi6ELb1EEvPKT_PKfPKiPfiiiiiiiiiiiiiiii.uses_vcc, 1
	.set _ZL9mul_mat_fI7__half2Li32ELi4ELi6ELb1EEvPKT_PKfPKiPfiiiiiiiiiiiiiiii.uses_flat_scratch, 0
	.set _ZL9mul_mat_fI7__half2Li32ELi4ELi6ELb1EEvPKT_PKfPKiPfiiiiiiiiiiiiiiii.has_dyn_sized_stack, 0
	.set _ZL9mul_mat_fI7__half2Li32ELi4ELi6ELb1EEvPKT_PKfPKiPfiiiiiiiiiiiiiiii.has_recursion, 0
	.set _ZL9mul_mat_fI7__half2Li32ELi4ELi6ELb1EEvPKT_PKfPKiPfiiiiiiiiiiiiiiii.has_indirect_call, 0
	.section	.AMDGPU.csdata,"",@progbits
; Kernel info:
; codeLenInByte = 5100
; TotalNumSgprs: 70
; NumVgprs: 80
; ScratchSize: 0
; MemoryBound: 0
; FloatMode: 240
; IeeeMode: 1
; LDSByteSize: 256 bytes/workgroup (compile time only)
; SGPRBlocks: 0
; VGPRBlocks: 9
; NumSGPRsForWavesPerEU: 70
; NumVGPRsForWavesPerEU: 80
; Occupancy: 16
; WaveLimiterHint : 0
; COMPUTE_PGM_RSRC2:SCRATCH_EN: 0
; COMPUTE_PGM_RSRC2:USER_SGPR: 2
; COMPUTE_PGM_RSRC2:TRAP_HANDLER: 0
; COMPUTE_PGM_RSRC2:TGID_X_EN: 1
; COMPUTE_PGM_RSRC2:TGID_Y_EN: 1
; COMPUTE_PGM_RSRC2:TGID_Z_EN: 1
; COMPUTE_PGM_RSRC2:TIDIG_COMP_CNT: 2
	.section	.text._ZL9mul_mat_fI7__half2Li32ELi4ELi6ELb0EEvPKT_PKfPKiPfiiiiiiiiiiiiiiii,"axG",@progbits,_ZL9mul_mat_fI7__half2Li32ELi4ELi6ELb0EEvPKT_PKfPKiPfiiiiiiiiiiiiiiii,comdat
	.globl	_ZL9mul_mat_fI7__half2Li32ELi4ELi6ELb0EEvPKT_PKfPKiPfiiiiiiiiiiiiiiii ; -- Begin function _ZL9mul_mat_fI7__half2Li32ELi4ELi6ELb0EEvPKT_PKfPKiPfiiiiiiiiiiiiiiii
	.p2align	8
	.type	_ZL9mul_mat_fI7__half2Li32ELi4ELi6ELb0EEvPKT_PKfPKiPfiiiiiiiiiiiiiiii,@function
_ZL9mul_mat_fI7__half2Li32ELi4ELi6ELb0EEvPKT_PKfPKiPfiiiiiiiiiiiiiiii: ; @_ZL9mul_mat_fI7__half2Li32ELi4ELi6ELb0EEvPKT_PKfPKiPfiiiiiiiiiiiiiiii
; %bb.0:
	s_clause 0x1
	s_load_b256 s[4:11], s[0:1], 0x40
	s_load_b32 s21, s[0:1], 0x20
	v_bfe_u32 v37, v0, 10, 10
	v_and_b32_e32 v36, 0x3ff, v0
	s_mov_b32 s15, exec_lo
	s_delay_alu instid0(VALU_DEP_2) | instskip(NEXT) | instid1(VALU_DEP_2)
	v_lshlrev_b32_e32 v39, 5, v37
	v_and_b32_e32 v40, 15, v36
	s_delay_alu instid0(VALU_DEP_2)
	v_add_nc_u32_e32 v41, v39, v36
	s_wait_kmcnt 0x0
	s_abs_i32 s12, s4
	s_abs_i32 s23, s8
	s_cvt_f32_u32 s2, s12
	s_cvt_f32_u32 s3, s23
	s_delay_alu instid0(SALU_CYCLE_2) | instskip(NEXT) | instid1(SALU_CYCLE_2)
	v_rcp_iflag_f32_e32 v0, s2
	v_rcp_iflag_f32_e32 v1, s3
	s_mov_b32 s3, 0
	s_lshr_b32 s2, ttmp7, 16
	s_delay_alu instid0(TRANS32_DEP_2) | instskip(NEXT) | instid1(TRANS32_DEP_1)
	v_readfirstlane_b32 s13, v0
	v_readfirstlane_b32 s14, v1
	v_cmpx_le_i32_e64 s21, v41
	s_xor_b32 s15, exec_lo, s15
; %bb.1:
	v_and_b32_e32 v40, 15, v36
                                        ; implicit-def: $vgpr41
; %bb.2:
	s_or_saveexec_b32 s22, s15
	s_load_b96 s[16:18], s[0:1], 0x2c
	v_dual_mov_b32 v15, 0 :: v_dual_lshlrev_b32 v38, 2, v36
	s_and_b32 s19, ttmp7, 0xffff
	s_lshl_b32 s20, ttmp9, 5
	s_delay_alu instid0(VALU_DEP_1)
	v_dual_mov_b32 v14, v15 :: v_dual_mov_b32 v13, v15
	v_dual_mov_b32 v12, v15 :: v_dual_mov_b32 v11, v15
	;; [unrolled: 1-line block ×7, first 2 shown]
	v_mov_b32_e32 v0, v15
	s_xor_b32 exec_lo, exec_lo, s22
	s_cbranch_execz .LBB44_6
; %bb.3:
	s_mul_f32 s13, s13, 0x4f7ffffe
	s_mul_f32 s14, s14, 0x4f7ffffe
	s_sub_co_i32 s24, 0, s12
	s_sub_co_i32 s25, 0, s23
	s_cvt_u32_f32 s13, s13
	s_cvt_u32_f32 s27, s14
	s_abs_i32 s14, s19
	s_mov_b32 s15, s3
	s_mul_i32 s24, s24, s13
	s_mul_i32 s25, s25, s27
	s_mul_hi_u32 s24, s13, s24
	s_mul_hi_u32 s28, s27, s25
	s_add_co_i32 s24, s13, s24
	s_mov_b32 s25, s3
	s_abs_i32 s26, s2
	s_mul_u64 s[24:25], s[14:15], s[24:25]
	s_ashr_i32 s24, s8, 31
	s_mul_i32 s13, s25, s12
	s_add_co_i32 s28, s27, s28
	s_sub_co_i32 s8, s14, s13
	s_ashr_i32 s4, s4, 31
	s_add_co_i32 s13, s25, 1
	s_sub_co_i32 s14, s8, s12
	s_cmp_ge_u32 s8, s12
	s_mov_b32 s27, s3
	s_cselect_b32 s13, s13, s25
	s_mov_b32 s29, s3
	s_cselect_b32 s8, s14, s8
	s_add_co_i32 s14, s13, 1
	s_mul_u64 s[28:29], s[26:27], s[28:29]
	s_cmp_ge_u32 s8, s12
	s_mul_i32 s12, s29, s23
	s_cselect_b32 s8, s14, s13
	s_sub_co_i32 s25, s26, s12
	s_xor_b32 s8, s8, s4
	s_load_b128 s[12:15], s[0:1], 0x0
	s_sub_co_i32 s26, s8, s4
	s_add_co_i32 s4, s29, 1
	s_sub_co_i32 s8, s25, s23
	s_cmp_ge_u32 s25, s23
	v_mad_u32_u24 v0, 0x900, v37, 0
	s_cselect_b32 s4, s4, s29
	s_cselect_b32 s8, s8, s25
	s_add_co_i32 s25, s4, 1
	s_cmp_ge_u32 s8, s23
	s_mov_b32 s8, s9
	s_cselect_b32 s4, s25, s4
	s_ashr_i32 s9, s9, 31
	s_xor_b32 s4, s4, s24
	v_mul_u32_u24_e32 v1, 0x90, v40
	s_sub_co_i32 s24, s4, s24
	v_and_b32_e32 v2, 0x3f0, v36
	s_ashr_i32 s25, s24, 31
	v_add_nc_u32_e32 v42, v0, v38
	s_mul_u64 s[8:9], s[24:25], s[8:9]
	s_mul_i32 s24, s26, s5
	s_lshl_b64 s[54:55], s[8:9], 2
	s_ashr_i32 s25, s24, 31
	s_wait_kmcnt 0x0
	s_add_nc_u64 s[8:9], s[12:13], s[54:55]
	s_lshl_b64 s[56:57], s[24:25], 2
	s_mul_i32 s24, s16, s20
	v_add3_u32 v43, v0, v1, v2
	s_ashr_i32 s25, s24, 31
	v_dual_mov_b32 v0, 0 :: v_dual_lshlrev_b32 v1, 7, v37
	s_lshl_b64 s[60:61], s[24:25], 2
	s_add_nc_u64 s[8:9], s[8:9], s[56:57]
	s_add_nc_u64 s[56:57], s[56:57], s[60:61]
	s_mov_b32 s4, s10
	s_add_nc_u64 s[54:55], s[56:57], s[54:55]
	s_ashr_i32 s5, s10, 31
	v_add_co_u32 v1, s53, s54, v1
	s_delay_alu instid0(VALU_DEP_1) | instskip(SKIP_2) | instid1(VALU_DEP_3)
	v_add_co_ci_u32_e64 v2, null, s55, 0, s53
	v_dual_mov_b32 v44, 0 :: v_dual_lshlrev_b32 v3, 8, v37
	s_mul_u64 s[4:5], s[4:5], s[2:3]
	v_add_co_u32 v1, vcc_lo, v1, v38
	s_lshl_b64 s[58:59], s[4:5], 2
	v_add_co_ci_u32_e64 v2, null, 0, v2, vcc_lo
	v_add_co_u32 v3, s53, s58, v3
	v_lshlrev_b32_e32 v5, 3, v36
	s_mul_i32 s4, s6, s19
	s_wait_alu 0xf1ff
	v_add_co_ci_u32_e64 v4, null, s59, 0, s53
	v_add_co_u32 v32, vcc_lo, s12, v1
	s_ashr_i32 s5, s4, 31
	s_wait_alu 0xfffd
	v_add_co_ci_u32_e64 v33, null, s13, v2, vcc_lo
	v_add_co_u32 v1, vcc_lo, v3, v5
	s_lshl_b64 s[62:63], s[4:5], 2
	s_wait_alu 0xfffd
	v_add_co_ci_u32_e64 v2, null, 0, v4, vcc_lo
	s_add_nc_u64 s[12:13], s[14:15], s[62:63]
	v_dual_mov_b32 v3, v0 :: v_dual_mov_b32 v4, v0
	s_wait_alu 0xfffe
	v_add_co_u32 v34, vcc_lo, s12, v1
	s_wait_alu 0xfffd
	v_add_co_ci_u32_e64 v35, null, s13, v2, vcc_lo
	v_dual_mov_b32 v1, v0 :: v_dual_mov_b32 v2, v0
	v_dual_mov_b32 v5, v0 :: v_dual_mov_b32 v6, v0
	;; [unrolled: 1-line block ×6, first 2 shown]
	v_mov_b32_e32 v15, v0
	s_add_nc_u64 s[26:27], s[14:15], s[58:59]
	s_ashr_i32 s65, s16, 31
	s_mov_b32 s64, s16
	s_ashr_i32 s67, s17, 31
	s_mov_b32 s66, s17
	s_add_nc_u64 s[4:5], s[8:9], s[60:61]
	s_add_nc_u64 s[8:9], s[26:27], s[62:63]
	s_mov_b32 s6, 0
	s_add_co_i32 s10, s16, s16
	s_add_co_i32 s23, s17, s17
	s_mul_i32 s17, s17, 3
	s_mul_i32 s24, s16, 3
	s_lshl_b32 s25, s16, 2
	s_mul_i32 s26, s16, 5
	s_mul_i32 s27, s16, 6
	;; [unrolled: 1-line block ×3, first 2 shown]
	s_lshl_b32 s29, s16, 3
	s_mul_i32 s30, s16, 9
	s_mul_i32 s31, s16, 10
	;; [unrolled: 1-line block ×7, first 2 shown]
	s_lshl_b32 s38, s16, 4
	s_mul_i32 s39, s16, 17
	s_mul_i32 s40, s16, 18
	;; [unrolled: 1-line block ×15, first 2 shown]
	s_lshl_b64 s[12:13], s[64:65], 2
	s_lshl_b64 s[14:15], s[66:67], 3
.LBB44_4:                               ; =>This Inner Loop Header: Depth=1
	global_load_b32 v16, v[32:33], off
	v_add_nc_u32_e32 v45, s38, v41
	s_delay_alu instid0(VALU_DEP_1) | instskip(NEXT) | instid1(VALU_DEP_1)
	v_ashrrev_i32_e32 v46, 31, v45
	v_lshlrev_b64_e32 v[45:46], 2, v[45:46]
	s_wait_loadcnt 0x0
	ds_store_b32 v42, v16
	s_wait_alu 0xfffe
	v_add_co_u32 v16, vcc_lo, v32, s12
	s_wait_alu 0xfffd
	v_add_co_ci_u32_e64 v17, null, s13, v33, vcc_lo
	global_load_b32 v16, v[16:17], off
	s_wait_loadcnt 0x0
	ds_store_b32 v42, v16 offset:144
	v_add_nc_u32_e32 v16, s10, v41
	s_delay_alu instid0(VALU_DEP_1) | instskip(NEXT) | instid1(VALU_DEP_1)
	v_ashrrev_i32_e32 v17, 31, v16
	v_lshlrev_b64_e32 v[16:17], 2, v[16:17]
	s_delay_alu instid0(VALU_DEP_1) | instskip(SKIP_1) | instid1(VALU_DEP_2)
	v_add_co_u32 v16, vcc_lo, s4, v16
	s_wait_alu 0xfffd
	v_add_co_ci_u32_e64 v17, null, s5, v17, vcc_lo
	global_load_b32 v16, v[16:17], off
	s_wait_loadcnt 0x0
	ds_store_b32 v42, v16 offset:288
	v_add_nc_u32_e32 v16, s24, v41
	s_delay_alu instid0(VALU_DEP_1) | instskip(NEXT) | instid1(VALU_DEP_1)
	v_ashrrev_i32_e32 v17, 31, v16
	v_lshlrev_b64_e32 v[16:17], 2, v[16:17]
	s_delay_alu instid0(VALU_DEP_1) | instskip(SKIP_1) | instid1(VALU_DEP_2)
	;; [unrolled: 11-line block ×14, first 2 shown]
	v_add_co_u32 v16, vcc_lo, s4, v16
	s_wait_alu 0xfffd
	v_add_co_ci_u32_e64 v17, null, s5, v17, vcc_lo
	v_add_co_u32 v45, vcc_lo, s4, v45
	s_wait_alu 0xfffd
	v_add_co_ci_u32_e64 v46, null, s5, v46, vcc_lo
	global_load_b32 v16, v[16:17], off
	s_wait_loadcnt 0x0
	ds_store_b32 v42, v16 offset:2160
	ds_load_b128 v[28:31], v43
	ds_load_b128 v[24:27], v43 offset:32
	ds_load_b128 v[20:23], v43 offset:64
	;; [unrolled: 1-line block ×3, first 2 shown]
	global_load_b32 v45, v[45:46], off
	s_wait_loadcnt 0x0
	ds_store_b32 v42, v45
	v_add_nc_u32_e32 v45, s39, v41
	s_delay_alu instid0(VALU_DEP_1) | instskip(NEXT) | instid1(VALU_DEP_1)
	v_ashrrev_i32_e32 v46, 31, v45
	v_lshlrev_b64_e32 v[45:46], 2, v[45:46]
	s_delay_alu instid0(VALU_DEP_1) | instskip(SKIP_1) | instid1(VALU_DEP_2)
	v_add_co_u32 v45, vcc_lo, s4, v45
	s_wait_alu 0xfffd
	v_add_co_ci_u32_e64 v46, null, s5, v46, vcc_lo
	global_load_b32 v45, v[45:46], off
	s_wait_loadcnt 0x0
	ds_store_b32 v42, v45 offset:144
	v_add_nc_u32_e32 v45, s40, v41
	s_delay_alu instid0(VALU_DEP_1) | instskip(NEXT) | instid1(VALU_DEP_1)
	v_ashrrev_i32_e32 v46, 31, v45
	v_lshlrev_b64_e32 v[45:46], 2, v[45:46]
	s_delay_alu instid0(VALU_DEP_1) | instskip(SKIP_1) | instid1(VALU_DEP_2)
	v_add_co_u32 v45, vcc_lo, s4, v45
	s_wait_alu 0xfffd
	v_add_co_ci_u32_e64 v46, null, s5, v46, vcc_lo
	global_load_b32 v45, v[45:46], off
	s_wait_loadcnt 0x0
	ds_store_b32 v42, v45 offset:288
	;; [unrolled: 11-line block ×15, first 2 shown]
	ds_load_b128 v[45:48], v43
	ds_load_b128 v[49:52], v43 offset:32
	ds_load_b128 v[53:56], v43 offset:64
	;; [unrolled: 1-line block ×3, first 2 shown]
	global_load_b64 v[61:62], v[34:35], off
	s_wait_loadcnt 0x0
	v_cvt_f16_f32_e32 v61, v61
	v_cvt_f16_f32_e32 v62, v62
	s_delay_alu instid0(VALU_DEP_1)
	v_pack_b32_f16 v61, v61, v62
	ds_store_b32 v42, v61
	v_add_co_u32 v61, vcc_lo, v34, s14
	s_wait_alu 0xfffd
	v_add_co_ci_u32_e64 v62, null, s15, v35, vcc_lo
	global_load_b64 v[61:62], v[61:62], off
	s_wait_loadcnt 0x0
	v_cvt_f16_f32_e32 v61, v61
	v_cvt_f16_f32_e32 v62, v62
	s_delay_alu instid0(VALU_DEP_1) | instskip(SKIP_2) | instid1(VALU_DEP_1)
	v_pack_b32_f16 v61, v61, v62
	ds_store_b32 v42, v61 offset:144
	v_add_nc_u32_e32 v61, s23, v41
	v_ashrrev_i32_e32 v62, 31, v61
	s_delay_alu instid0(VALU_DEP_1) | instskip(NEXT) | instid1(VALU_DEP_1)
	v_lshlrev_b64_e32 v[61:62], 3, v[61:62]
	v_add_co_u32 v61, vcc_lo, s8, v61
	s_wait_alu 0xfffd
	s_delay_alu instid0(VALU_DEP_2) | instskip(SKIP_4) | instid1(VALU_DEP_1)
	v_add_co_ci_u32_e64 v62, null, s9, v62, vcc_lo
	global_load_b64 v[61:62], v[61:62], off
	s_wait_loadcnt 0x0
	v_cvt_f16_f32_e32 v61, v61
	v_cvt_f16_f32_e32 v62, v62
	v_pack_b32_f16 v61, v61, v62
	ds_store_b32 v42, v61 offset:288
	v_add_nc_u32_e32 v61, s17, v41
	v_add_nc_u32_e32 v41, 0xc0, v41
	s_delay_alu instid0(VALU_DEP_2) | instskip(NEXT) | instid1(VALU_DEP_1)
	v_ashrrev_i32_e32 v62, 31, v61
	v_lshlrev_b64_e32 v[61:62], 3, v[61:62]
	s_delay_alu instid0(VALU_DEP_1) | instskip(SKIP_1) | instid1(VALU_DEP_2)
	v_add_co_u32 v61, vcc_lo, s8, v61
	s_wait_alu 0xfffd
	v_add_co_ci_u32_e64 v62, null, s9, v62, vcc_lo
	v_add_co_u32 v32, vcc_lo, 0x300, v32
	s_wait_alu 0xfffd
	v_add_co_ci_u32_e64 v33, null, 0, v33, vcc_lo
	global_load_b64 v[61:62], v[61:62], off
	v_add_co_u32 v34, vcc_lo, 0x600, v34
	s_wait_alu 0xfffd
	v_add_co_ci_u32_e64 v35, null, 0, v35, vcc_lo
	v_cmp_le_i32_e32 vcc_lo, s21, v41
	s_or_b32 s6, vcc_lo, s6
	s_wait_loadcnt 0x0
	v_cvt_f16_f32_e32 v61, v61
	v_cvt_f16_f32_e32 v62, v62
	s_delay_alu instid0(VALU_DEP_1)
	v_pack_b32_f16 v61, v61, v62
	ds_store_b32 v42, v61 offset:432
	ds_store_b32 v42, v44 offset:576
	;; [unrolled: 1-line block ×13, first 2 shown]
	ds_load_b128 v[61:64], v43
	ds_load_b128 v[65:68], v43 offset:32
	s_wait_dscnt 0x1
	v_wmma_f32_16x16x16_f16 v[8:15], v[28:31], v[61:64], v[8:15]
	v_wmma_f32_16x16x16_f16 v[0:7], v[45:48], v[61:64], v[0:7]
	s_wait_dscnt 0x0
	s_delay_alu instid0(VALU_DEP_2)
	v_wmma_f32_16x16x16_f16 v[8:15], v[24:27], v[65:68], v[8:15]
	ds_load_b128 v[24:27], v43 offset:64
	v_wmma_f32_16x16x16_f16 v[0:7], v[49:52], v[65:68], v[0:7]
	s_wait_dscnt 0x0
	v_wmma_f32_16x16x16_f16 v[8:15], v[20:23], v[24:27], v[8:15]
	ds_load_b128 v[20:23], v43 offset:96
	v_wmma_f32_16x16x16_f16 v[0:7], v[53:56], v[24:27], v[0:7]
	s_wait_dscnt 0x0
	v_wmma_f32_16x16x16_f16 v[8:15], v[16:19], v[20:23], v[8:15]
	s_delay_alu instid0(VALU_DEP_2)
	v_wmma_f32_16x16x16_f16 v[0:7], v[57:60], v[20:23], v[0:7]
	s_and_not1_b32 exec_lo, exec_lo, s6
	s_cbranch_execnz .LBB44_4
; %bb.5:
	s_or_b32 exec_lo, exec_lo, s6
.LBB44_6:
	s_delay_alu instid0(SALU_CYCLE_1)
	s_or_b32 exec_lo, exec_lo, s22
	s_load_b64 s[0:1], s[0:1], 0x18
	v_lshlrev_b32_e32 v16, 1, v36
	v_lshl_add_u32 v17, v39, 2, 0
	v_mul_u32_u24_e32 v18, 0x310, v40
	s_barrier_signal -1
	s_delay_alu instid0(VALU_DEP_3)
	v_and_b32_e32 v16, 0x7e0, v16
	s_barrier_wait -1
	global_inv scope:SCOPE_SE
	s_mov_b32 s4, exec_lo
	v_add3_u32 v16, v17, v18, v16
	ds_store_2addr_b32 v16, v8, v9 offset1:1
	ds_store_2addr_b32 v16, v10, v11 offset0:2 offset1:3
	ds_store_2addr_b32 v16, v12, v13 offset0:4 offset1:5
	;; [unrolled: 1-line block ×7, first 2 shown]
	s_wait_loadcnt_dscnt 0x0
	s_barrier_signal -1
	s_barrier_wait -1
	global_inv scope:SCOPE_SE
	v_cmpx_gt_u32_e32 4, v37
	s_cbranch_execz .LBB44_8
; %bb.7:
	v_mul_u32_u24_e32 v0, 0x310, v37
	s_wait_kmcnt 0x0
	v_mul_lo_u32 v6, v37, s18
	s_ashr_i32 s5, s11, 31
	s_mov_b32 s4, s11
	s_mul_i32 s6, s7, s19
	v_add3_u32 v4, 0, v38, v0
	s_wait_alu 0xfffe
	s_mul_u64 s[2:3], s[4:5], s[2:3]
	s_ashr_i32 s7, s6, 31
	s_wait_alu 0xfffe
	s_lshl_b64 s[2:3], s[2:3], 2
	s_lshl_b64 s[4:5], s[6:7], 2
	ds_load_2addr_b32 v[0:1], v4 offset1:32
	ds_load_2addr_b32 v[2:3], v4 offset0:64 offset1:96
	ds_load_2addr_b32 v[4:5], v4 offset0:128 offset1:160
	s_wait_alu 0xfffe
	s_add_nc_u64 s[0:1], s[0:1], s[2:3]
	s_delay_alu instid0(SALU_CYCLE_1) | instskip(SKIP_2) | instid1(VALU_DEP_1)
	s_add_nc_u64 s[0:1], s[0:1], s[4:5]
	s_wait_dscnt 0x2
	v_add_f32_e32 v0, 0, v0
	v_dual_add_f32 v0, v0, v1 :: v_dual_mov_b32 v1, 0
	s_wait_dscnt 0x1
	s_delay_alu instid0(VALU_DEP_1) | instskip(NEXT) | instid1(VALU_DEP_1)
	v_add_f32_e32 v0, v0, v2
	v_add_f32_e32 v2, v0, v3
	v_add3_u32 v0, s20, v36, v6
	s_wait_dscnt 0x0
	s_delay_alu instid0(VALU_DEP_2) | instskip(NEXT) | instid1(VALU_DEP_2)
	v_add_f32_e32 v2, v2, v4
	v_lshlrev_b64_e32 v[0:1], 2, v[0:1]
	s_delay_alu instid0(VALU_DEP_2) | instskip(NEXT) | instid1(VALU_DEP_2)
	v_add_f32_e32 v2, v2, v5
	v_add_co_u32 v0, vcc_lo, s0, v0
	s_wait_alu 0xfffd
	s_delay_alu instid0(VALU_DEP_3)
	v_add_co_ci_u32_e64 v1, null, s1, v1, vcc_lo
	global_store_b32 v[0:1], v2, off
.LBB44_8:
	s_endpgm
	.section	.rodata,"a",@progbits
	.p2align	6, 0x0
	.amdhsa_kernel _ZL9mul_mat_fI7__half2Li32ELi4ELi6ELb0EEvPKT_PKfPKiPfiiiiiiiiiiiiiiii
		.amdhsa_group_segment_fixed_size 0
		.amdhsa_private_segment_fixed_size 0
		.amdhsa_kernarg_size 96
		.amdhsa_user_sgpr_count 2
		.amdhsa_user_sgpr_dispatch_ptr 0
		.amdhsa_user_sgpr_queue_ptr 0
		.amdhsa_user_sgpr_kernarg_segment_ptr 1
		.amdhsa_user_sgpr_dispatch_id 0
		.amdhsa_user_sgpr_private_segment_size 0
		.amdhsa_wavefront_size32 1
		.amdhsa_uses_dynamic_stack 0
		.amdhsa_enable_private_segment 0
		.amdhsa_system_sgpr_workgroup_id_x 1
		.amdhsa_system_sgpr_workgroup_id_y 1
		.amdhsa_system_sgpr_workgroup_id_z 1
		.amdhsa_system_sgpr_workgroup_info 0
		.amdhsa_system_vgpr_workitem_id 1
		.amdhsa_next_free_vgpr 69
		.amdhsa_next_free_sgpr 68
		.amdhsa_reserve_vcc 1
		.amdhsa_float_round_mode_32 0
		.amdhsa_float_round_mode_16_64 0
		.amdhsa_float_denorm_mode_32 3
		.amdhsa_float_denorm_mode_16_64 3
		.amdhsa_fp16_overflow 0
		.amdhsa_workgroup_processor_mode 1
		.amdhsa_memory_ordered 1
		.amdhsa_forward_progress 1
		.amdhsa_inst_pref_size 31
		.amdhsa_round_robin_scheduling 0
		.amdhsa_exception_fp_ieee_invalid_op 0
		.amdhsa_exception_fp_denorm_src 0
		.amdhsa_exception_fp_ieee_div_zero 0
		.amdhsa_exception_fp_ieee_overflow 0
		.amdhsa_exception_fp_ieee_underflow 0
		.amdhsa_exception_fp_ieee_inexact 0
		.amdhsa_exception_int_div_zero 0
	.end_amdhsa_kernel
	.section	.text._ZL9mul_mat_fI7__half2Li32ELi4ELi6ELb0EEvPKT_PKfPKiPfiiiiiiiiiiiiiiii,"axG",@progbits,_ZL9mul_mat_fI7__half2Li32ELi4ELi6ELb0EEvPKT_PKfPKiPfiiiiiiiiiiiiiiii,comdat
.Lfunc_end44:
	.size	_ZL9mul_mat_fI7__half2Li32ELi4ELi6ELb0EEvPKT_PKfPKiPfiiiiiiiiiiiiiiii, .Lfunc_end44-_ZL9mul_mat_fI7__half2Li32ELi4ELi6ELb0EEvPKT_PKfPKiPfiiiiiiiiiiiiiiii
                                        ; -- End function
	.set _ZL9mul_mat_fI7__half2Li32ELi4ELi6ELb0EEvPKT_PKfPKiPfiiiiiiiiiiiiiiii.num_vgpr, 69
	.set _ZL9mul_mat_fI7__half2Li32ELi4ELi6ELb0EEvPKT_PKfPKiPfiiiiiiiiiiiiiiii.num_agpr, 0
	.set _ZL9mul_mat_fI7__half2Li32ELi4ELi6ELb0EEvPKT_PKfPKiPfiiiiiiiiiiiiiiii.numbered_sgpr, 68
	.set _ZL9mul_mat_fI7__half2Li32ELi4ELi6ELb0EEvPKT_PKfPKiPfiiiiiiiiiiiiiiii.num_named_barrier, 0
	.set _ZL9mul_mat_fI7__half2Li32ELi4ELi6ELb0EEvPKT_PKfPKiPfiiiiiiiiiiiiiiii.private_seg_size, 0
	.set _ZL9mul_mat_fI7__half2Li32ELi4ELi6ELb0EEvPKT_PKfPKiPfiiiiiiiiiiiiiiii.uses_vcc, 1
	.set _ZL9mul_mat_fI7__half2Li32ELi4ELi6ELb0EEvPKT_PKfPKiPfiiiiiiiiiiiiiiii.uses_flat_scratch, 0
	.set _ZL9mul_mat_fI7__half2Li32ELi4ELi6ELb0EEvPKT_PKfPKiPfiiiiiiiiiiiiiiii.has_dyn_sized_stack, 0
	.set _ZL9mul_mat_fI7__half2Li32ELi4ELi6ELb0EEvPKT_PKfPKiPfiiiiiiiiiiiiiiii.has_recursion, 0
	.set _ZL9mul_mat_fI7__half2Li32ELi4ELi6ELb0EEvPKT_PKfPKiPfiiiiiiiiiiiiiiii.has_indirect_call, 0
	.section	.AMDGPU.csdata,"",@progbits
; Kernel info:
; codeLenInByte = 3936
; TotalNumSgprs: 70
; NumVgprs: 69
; ScratchSize: 0
; MemoryBound: 0
; FloatMode: 240
; IeeeMode: 1
; LDSByteSize: 0 bytes/workgroup (compile time only)
; SGPRBlocks: 0
; VGPRBlocks: 8
; NumSGPRsForWavesPerEU: 70
; NumVGPRsForWavesPerEU: 69
; Occupancy: 16
; WaveLimiterHint : 0
; COMPUTE_PGM_RSRC2:SCRATCH_EN: 0
; COMPUTE_PGM_RSRC2:USER_SGPR: 2
; COMPUTE_PGM_RSRC2:TRAP_HANDLER: 0
; COMPUTE_PGM_RSRC2:TGID_X_EN: 1
; COMPUTE_PGM_RSRC2:TGID_Y_EN: 1
; COMPUTE_PGM_RSRC2:TGID_Z_EN: 1
; COMPUTE_PGM_RSRC2:TIDIG_COMP_CNT: 1
	.section	.text._ZL13mul_mat_f_idsI7__half2Li32ELi4ELi7EEvPKT_PKfPKiS7_S7_Pfiiiiiiiiiiiiii15HIP_vector_typeIjLj3EESA_,"axG",@progbits,_ZL13mul_mat_f_idsI7__half2Li32ELi4ELi7EEvPKT_PKfPKiS7_S7_Pfiiiiiiiiiiiiii15HIP_vector_typeIjLj3EESA_,comdat
	.globl	_ZL13mul_mat_f_idsI7__half2Li32ELi4ELi7EEvPKT_PKfPKiS7_S7_Pfiiiiiiiiiiiiii15HIP_vector_typeIjLj3EESA_ ; -- Begin function _ZL13mul_mat_f_idsI7__half2Li32ELi4ELi7EEvPKT_PKfPKiS7_S7_Pfiiiiiiiiiiiiii15HIP_vector_typeIjLj3EESA_
	.p2align	8
	.type	_ZL13mul_mat_f_idsI7__half2Li32ELi4ELi7EEvPKT_PKfPKiS7_S7_Pfiiiiiiiiiiiiii15HIP_vector_typeIjLj3EESA_,@function
_ZL13mul_mat_f_idsI7__half2Li32ELi4ELi7EEvPKT_PKfPKiS7_S7_Pfiiiiiiiiiiiiii15HIP_vector_typeIjLj3EESA_: ; @_ZL13mul_mat_f_idsI7__half2Li32ELi4ELi7EEvPKT_PKfPKiS7_S7_Pfiiiiiiiiiiiiii15HIP_vector_typeIjLj3EESA_
; %bb.0:
	s_load_b64 s[4:5], s[0:1], 0x20
	s_and_b32 s2, ttmp7, 0xffff
	s_delay_alu instid0(SALU_CYCLE_1) | instskip(SKIP_4) | instid1(SALU_CYCLE_1)
	s_lshl_b32 s3, s2, 2
	s_wait_kmcnt 0x0
	s_load_b64 s[24:25], s[4:5], s3 offset:0x0
	s_wait_kmcnt 0x0
	s_sub_co_i32 s19, s25, s24
	s_add_co_i32 s3, s19, 3
	s_delay_alu instid0(SALU_CYCLE_1) | instskip(NEXT) | instid1(SALU_CYCLE_1)
	s_ashr_i32 s4, s3, 31
	s_lshr_b32 s4, s4, 30
	s_delay_alu instid0(SALU_CYCLE_1) | instskip(NEXT) | instid1(SALU_CYCLE_1)
	s_add_co_i32 s3, s3, s4
	s_ashr_i32 s4, s3, 2
	s_lshr_b32 s3, ttmp7, 16
	s_delay_alu instid0(SALU_CYCLE_1)
	s_cmp_ge_i32 s3, s4
	s_cbranch_scc1 .LBB45_23
; %bb.1:
	s_clause 0x3
	s_load_b128 s[4:7], s[0:1], 0x30
	s_load_b64 s[20:21], s[0:1], 0x40
	s_load_b128 s[8:11], s[0:1], 0x68
	s_load_b64 s[22:23], s[0:1], 0x78
	v_bfe_u32 v52, v0, 10, 10
	v_and_b32_e32 v51, 0x3ff, v0
	s_ashr_i32 s25, s24, 31
	s_mov_b32 s12, exec_lo
	s_delay_alu instid0(VALU_DEP_2) | instskip(NEXT) | instid1(VALU_DEP_2)
	v_lshlrev_b32_e32 v53, 5, v52
	v_and_b32_e32 v54, 15, v51
	s_delay_alu instid0(VALU_DEP_2) | instskip(SKIP_1) | instid1(VALU_DEP_1)
	v_add_nc_u32_e32 v48, v53, v51
	s_wait_kmcnt 0x0
	v_cmpx_le_i32_e64 s4, v48
	s_xor_b32 s12, exec_lo, s12
; %bb.2:
	v_and_b32_e32 v54, 15, v51
                                        ; implicit-def: $vgpr48
; %bb.3:
	s_or_saveexec_b32 s37, s12
	s_clause 0x1
	s_load_b64 s[26:27], s[0:1], 0x28
	s_load_b96 s[16:18], s[0:1], 0x4c
	v_mov_b32_e32 v7, 0
	s_lshl_b32 s33, ttmp9, 5
	s_lshl_b32 s36, s3, 2
	s_delay_alu instid0(VALU_DEP_1)
	v_dual_mov_b32 v6, v7 :: v_dual_mov_b32 v5, v7
	v_dual_mov_b32 v4, v7 :: v_dual_mov_b32 v3, v7
	;; [unrolled: 1-line block ×7, first 2 shown]
	v_mov_b32_e32 v8, v7
	s_xor_b32 exec_lo, exec_lo, s37
	s_cbranch_execz .LBB45_19
; %bb.4:
	s_clause 0x1
	s_load_b128 s[12:15], s[0:1], 0x0
	s_load_b64 s[28:29], s[0:1], 0x10
	s_wait_kmcnt 0x0
	s_mul_i32 s30, s16, s2
	s_mul_i32 s34, s7, s33
	s_ashr_i32 s31, s30, 31
	s_ashr_i32 s35, s34, 31
	s_lshl_b64 s[38:39], s[24:25], 2
	s_lshl_b64 s[68:69], s[30:31], 2
	;; [unrolled: 1-line block ×3, first 2 shown]
	s_cmp_lt_i32 s36, s19
	v_mad_u32_u24 v0, 0x900, v52, 0
	v_dual_mov_b32 v8, 0 :: v_dual_lshlrev_b32 v1, 2, v51
	v_mul_u32_u24_e32 v2, 0x90, v54
	s_cselect_b32 s16, -1, 0
	s_or_b32 s30, s36, 1
	v_mov_b32_e32 v57, 0
	v_and_b32_e32 v3, 0x3f0, v51
	s_lshl_b32 s2, s36, 2
	s_cmp_lt_i32 s30, s19
	s_add_nc_u64 s[30:31], s[12:13], s[68:69]
	s_add_nc_u64 s[34:35], s[28:29], s[38:39]
	;; [unrolled: 1-line block ×3, first 2 shown]
	s_cselect_b32 s38, -1, 0
	s_or_b32 s30, s36, 2
	v_dual_mov_b32 v10, v57 :: v_dual_add_nc_u32 v55, v0, v1
	v_add3_u32 v56, v0, v2, v3
	v_dual_mov_b32 v9, v57 :: v_dual_lshlrev_b32 v0, 7, v52
	s_mov_b32 s3, 0
	s_cmp_lt_i32 s30, s19
	s_add_nc_u64 s[30:31], s[34:35], s[2:3]
	s_cselect_b32 s39, -1, 0
	s_or_b32 s2, s36, 3
	s_add_nc_u64 s[68:69], s[68:69], s[70:71]
	s_cmp_lt_i32 s2, s19
	v_add_co_u32 v0, s2, s68, v0
	s_delay_alu instid0(VALU_DEP_1) | instskip(SKIP_2) | instid1(VALU_DEP_1)
	v_add_co_ci_u32_e64 v2, null, s69, 0, s2
	s_mov_b32 s34, s8
	v_add_co_u32 v0, vcc_lo, v0, v1
	v_add_co_ci_u32_e64 v1, null, 0, v2, vcc_lo
	s_cselect_b32 s8, -1, 0
	v_add_co_u32 v49, vcc_lo, s12, v0
	s_wait_alu 0xfffd
	v_add_co_ci_u32_e64 v50, null, s13, v1, vcc_lo
	v_dual_mov_b32 v0, 0 :: v_dual_mov_b32 v11, v57
	v_mov_b32_e32 v14, v57
	v_dual_mov_b32 v12, v57 :: v_dual_mov_b32 v13, v57
	v_dual_mov_b32 v2, v57 :: v_dual_mov_b32 v15, v57
	;; [unrolled: 1-line block ×4, first 2 shown]
	v_mov_b32_e32 v5, v57
	v_mov_b32_e32 v7, v57
	s_ashr_i32 s73, s7, 31
	s_mov_b32 s72, s7
	s_mov_b32 s35, s3
	s_add_co_i32 s40, s7, s7
	s_mul_i32 s41, s7, 3
	s_lshl_b32 s42, s7, 2
	s_mul_i32 s43, s7, 5
	s_mul_i32 s44, s7, 6
	;; [unrolled: 1-line block ×3, first 2 shown]
	s_lshl_b32 s46, s7, 3
	s_mul_i32 s47, s7, 9
	s_mul_i32 s48, s7, 10
	;; [unrolled: 1-line block ×7, first 2 shown]
	s_lshl_b32 s54, s7, 4
	s_mul_i32 s55, s7, 17
	s_mul_i32 s56, s7, 18
	;; [unrolled: 1-line block ×15, first 2 shown]
	s_lshl_b64 s[12:13], s[72:73], 2
	s_mov_b32 s69, 0
	s_branch .LBB45_6
.LBB45_5:                               ;   in Loop: Header=BB45_6 Depth=1
	v_perm_b32 v58, v58, v59, 0x5040100
	v_perm_b32 v59, v61, v62, 0x5040100
	;; [unrolled: 1-line block ×4, first 2 shown]
	v_add_nc_u32_e32 v62, 0x400, v55
	ds_store_2addr_b32 v55, v58, v59 offset1:36
	ds_store_2addr_b32 v55, v60, v61 offset0:72 offset1:108
	ds_store_2addr_b32 v55, v57, v57 offset0:144 offset1:180
	v_add_nc_u32_e32 v58, 0x600, v55
	ds_store_2addr_b32 v55, v57, v57 offset0:216 offset1:252
	ds_store_2addr_b32 v62, v57, v57 offset0:32 offset1:68
	;; [unrolled: 1-line block ×5, first 2 shown]
	ds_load_b128 v[58:61], v56
	ds_load_b128 v[62:65], v56 offset:32
	ds_load_b128 v[66:69], v56 offset:64
	;; [unrolled: 1-line block ×3, first 2 shown]
	v_add_nc_u32_e32 v48, 0xe0, v48
	v_add_co_u32 v49, s2, 0x380, v49
	s_wait_alu 0xf1ff
	v_add_co_ci_u32_e64 v50, null, 0, v50, s2
	s_delay_alu instid0(VALU_DEP_3)
	v_cmp_le_i32_e32 vcc_lo, s4, v48
	s_or_b32 s69, vcc_lo, s69
	s_wait_dscnt 0x3
	v_wmma_f32_16x16x16_f16 v[8:15], v[32:35], v[58:61], v[8:15]
	v_wmma_f32_16x16x16_f16 v[0:7], v[44:47], v[58:61], v[0:7]
	s_wait_dscnt 0x2
	s_delay_alu instid0(VALU_DEP_2) | instskip(NEXT) | instid1(VALU_DEP_2)
	v_wmma_f32_16x16x16_f16 v[8:15], v[28:31], v[62:65], v[8:15]
	v_wmma_f32_16x16x16_f16 v[0:7], v[40:43], v[62:65], v[0:7]
	s_wait_dscnt 0x1
	s_delay_alu instid0(VALU_DEP_2) | instskip(NEXT) | instid1(VALU_DEP_2)
	;; [unrolled: 4-line block ×3, first 2 shown]
	v_wmma_f32_16x16x16_f16 v[8:15], v[16:19], v[70:73], v[8:15]
	v_wmma_f32_16x16x16_f16 v[0:7], v[20:23], v[70:73], v[0:7]
	s_wait_alu 0xfffe
	s_and_not1_b32 exec_lo, exec_lo, s69
	s_cbranch_execz .LBB45_18
.LBB45_6:                               ; =>This Inner Loop Header: Depth=1
	v_add_nc_u32_e32 v22, s42, v48
	v_add_nc_u32_e32 v16, s40, v48
	s_wait_alu 0xfffe
	v_add_co_u32 v20, vcc_lo, v49, s12
	v_add_nc_u32_e32 v18, s41, v48
	s_wait_alu 0xfffd
	v_add_co_ci_u32_e64 v21, null, s13, v50, vcc_lo
	v_ashrrev_i32_e32 v23, 31, v22
	v_ashrrev_i32_e32 v17, 31, v16
	v_add_nc_u32_e32 v24, s43, v48
	v_ashrrev_i32_e32 v19, 31, v18
	s_clause 0x1
	global_load_b32 v38, v[49:50], off
	global_load_b32 v39, v[20:21], off
	v_lshlrev_b64_e32 v[20:21], 2, v[22:23]
	v_add_nc_u32_e32 v22, s44, v48
	v_lshlrev_b64_e32 v[16:17], 2, v[16:17]
	v_add_nc_u32_e32 v26, s45, v48
	v_ashrrev_i32_e32 v25, 31, v24
	v_lshlrev_b64_e32 v[18:19], 2, v[18:19]
	v_add_nc_u32_e32 v28, s46, v48
	v_ashrrev_i32_e32 v23, 31, v22
	v_add_nc_u32_e32 v30, s47, v48
	v_ashrrev_i32_e32 v27, 31, v26
	v_add_co_u32 v16, vcc_lo, s28, v16
	v_lshlrev_b64_e32 v[24:25], 2, v[24:25]
	v_ashrrev_i32_e32 v29, 31, v28
	s_wait_alu 0xfffd
	v_add_co_ci_u32_e64 v17, null, s29, v17, vcc_lo
	v_add_co_u32 v18, vcc_lo, s28, v18
	v_lshlrev_b64_e32 v[22:23], 2, v[22:23]
	v_ashrrev_i32_e32 v31, 31, v30
	s_wait_alu 0xfffd
	v_add_co_ci_u32_e64 v19, null, s29, v19, vcc_lo
	v_add_co_u32 v20, vcc_lo, s28, v20
	v_lshlrev_b64_e32 v[26:27], 2, v[26:27]
	s_wait_alu 0xfffd
	v_add_co_ci_u32_e64 v21, null, s29, v21, vcc_lo
	v_add_co_u32 v24, vcc_lo, s28, v24
	v_lshlrev_b64_e32 v[28:29], 2, v[28:29]
	;; [unrolled: 4-line block ×3, first 2 shown]
	s_wait_alu 0xfffd
	v_add_co_ci_u32_e64 v23, null, s29, v23, vcc_lo
	v_add_co_u32 v26, vcc_lo, s28, v26
	v_add_nc_u32_e32 v32, s48, v48
	s_wait_alu 0xfffd
	v_add_co_ci_u32_e64 v27, null, s29, v27, vcc_lo
	v_add_co_u32 v28, vcc_lo, s28, v28
	v_add_nc_u32_e32 v34, s49, v48
	;; [unrolled: 4-line block ×3, first 2 shown]
	v_ashrrev_i32_e32 v33, 31, v32
	s_wait_alu 0xfffd
	v_add_co_ci_u32_e64 v31, null, s29, v31, vcc_lo
	s_clause 0x7
	global_load_b32 v40, v[16:17], off
	global_load_b32 v41, v[18:19], off
	;; [unrolled: 1-line block ×8, first 2 shown]
	v_add_nc_u32_e32 v18, s51, v48
	v_ashrrev_i32_e32 v35, 31, v34
	v_add_nc_u32_e32 v24, s52, v48
	v_ashrrev_i32_e32 v37, 31, v36
	v_lshlrev_b64_e32 v[32:33], 2, v[32:33]
	v_add_nc_u32_e32 v26, s53, v48
	v_ashrrev_i32_e32 v19, 31, v18
	v_lshlrev_b64_e32 v[16:17], 2, v[34:35]
	;; [unrolled: 3-line block ×3, first 2 shown]
	v_add_nc_u32_e32 v30, s55, v48
	v_ashrrev_i32_e32 v27, 31, v26
	v_add_co_u32 v20, vcc_lo, s28, v32
	v_lshlrev_b64_e32 v[18:19], 2, v[18:19]
	v_ashrrev_i32_e32 v29, 31, v28
	s_wait_alu 0xfffd
	v_add_co_ci_u32_e64 v21, null, s29, v33, vcc_lo
	v_add_co_u32 v16, vcc_lo, s28, v16
	v_lshlrev_b64_e32 v[24:25], 2, v[24:25]
	v_ashrrev_i32_e32 v31, 31, v30
	s_wait_alu 0xfffd
	v_add_co_ci_u32_e64 v17, null, s29, v17, vcc_lo
	v_add_co_u32 v22, vcc_lo, s28, v22
	v_lshlrev_b64_e32 v[26:27], 2, v[26:27]
	s_wait_alu 0xfffd
	v_add_co_ci_u32_e64 v23, null, s29, v23, vcc_lo
	v_add_co_u32 v18, vcc_lo, s28, v18
	v_lshlrev_b64_e32 v[28:29], 2, v[28:29]
	;; [unrolled: 4-line block ×3, first 2 shown]
	s_wait_alu 0xfffd
	v_add_co_ci_u32_e64 v25, null, s29, v25, vcc_lo
	v_add_co_u32 v26, vcc_lo, s28, v26
	v_add_nc_u32_e32 v32, s56, v48
	s_wait_alu 0xfffd
	v_add_co_ci_u32_e64 v27, null, s29, v27, vcc_lo
	v_add_co_u32 v28, vcc_lo, s28, v28
	v_add_nc_u32_e32 v34, s57, v48
	s_wait_alu 0xfffd
	v_add_co_ci_u32_e64 v29, null, s29, v29, vcc_lo
	v_add_co_u32 v30, vcc_lo, s28, v30
	v_add_nc_u32_e32 v36, s58, v48
	v_ashrrev_i32_e32 v33, 31, v32
	s_wait_alu 0xfffd
	v_add_co_ci_u32_e64 v31, null, s29, v31, vcc_lo
	s_clause 0x7
	global_load_b32 v58, v[20:21], off
	global_load_b32 v59, v[16:17], off
	;; [unrolled: 1-line block ×8, first 2 shown]
	v_add_nc_u32_e32 v18, s59, v48
	v_ashrrev_i32_e32 v35, 31, v34
	v_add_nc_u32_e32 v24, s60, v48
	v_ashrrev_i32_e32 v37, 31, v36
	v_lshlrev_b64_e32 v[32:33], 2, v[32:33]
	v_add_nc_u32_e32 v26, s61, v48
	v_ashrrev_i32_e32 v19, 31, v18
	v_lshlrev_b64_e32 v[16:17], 2, v[34:35]
	;; [unrolled: 3-line block ×3, first 2 shown]
	v_add_nc_u32_e32 v30, s63, v48
	v_ashrrev_i32_e32 v27, 31, v26
	v_add_co_u32 v20, vcc_lo, s28, v32
	v_lshlrev_b64_e32 v[18:19], 2, v[18:19]
	v_ashrrev_i32_e32 v29, 31, v28
	s_wait_alu 0xfffd
	v_add_co_ci_u32_e64 v21, null, s29, v33, vcc_lo
	v_add_co_u32 v16, vcc_lo, s28, v16
	v_lshlrev_b64_e32 v[24:25], 2, v[24:25]
	v_ashrrev_i32_e32 v31, 31, v30
	s_wait_alu 0xfffd
	v_add_co_ci_u32_e64 v17, null, s29, v17, vcc_lo
	v_add_co_u32 v22, vcc_lo, s28, v22
	v_lshlrev_b64_e32 v[26:27], 2, v[26:27]
	s_wait_alu 0xfffd
	v_add_co_ci_u32_e64 v23, null, s29, v23, vcc_lo
	v_add_co_u32 v18, vcc_lo, s28, v18
	v_lshlrev_b64_e32 v[28:29], 2, v[28:29]
	;; [unrolled: 4-line block ×3, first 2 shown]
	s_wait_alu 0xfffd
	v_add_co_ci_u32_e64 v25, null, s29, v25, vcc_lo
	v_add_co_u32 v26, vcc_lo, s28, v26
	v_add_nc_u32_e32 v32, s64, v48
	s_wait_alu 0xfffd
	v_add_co_ci_u32_e64 v27, null, s29, v27, vcc_lo
	v_add_co_u32 v28, vcc_lo, s28, v28
	v_add_nc_u32_e32 v34, s65, v48
	;; [unrolled: 4-line block ×3, first 2 shown]
	v_ashrrev_i32_e32 v33, 31, v32
	s_wait_alu 0xfffd
	v_add_co_ci_u32_e64 v31, null, s29, v31, vcc_lo
	s_clause 0x7
	global_load_b32 v66, v[20:21], off
	global_load_b32 v67, v[16:17], off
	;; [unrolled: 1-line block ×8, first 2 shown]
	v_add_nc_u32_e32 v18, s67, v48
	v_ashrrev_i32_e32 v35, 31, v34
	v_add_nc_u32_e32 v24, s68, v48
	v_ashrrev_i32_e32 v37, 31, v36
	v_lshlrev_b64_e32 v[32:33], 2, v[32:33]
	v_add_nc_u32_e32 v26, s7, v48
	v_ashrrev_i32_e32 v19, 31, v18
	v_lshlrev_b64_e32 v[16:17], 2, v[34:35]
	v_ashrrev_i32_e32 v25, 31, v24
	v_lshlrev_b64_e32 v[22:23], 2, v[36:37]
	v_ashrrev_i32_e32 v27, 31, v26
	v_add_co_u32 v20, vcc_lo, s28, v32
	v_lshlrev_b64_e32 v[18:19], 2, v[18:19]
	s_wait_alu 0xfffd
	v_add_co_ci_u32_e64 v21, null, s29, v33, vcc_lo
	v_add_co_u32 v16, vcc_lo, s28, v16
	v_lshlrev_b64_e32 v[24:25], 2, v[24:25]
	s_wait_alu 0xfffd
	v_add_co_ci_u32_e64 v17, null, s29, v17, vcc_lo
	;; [unrolled: 4-line block ×3, first 2 shown]
	v_add_co_u32 v18, vcc_lo, s28, v18
	s_wait_alu 0xfffd
	v_add_co_ci_u32_e64 v19, null, s29, v19, vcc_lo
	v_add_co_u32 v24, vcc_lo, s28, v24
	s_wait_alu 0xfffd
	v_add_co_ci_u32_e64 v25, null, s29, v25, vcc_lo
	;; [unrolled: 3-line block ×3, first 2 shown]
	s_clause 0x5
	global_load_b32 v20, v[20:21], off
	global_load_b32 v21, v[16:17], off
	;; [unrolled: 1-line block ×6, first 2 shown]
	s_and_not1_b32 vcc_lo, exec_lo, s16
	s_wait_loadcnt 0x1f
	ds_store_b32 v55, v38
	s_wait_loadcnt 0x1e
	ds_store_b32 v55, v39 offset:144
	s_wait_loadcnt 0x1d
	ds_store_b32 v55, v40 offset:288
	;; [unrolled: 2-line block ×15, first 2 shown]
	ds_load_b128 v[32:35], v56
	ds_load_b128 v[28:31], v56 offset:32
	ds_load_b128 v[24:27], v56 offset:64
	ds_load_b128 v[16:19], v56 offset:96
	s_wait_loadcnt 0xf
	ds_store_b32 v55, v64
	s_wait_loadcnt 0xe
	ds_store_b32 v55, v65 offset:144
	s_wait_loadcnt 0xd
	ds_store_b32 v55, v66 offset:288
	;; [unrolled: 2-line block ×15, first 2 shown]
	ds_load_b128 v[44:47], v56
	ds_load_b128 v[40:43], v56 offset:32
	ds_load_b128 v[36:39], v56 offset:64
	ds_load_b128 v[20:23], v56 offset:96
	v_dual_mov_b32 v59, 0 :: v_dual_mov_b32 v58, 0
	s_wait_alu 0xfffe
	s_cbranch_vccnz .LBB45_9
; %bb.7:                                ;   in Loop: Header=BB45_6 Depth=1
	s_load_b32 s2, s[30:31], 0x0
	v_dual_mov_b32 v58, 0 :: v_dual_mov_b32 v59, 0
	s_wait_kmcnt 0x0
	s_mul_u64 s[70:71], s[2:3], s[34:35]
	s_wait_alu 0xfffe
	s_add_co_i32 s70, s2, s71
	s_wait_alu 0xfffe
	s_lshr_b32 s70, s70, s9
	s_wait_alu 0xfffe
	s_cmp_ge_i32 s70, s5
	s_cbranch_scc1 .LBB45_9
; %bb.8:                                ;   in Loop: Header=BB45_6 Depth=1
	v_mad_co_u64_u32 v[58:59], null, s70, s20, v[48:49]
	s_mul_i32 s70, s70, s10
	s_wait_alu 0xfffe
	s_sub_co_i32 s2, s2, s70
	s_wait_alu 0xfffe
	s_mul_i32 s2, s2, s17
	s_wait_alu 0xfffe
	v_lshl_add_u32 v58, v58, 1, s2
	s_delay_alu instid0(VALU_DEP_1) | instskip(NEXT) | instid1(VALU_DEP_1)
	v_ashrrev_i32_e32 v59, 31, v58
	v_lshlrev_b64_e32 v[58:59], 2, v[58:59]
	s_delay_alu instid0(VALU_DEP_1) | instskip(SKIP_1) | instid1(VALU_DEP_2)
	v_add_co_u32 v58, vcc_lo, s14, v58
	s_wait_alu 0xfffd
	v_add_co_ci_u32_e64 v59, null, s15, v59, vcc_lo
	global_load_b64 v[59:60], v[58:59], off
	s_wait_loadcnt 0x0
	v_cvt_f16_f32_e32 v59, v59
	v_cvt_f16_f32_e32 v58, v60
.LBB45_9:                               ;   in Loop: Header=BB45_6 Depth=1
	v_dual_mov_b32 v60, 0 :: v_dual_mov_b32 v61, 0
	v_mov_b32_e32 v62, 0
	s_and_not1_b32 vcc_lo, exec_lo, s38
	s_wait_alu 0xfffe
	s_cbranch_vccnz .LBB45_12
; %bb.10:                               ;   in Loop: Header=BB45_6 Depth=1
	s_load_b32 s2, s[30:31], 0x4
	v_dual_mov_b32 v61, 0 :: v_dual_mov_b32 v62, 0
	s_wait_kmcnt 0x0
	s_mul_u64 s[70:71], s[2:3], s[34:35]
	s_wait_alu 0xfffe
	s_add_co_i32 s70, s2, s71
	s_wait_alu 0xfffe
	s_lshr_b32 s70, s70, s9
	s_wait_alu 0xfffe
	s_cmp_ge_i32 s70, s5
	s_cbranch_scc1 .LBB45_12
; %bb.11:                               ;   in Loop: Header=BB45_6 Depth=1
	v_mad_co_u64_u32 v[61:62], null, s70, s20, v[48:49]
	s_mul_i32 s70, s70, s10
	s_wait_alu 0xfffe
	s_sub_co_i32 s2, s2, s70
	s_wait_alu 0xfffe
	s_mul_i32 s2, s2, s17
	s_wait_alu 0xfffe
	v_lshl_add_u32 v61, v61, 1, s2
	s_delay_alu instid0(VALU_DEP_1) | instskip(NEXT) | instid1(VALU_DEP_1)
	v_ashrrev_i32_e32 v62, 31, v61
	v_lshlrev_b64_e32 v[61:62], 2, v[61:62]
	s_delay_alu instid0(VALU_DEP_1) | instskip(SKIP_1) | instid1(VALU_DEP_2)
	v_add_co_u32 v61, vcc_lo, s14, v61
	s_wait_alu 0xfffd
	v_add_co_ci_u32_e64 v62, null, s15, v62, vcc_lo
	global_load_b64 v[62:63], v[61:62], off
	s_wait_loadcnt 0x0
	v_cvt_f16_f32_e32 v62, v62
	v_cvt_f16_f32_e32 v61, v63
.LBB45_12:                              ;   in Loop: Header=BB45_6 Depth=1
	v_mov_b32_e32 v63, 0
	s_and_not1_b32 vcc_lo, exec_lo, s39
	s_wait_alu 0xfffe
	s_cbranch_vccnz .LBB45_15
; %bb.13:                               ;   in Loop: Header=BB45_6 Depth=1
	s_load_b32 s2, s[30:31], 0x8
	v_dual_mov_b32 v63, 0 :: v_dual_mov_b32 v60, 0
	s_wait_kmcnt 0x0
	s_mul_u64 s[70:71], s[2:3], s[34:35]
	s_wait_alu 0xfffe
	s_add_co_i32 s70, s2, s71
	s_wait_alu 0xfffe
	s_lshr_b32 s70, s70, s9
	s_wait_alu 0xfffe
	s_cmp_ge_i32 s70, s5
	s_cbranch_scc1 .LBB45_15
; %bb.14:                               ;   in Loop: Header=BB45_6 Depth=1
	v_mad_co_u64_u32 v[63:64], null, s70, s20, v[48:49]
	s_mul_i32 s70, s70, s10
	s_wait_alu 0xfffe
	s_sub_co_i32 s2, s2, s70
	s_wait_alu 0xfffe
	s_mul_i32 s2, s2, s17
	s_wait_alu 0xfffe
	v_lshl_add_u32 v63, v63, 1, s2
	s_delay_alu instid0(VALU_DEP_1) | instskip(NEXT) | instid1(VALU_DEP_1)
	v_ashrrev_i32_e32 v64, 31, v63
	v_lshlrev_b64_e32 v[63:64], 2, v[63:64]
	s_delay_alu instid0(VALU_DEP_1) | instskip(SKIP_1) | instid1(VALU_DEP_2)
	v_add_co_u32 v63, vcc_lo, s14, v63
	s_wait_alu 0xfffd
	v_add_co_ci_u32_e64 v64, null, s15, v64, vcc_lo
	global_load_b64 v[63:64], v[63:64], off
	s_wait_loadcnt 0x0
	v_cvt_f16_f32_e32 v60, v63
	v_cvt_f16_f32_e32 v63, v64
.LBB45_15:                              ;   in Loop: Header=BB45_6 Depth=1
	v_dual_mov_b32 v64, 0 :: v_dual_mov_b32 v65, 0
	s_and_not1_b32 vcc_lo, exec_lo, s8
	s_wait_alu 0xfffe
	s_cbranch_vccnz .LBB45_5
; %bb.16:                               ;   in Loop: Header=BB45_6 Depth=1
	s_load_b32 s2, s[30:31], 0xc
	v_dual_mov_b32 v65, 0 :: v_dual_mov_b32 v64, 0
	s_wait_kmcnt 0x0
	s_mul_u64 s[70:71], s[2:3], s[34:35]
	s_wait_alu 0xfffe
	s_add_co_i32 s70, s2, s71
	s_wait_alu 0xfffe
	s_lshr_b32 s70, s70, s9
	s_wait_alu 0xfffe
	s_cmp_ge_i32 s70, s5
	s_cbranch_scc1 .LBB45_5
; %bb.17:                               ;   in Loop: Header=BB45_6 Depth=1
	v_mad_co_u64_u32 v[64:65], null, s70, s20, v[48:49]
	s_mul_i32 s70, s70, s10
	s_wait_alu 0xfffe
	s_sub_co_i32 s2, s2, s70
	s_wait_alu 0xfffe
	s_mul_i32 s2, s2, s17
	s_wait_alu 0xfffe
	v_lshl_add_u32 v64, v64, 1, s2
	s_delay_alu instid0(VALU_DEP_1) | instskip(NEXT) | instid1(VALU_DEP_1)
	v_ashrrev_i32_e32 v65, 31, v64
	v_lshlrev_b64_e32 v[64:65], 2, v[64:65]
	s_delay_alu instid0(VALU_DEP_1) | instskip(SKIP_1) | instid1(VALU_DEP_2)
	v_add_co_u32 v64, vcc_lo, s14, v64
	s_wait_alu 0xfffd
	v_add_co_ci_u32_e64 v65, null, s15, v65, vcc_lo
	global_load_b64 v[64:65], v[64:65], off
	s_wait_loadcnt 0x0
	v_cvt_f16_f32_e32 v64, v64
	v_cvt_f16_f32_e32 v65, v65
	s_branch .LBB45_5
.LBB45_18:
	s_or_b32 exec_lo, exec_lo, s69
.LBB45_19:
	s_delay_alu instid0(SALU_CYCLE_1)
	s_or_b32 exec_lo, exec_lo, s37
	s_load_b64 s[0:1], s[0:1], 0x18
	v_lshlrev_b32_e32 v16, 1, v51
	v_lshl_add_u32 v17, v53, 2, 0
	v_mul_u32_u24_e32 v18, 0x390, v54
	s_barrier_signal -1
	s_delay_alu instid0(VALU_DEP_3)
	v_and_b32_e32 v16, 0x7e0, v16
	s_barrier_wait -1
	global_inv scope:SCOPE_SE
	s_mov_b32 s2, exec_lo
	v_add3_u32 v16, v17, v18, v16
	ds_store_2addr_b32 v16, v8, v9 offset1:1
	ds_store_2addr_b32 v16, v10, v11 offset0:2 offset1:3
	ds_store_2addr_b32 v16, v12, v13 offset0:4 offset1:5
	;; [unrolled: 1-line block ×7, first 2 shown]
	s_wait_loadcnt_dscnt 0x0
	s_barrier_signal -1
	s_barrier_wait -1
	global_inv scope:SCOPE_SE
	v_cmpx_gt_u32_e32 4, v52
	s_cbranch_execz .LBB45_23
; %bb.20:
	v_or_b32_e32 v0, s36, v52
	s_cmp_gt_i32 s6, 0
	s_cselect_b32 s2, -1, 0
	s_delay_alu instid0(VALU_DEP_1)
	v_cmp_gt_i32_e32 vcc_lo, s19, v0
	s_wait_alu 0xfffe
	s_and_b32 s2, s2, vcc_lo
	s_wait_alu 0xfffe
	s_and_b32 exec_lo, exec_lo, s2
	s_cbranch_execz .LBB45_23
; %bb.21:
	v_lshlrev_b32_e32 v0, 2, v0
	s_lshl_b64 s[2:3], s[24:25], 2
	s_wait_kmcnt 0x0
	s_wait_alu 0xfffe
	s_add_nc_u64 s[0:1], s[0:1], s[2:3]
	global_load_b32 v1, v0, s[0:1]
	s_wait_loadcnt 0x0
	v_mul_hi_u32 v0, v1, s11
	s_delay_alu instid0(VALU_DEP_1) | instskip(NEXT) | instid1(VALU_DEP_1)
	v_add_nc_u32_e32 v0, v1, v0
	v_lshrrev_b32_e32 v0, s22, v0
	s_delay_alu instid0(VALU_DEP_1)
	v_cmp_gt_i32_e32 vcc_lo, s5, v0
	s_and_b32 exec_lo, exec_lo, vcc_lo
	s_cbranch_execz .LBB45_23
; %bb.22:
	v_lshlrev_b32_e32 v2, 2, v51
	v_mul_u32_u24_e32 v3, 0x390, v52
	v_mul_lo_u32 v9, v0, s23
	v_mul_lo_u32 v0, v0, s21
	s_delay_alu instid0(VALU_DEP_3)
	v_add3_u32 v8, 0, v2, v3
	ds_load_2addr_b32 v[2:3], v8 offset1:32
	ds_load_2addr_b32 v[4:5], v8 offset0:64 offset1:96
	ds_load_2addr_b32 v[6:7], v8 offset0:128 offset1:160
	v_sub_nc_u32_e32 v1, v1, v9
	s_wait_dscnt 0x2
	v_add_f32_e32 v2, 0, v2
	s_delay_alu instid0(VALU_DEP_1) | instskip(SKIP_4) | instid1(VALU_DEP_2)
	v_add_f32_e32 v2, v2, v3
	ds_load_b32 v3, v8 offset:768
	s_wait_dscnt 0x2
	v_add_f32_e32 v2, v2, v4
	v_mul_lo_u32 v4, v1, s18
	v_dual_mov_b32 v1, 0 :: v_dual_add_f32 v2, v2, v5
	s_wait_dscnt 0x1
	s_delay_alu instid0(VALU_DEP_1) | instskip(NEXT) | instid1(VALU_DEP_1)
	v_dual_add_f32 v2, v2, v6 :: v_dual_add_nc_u32 v5, s33, v51
	v_add3_u32 v0, v5, v0, v4
	s_delay_alu instid0(VALU_DEP_2) | instskip(NEXT) | instid1(VALU_DEP_2)
	v_add_f32_e32 v2, v2, v7
	v_lshlrev_b64_e32 v[0:1], 2, v[0:1]
	s_wait_dscnt 0x0
	s_delay_alu instid0(VALU_DEP_2) | instskip(NEXT) | instid1(VALU_DEP_2)
	v_add_f32_e32 v2, v2, v3
	v_add_co_u32 v0, vcc_lo, s26, v0
	s_wait_alu 0xfffd
	s_delay_alu instid0(VALU_DEP_3)
	v_add_co_ci_u32_e64 v1, null, s27, v1, vcc_lo
	global_store_b32 v[0:1], v2, off
.LBB45_23:
	s_endpgm
	.section	.rodata,"a",@progbits
	.p2align	6, 0x0
	.amdhsa_kernel _ZL13mul_mat_f_idsI7__half2Li32ELi4ELi7EEvPKT_PKfPKiS7_S7_Pfiiiiiiiiiiiiii15HIP_vector_typeIjLj3EESA_
		.amdhsa_group_segment_fixed_size 0
		.amdhsa_private_segment_fixed_size 0
		.amdhsa_kernarg_size 128
		.amdhsa_user_sgpr_count 2
		.amdhsa_user_sgpr_dispatch_ptr 0
		.amdhsa_user_sgpr_queue_ptr 0
		.amdhsa_user_sgpr_kernarg_segment_ptr 1
		.amdhsa_user_sgpr_dispatch_id 0
		.amdhsa_user_sgpr_private_segment_size 0
		.amdhsa_wavefront_size32 1
		.amdhsa_uses_dynamic_stack 0
		.amdhsa_enable_private_segment 0
		.amdhsa_system_sgpr_workgroup_id_x 1
		.amdhsa_system_sgpr_workgroup_id_y 1
		.amdhsa_system_sgpr_workgroup_id_z 1
		.amdhsa_system_sgpr_workgroup_info 0
		.amdhsa_system_vgpr_workitem_id 1
		.amdhsa_next_free_vgpr 74
		.amdhsa_next_free_sgpr 74
		.amdhsa_reserve_vcc 1
		.amdhsa_float_round_mode_32 0
		.amdhsa_float_round_mode_16_64 0
		.amdhsa_float_denorm_mode_32 3
		.amdhsa_float_denorm_mode_16_64 3
		.amdhsa_fp16_overflow 0
		.amdhsa_workgroup_processor_mode 1
		.amdhsa_memory_ordered 1
		.amdhsa_forward_progress 1
		.amdhsa_inst_pref_size 32
		.amdhsa_round_robin_scheduling 0
		.amdhsa_exception_fp_ieee_invalid_op 0
		.amdhsa_exception_fp_denorm_src 0
		.amdhsa_exception_fp_ieee_div_zero 0
		.amdhsa_exception_fp_ieee_overflow 0
		.amdhsa_exception_fp_ieee_underflow 0
		.amdhsa_exception_fp_ieee_inexact 0
		.amdhsa_exception_int_div_zero 0
	.end_amdhsa_kernel
	.section	.text._ZL13mul_mat_f_idsI7__half2Li32ELi4ELi7EEvPKT_PKfPKiS7_S7_Pfiiiiiiiiiiiiii15HIP_vector_typeIjLj3EESA_,"axG",@progbits,_ZL13mul_mat_f_idsI7__half2Li32ELi4ELi7EEvPKT_PKfPKiS7_S7_Pfiiiiiiiiiiiiii15HIP_vector_typeIjLj3EESA_,comdat
.Lfunc_end45:
	.size	_ZL13mul_mat_f_idsI7__half2Li32ELi4ELi7EEvPKT_PKfPKiS7_S7_Pfiiiiiiiiiiiiii15HIP_vector_typeIjLj3EESA_, .Lfunc_end45-_ZL13mul_mat_f_idsI7__half2Li32ELi4ELi7EEvPKT_PKfPKiS7_S7_Pfiiiiiiiiiiiiii15HIP_vector_typeIjLj3EESA_
                                        ; -- End function
	.set _ZL13mul_mat_f_idsI7__half2Li32ELi4ELi7EEvPKT_PKfPKiS7_S7_Pfiiiiiiiiiiiiii15HIP_vector_typeIjLj3EESA_.num_vgpr, 74
	.set _ZL13mul_mat_f_idsI7__half2Li32ELi4ELi7EEvPKT_PKfPKiS7_S7_Pfiiiiiiiiiiiiii15HIP_vector_typeIjLj3EESA_.num_agpr, 0
	.set _ZL13mul_mat_f_idsI7__half2Li32ELi4ELi7EEvPKT_PKfPKiS7_S7_Pfiiiiiiiiiiiiii15HIP_vector_typeIjLj3EESA_.numbered_sgpr, 74
	.set _ZL13mul_mat_f_idsI7__half2Li32ELi4ELi7EEvPKT_PKfPKiS7_S7_Pfiiiiiiiiiiiiii15HIP_vector_typeIjLj3EESA_.num_named_barrier, 0
	.set _ZL13mul_mat_f_idsI7__half2Li32ELi4ELi7EEvPKT_PKfPKiS7_S7_Pfiiiiiiiiiiiiii15HIP_vector_typeIjLj3EESA_.private_seg_size, 0
	.set _ZL13mul_mat_f_idsI7__half2Li32ELi4ELi7EEvPKT_PKfPKiS7_S7_Pfiiiiiiiiiiiiii15HIP_vector_typeIjLj3EESA_.uses_vcc, 1
	.set _ZL13mul_mat_f_idsI7__half2Li32ELi4ELi7EEvPKT_PKfPKiS7_S7_Pfiiiiiiiiiiiiii15HIP_vector_typeIjLj3EESA_.uses_flat_scratch, 0
	.set _ZL13mul_mat_f_idsI7__half2Li32ELi4ELi7EEvPKT_PKfPKiS7_S7_Pfiiiiiiiiiiiiii15HIP_vector_typeIjLj3EESA_.has_dyn_sized_stack, 0
	.set _ZL13mul_mat_f_idsI7__half2Li32ELi4ELi7EEvPKT_PKfPKiS7_S7_Pfiiiiiiiiiiiiii15HIP_vector_typeIjLj3EESA_.has_recursion, 0
	.set _ZL13mul_mat_f_idsI7__half2Li32ELi4ELi7EEvPKT_PKfPKiS7_S7_Pfiiiiiiiiiiiiii15HIP_vector_typeIjLj3EESA_.has_indirect_call, 0
	.section	.AMDGPU.csdata,"",@progbits
; Kernel info:
; codeLenInByte = 4072
; TotalNumSgprs: 76
; NumVgprs: 74
; ScratchSize: 0
; MemoryBound: 0
; FloatMode: 240
; IeeeMode: 1
; LDSByteSize: 0 bytes/workgroup (compile time only)
; SGPRBlocks: 0
; VGPRBlocks: 9
; NumSGPRsForWavesPerEU: 76
; NumVGPRsForWavesPerEU: 74
; Occupancy: 16
; WaveLimiterHint : 1
; COMPUTE_PGM_RSRC2:SCRATCH_EN: 0
; COMPUTE_PGM_RSRC2:USER_SGPR: 2
; COMPUTE_PGM_RSRC2:TRAP_HANDLER: 0
; COMPUTE_PGM_RSRC2:TGID_X_EN: 1
; COMPUTE_PGM_RSRC2:TGID_Y_EN: 1
; COMPUTE_PGM_RSRC2:TGID_Z_EN: 1
; COMPUTE_PGM_RSRC2:TIDIG_COMP_CNT: 1
	.section	.text._ZL9mul_mat_fI7__half2Li32ELi4ELi7ELb1EEvPKT_PKfPKiPfiiiiiiiiiiiiiiii,"axG",@progbits,_ZL9mul_mat_fI7__half2Li32ELi4ELi7ELb1EEvPKT_PKfPKiPfiiiiiiiiiiiiiiii,comdat
	.globl	_ZL9mul_mat_fI7__half2Li32ELi4ELi7ELb1EEvPKT_PKfPKiPfiiiiiiiiiiiiiiii ; -- Begin function _ZL9mul_mat_fI7__half2Li32ELi4ELi7ELb1EEvPKT_PKfPKiPfiiiiiiiiiiiiiiii
	.p2align	8
	.type	_ZL9mul_mat_fI7__half2Li32ELi4ELi7ELb1EEvPKT_PKfPKiPfiiiiiiiiiiiiiiii,@function
_ZL9mul_mat_fI7__half2Li32ELi4ELi7ELb1EEvPKT_PKfPKiPfiiiiiiiiiiiiiiii: ; @_ZL9mul_mat_fI7__half2Li32ELi4ELi7ELb1EEvPKT_PKfPKiPfiiiiiiiiiiiiiiii
; %bb.0:
	s_load_b256 s[4:11], s[0:1], 0x20
	s_mov_b32 s29, 0
	v_bfe_u32 v55, v0, 10, 10
	v_and_b32_e32 v48, 0x3ff, v0
	s_wait_kmcnt 0x0
	s_add_co_i32 s2, s5, 3
	s_delay_alu instid0(SALU_CYCLE_1) | instskip(NEXT) | instid1(SALU_CYCLE_1)
	s_ashr_i32 s3, s2, 31
	s_lshr_b32 s3, s3, 30
	s_delay_alu instid0(SALU_CYCLE_1) | instskip(NEXT) | instid1(SALU_CYCLE_1)
	s_add_co_i32 s2, s2, s3
	s_ashr_i32 s2, s2, 2
	s_delay_alu instid0(SALU_CYCLE_1) | instskip(SKIP_1) | instid1(SALU_CYCLE_2)
	s_cvt_f32_u32 s3, s2
	s_sub_co_i32 s13, 0, s2
	v_rcp_iflag_f32_e32 v1, s3
	s_load_b32 s3, s[0:1], 0x64
	s_delay_alu instid0(TRANS32_DEP_1) | instskip(SKIP_1) | instid1(SALU_CYCLE_3)
	v_readfirstlane_b32 s12, v1
	s_mul_f32 s12, s12, 0x4f7ffffe
	s_cvt_u32_f32 s12, s12
	s_delay_alu instid0(SALU_CYCLE_3) | instskip(NEXT) | instid1(SALU_CYCLE_1)
	s_mul_i32 s13, s13, s12
	s_mul_hi_u32 s13, s12, s13
	s_delay_alu instid0(SALU_CYCLE_1) | instskip(SKIP_4) | instid1(SALU_CYCLE_1)
	s_add_co_i32 s12, s12, s13
	s_wait_kmcnt 0x0
	s_mul_hi_u32 s16, s3, s12
	s_load_b128 s[12:15], s[0:1], 0x44
	s_mul_i32 s17, s16, s2
	s_sub_co_i32 s3, s3, s17
	s_add_co_i32 s17, s16, 1
	s_wait_alu 0xfffe
	s_sub_co_i32 s18, s3, s2
	s_cmp_ge_u32 s3, s2
	s_cselect_b32 s16, s17, s16
	s_cselect_b32 s3, s18, s3
	s_add_co_i32 s17, s16, 1
	s_wait_alu 0xfffe
	s_cmp_ge_u32 s3, s2
	s_mov_b32 s3, s29
	s_cselect_b32 s18, s17, s16
	s_lshr_b32 s24, ttmp7, 16
	s_cvt_f32_u32 s2, s18
	s_wait_alu 0xfffe
	s_delay_alu instid0(SALU_CYCLE_2) | instskip(SKIP_2) | instid1(SALU_CYCLE_1)
	v_rcp_iflag_f32_e32 v1, s2
	s_wait_kmcnt 0x0
	s_abs_i32 s33, s15
	s_cvt_f32_u32 s2, s33
	s_wait_alu 0xfffe
	s_delay_alu instid0(SALU_CYCLE_2) | instskip(NEXT) | instid1(TRANS32_DEP_2)
	v_rcp_iflag_f32_e32 v2, s2
	v_readfirstlane_b32 s2, v1
	s_mul_f32 s2, s2, 0x4f7ffffe
	s_delay_alu instid0(TRANS32_DEP_1) | instskip(SKIP_1) | instid1(SALU_CYCLE_1)
	v_readfirstlane_b32 s16, v2
	s_wait_alu 0xfffe
	s_cvt_u32_f32 s17, s2
	s_sub_co_i32 s2, 0, s18
	s_mul_f32 s16, s16, 0x4f7ffffe
	s_wait_alu 0xfffe
	s_mul_i32 s19, s2, s17
	s_and_b32 s2, ttmp7, 0xffff
	s_mul_hi_u32 s20, s17, s19
	s_cvt_u32_f32 s19, s16
	s_add_co_i32 s28, s17, s20
	s_sub_co_i32 s20, 0, s33
	s_wait_alu 0xfffe
	s_mul_u64 s[16:17], s[2:3], s[28:29]
	s_mul_i32 s20, s20, s19
	s_mov_b32 s16, exec_lo
	s_mul_hi_u32 s3, s19, s20
	v_cmpx_eq_u32_e32 0, v48
; %bb.1:
	v_lshl_add_u32 v1, v55, 2, 0x100
	v_mov_b32_e32 v2, -1
	ds_store_b32 v1, v2
; %bb.2:
	s_or_b32 exec_lo, exec_lo, s16
	s_mul_i32 s16, s17, s18
	s_load_b96 s[20:22], s[0:1], 0x54
	s_add_co_i32 s30, s19, s3
	s_sub_co_i32 s3, s2, s16
	s_abs_i32 s28, s24
	s_add_co_i32 s16, s17, 1
	s_wait_alu 0xfffe
	s_sub_co_i32 s19, s3, s18
	s_cmp_ge_u32 s3, s18
	v_mov_b32_e32 v3, 0
	s_cselect_b32 s16, s16, s17
	s_cselect_b32 s3, s19, s3
	s_add_co_i32 s17, s16, 1
	s_wait_alu 0xfffe
	s_cmp_ge_u32 s3, s18
	s_cselect_b32 s3, s17, s16
	s_add_nc_u64 s[16:17], s[0:1], 0x60
	s_wait_alu 0xfffe
	s_lshl_b32 s26, s3, 2
	s_mul_i32 s3, s3, s18
	v_add_nc_u32_e32 v1, s26, v55
	s_wait_alu 0xfffe
	s_sub_co_i32 s34, s2, s3
	s_ashr_i32 s27, s26, 31
	s_mov_b32 s3, exec_lo
	v_cmpx_gt_i32_e64 s5, v1
	s_cbranch_execz .LBB46_10
; %bb.3:
	v_mov_b32_e32 v3, 0
	s_mov_b32 s18, exec_lo
	v_cmpx_gt_i32_e64 s6, v48
	s_cbranch_execz .LBB46_9
; %bb.4:
	s_load_b64 s[36:37], s[0:1], 0x10
	v_mul_lo_u32 v1, v55, s11
	s_ashr_i32 s39, s11, 31
	s_mov_b32 s38, s11
	v_lshl_add_u32 v4, v55, 2, 0x100
	s_mul_u64 s[38:39], s[26:27], s[38:39]
	v_mov_b32_e32 v3, 0
	s_lshl_b64 s[38:39], s[38:39], 2
	v_mov_b32_e32 v7, v48
	v_ashrrev_i32_e32 v2, 31, v1
	s_lshl_b32 s11, s10, 5
	s_delay_alu instid0(VALU_DEP_1)
	v_lshlrev_b64_e32 v[5:6], 2, v[1:2]
	v_mul_lo_u32 v1, v48, s10
	s_mov_b32 s10, 0
	s_wait_kmcnt 0x0
	s_add_nc_u64 s[36:37], s[36:37], s[38:39]
	s_delay_alu instid0(VALU_DEP_2) | instid1(SALU_CYCLE_1)
	v_add_co_u32 v5, vcc_lo, s36, v5
	s_delay_alu instid0(VALU_DEP_1)
	v_add_co_ci_u32_e64 v6, null, s37, v6, vcc_lo
	s_branch .LBB46_6
.LBB46_5:                               ;   in Loop: Header=BB46_6 Depth=1
	s_or_b32 exec_lo, exec_lo, s19
	v_add_nc_u32_e32 v7, 32, v7
	s_xor_b32 s19, vcc_lo, -1
	s_wait_alu 0xfffe
	v_add_nc_u32_e32 v1, s11, v1
	s_delay_alu instid0(VALU_DEP_2)
	v_cmp_le_i32_e64 s2, s6, v7
	s_or_b32 s2, s19, s2
	s_wait_alu 0xfffe
	s_and_b32 s2, exec_lo, s2
	s_wait_alu 0xfffe
	s_or_b32 s10, s2, s10
	s_wait_alu 0xfffe
	s_and_not1_b32 exec_lo, exec_lo, s10
	s_cbranch_execz .LBB46_8
.LBB46_6:                               ; =>This Inner Loop Header: Depth=1
	s_delay_alu instid0(VALU_DEP_3) | instskip(SKIP_1) | instid1(VALU_DEP_1)
	v_ashrrev_i32_e32 v2, 31, v1
	s_mov_b32 s19, exec_lo
	v_lshlrev_b64_e32 v[8:9], 2, v[1:2]
	s_delay_alu instid0(VALU_DEP_1) | instskip(SKIP_1) | instid1(VALU_DEP_2)
	v_add_co_u32 v8, vcc_lo, v5, v8
	s_wait_alu 0xfffd
	v_add_co_ci_u32_e64 v9, null, v6, v9, vcc_lo
	global_load_b32 v2, v[8:9], off
	s_wait_loadcnt 0x0
	v_cmp_ne_u32_e32 vcc_lo, s34, v2
	v_cmpx_eq_u32_e64 s34, v2
	s_cbranch_execz .LBB46_5
; %bb.7:                                ;   in Loop: Header=BB46_6 Depth=1
	v_mov_b32_e32 v3, 1
	ds_store_b32 v4, v7
	s_branch .LBB46_5
.LBB46_8:
	s_or_b32 exec_lo, exec_lo, s10
.LBB46_9:
	s_delay_alu instid0(SALU_CYCLE_1)
	s_or_b32 exec_lo, exec_lo, s18
.LBB46_10:
	s_wait_alu 0xfffe
	s_or_b32 exec_lo, exec_lo, s3
	v_or_b32_dpp v1, v3, v3 row_shl:1 row_mask:0xf bank_mask:0xf bound_ctrl:1
	s_load_b64 s[10:11], s[16:17], 0xc
	s_mov_b32 s31, s29
	s_delay_alu instid0(VALU_DEP_1) | instskip(NEXT) | instid1(VALU_DEP_1)
	v_or_b32_dpp v1, v1, v1 row_shl:2 row_mask:0xf bank_mask:0xf bound_ctrl:1
	v_or_b32_dpp v1, v1, v1 row_shl:4 row_mask:0xf bank_mask:0xf bound_ctrl:1
	s_delay_alu instid0(VALU_DEP_1) | instskip(NEXT) | instid1(VALU_DEP_1)
	v_or_b32_dpp v1, v1, v1 row_shl:8 row_mask:0xf bank_mask:0xf bound_ctrl:1
	v_mov_b32_dpp v1, v1 row_share:0 row_mask:0xf bank_mask:0xf bound_ctrl:1
	s_wait_kmcnt 0x0
	s_lshr_b32 s3, s10, 16
	s_and_b32 s2, s10, 0xffff
	s_and_b32 s10, s11, 0xffff
	s_wait_alu 0xfffe
	s_mul_i32 s6, s3, s2
	v_permlanex16_b32 v2, v1, 0, 0 op_sel:[0,1]
	s_wait_alu 0xfffe
	s_bfe_i32 s6, s6, 0x180000
	s_wait_alu 0xfffe
	s_mul_i32 s6, s6, s10
	s_wait_alu 0xfffe
	s_add_co_i32 s6, s6, 31
	v_or_b32_e32 v2, v2, v1
	s_wait_alu 0xfffe
	s_and_not1_b32 s6, s6, 31
	s_wait_alu 0xfffe
	s_cmp_lg_u32 s6, 32
	s_cbranch_scc0 .LBB46_19
; %bb.11:
	v_bfe_u32 v0, v0, 20, 10
	s_delay_alu instid0(VALU_DEP_1) | instskip(NEXT) | instid1(VALU_DEP_1)
	v_mad_u32_u24 v0, v0, s3, v55
	v_mad_co_u64_u32 v[0:1], null, v0, s2, v[48:49]
	v_mbcnt_lo_u32_b32 v1, -1, 0
	s_mov_b32 s2, exec_lo
	s_delay_alu instid0(VALU_DEP_2) | instskip(NEXT) | instid1(VALU_DEP_1)
	v_lshrrev_b32_e32 v3, 5, v0
	v_or_b32_e32 v3, v1, v3
	s_delay_alu instid0(VALU_DEP_1)
	v_cmpx_eq_u32_e32 0, v3
; %bb.12:
	v_mov_b32_e32 v3, 0
	ds_store_b32 v3, v2
; %bb.13:
	s_wait_alu 0xfffe
	s_or_b32 exec_lo, exec_lo, s2
	v_cmp_eq_u32_e32 vcc_lo, 0, v1
	v_cmp_lt_u32_e64 s2, 31, v0
	s_mov_b32 s3, 0
	s_wait_dscnt 0x0
	s_barrier_signal -1
	s_barrier_wait -1
	s_and_b32 s6, s2, vcc_lo
	global_inv scope:SCOPE_SE
	s_wait_alu 0xfffe
	s_and_saveexec_b32 s2, s6
	s_cbranch_execz .LBB46_18
; %bb.14:
	s_mov_b32 s6, exec_lo
.LBB46_15:                              ; =>This Inner Loop Header: Depth=1
	s_wait_alu 0xfffe
	s_ctz_i32_b32 s10, s6
	s_wait_alu 0xfffe
	v_readlane_b32 s11, v2, s10
	s_lshl_b32 s10, 1, s10
	s_wait_alu 0xfffe
	s_and_not1_b32 s6, s6, s10
	s_or_b32 s3, s3, s11
	s_wait_alu 0xfffe
	s_cmp_lg_u32 s6, 0
	s_cbranch_scc1 .LBB46_15
; %bb.16:
	v_mbcnt_lo_u32_b32 v0, exec_lo, 0
	s_mov_b32 s6, exec_lo
	s_delay_alu instid0(VALU_DEP_1)
	v_cmpx_eq_u32_e32 0, v0
	s_wait_alu 0xfffe
	s_xor_b32 s6, exec_lo, s6
; %bb.17:
	v_dual_mov_b32 v0, 0 :: v_dual_mov_b32 v1, s3
	ds_or_b32 v0, v1
.LBB46_18:
	s_wait_alu 0xfffe
	s_or_b32 exec_lo, exec_lo, s2
	v_mov_b32_e32 v0, 0
	s_wait_loadcnt_dscnt 0x0
	s_barrier_signal -1
	s_barrier_wait -1
	global_inv scope:SCOPE_SE
	ds_load_b32 v2, v0
	s_wait_loadcnt_dscnt 0x0
	s_barrier_signal -1
	s_barrier_wait -1
	global_inv scope:SCOPE_SE
.LBB46_19:
	s_clause 0x1
	s_load_b128 s[16:19], s[0:1], 0x0
	s_load_b64 s[2:3], s[0:1], 0x18
	s_mul_u64 s[0:1], s[28:29], s[30:31]
	s_ashr_i32 s0, s15, 31
	s_mov_b32 s25, 0
	s_mov_b32 s6, exec_lo
	v_cmpx_ne_u32_e32 0, v2
	s_cbranch_execz .LBB46_45
; %bb.20:
	v_lshlrev_b32_e32 v56, 5, v55
	v_and_b32_e32 v57, 15, v48
	s_mov_b32 s6, exec_lo
	s_delay_alu instid0(VALU_DEP_2) | instskip(NEXT) | instid1(VALU_DEP_1)
	v_add_nc_u32_e32 v59, v56, v48
	v_cmpx_le_i32_e64 s4, v59
	s_wait_alu 0xfffe
	s_xor_b32 s6, exec_lo, s6
; %bb.21:
	v_and_b32_e32 v57, 15, v48
                                        ; implicit-def: $vgpr59
; %bb.22:
	s_wait_alu 0xfffe
	s_or_saveexec_b32 s23, s6
	v_dual_mov_b32 v15, 0 :: v_dual_lshlrev_b32 v58, 1, v48
	s_lshl_b32 s15, ttmp9, 5
	s_delay_alu instid0(VALU_DEP_1)
	v_dual_mov_b32 v14, v15 :: v_dual_mov_b32 v13, v15
	v_dual_mov_b32 v12, v15 :: v_dual_mov_b32 v11, v15
	;; [unrolled: 1-line block ×7, first 2 shown]
	v_mov_b32_e32 v0, v15
	s_xor_b32 exec_lo, exec_lo, s23
	s_cbranch_execz .LBB46_42
; %bb.23:
	s_mul_i32 s6, s1, s33
	s_add_co_i32 s11, s1, 1
	s_wait_alu 0xfffe
	s_sub_co_i32 s6, s28, s6
	s_mov_b32 s10, s20
	s_wait_alu 0xfffe
	s_sub_co_i32 s29, s6, s33
	s_cmp_ge_u32 s6, s33
	s_mul_i32 s28, s34, s12
	s_cselect_b32 s1, s11, s1
	s_cselect_b32 s6, s29, s6
	s_add_co_i32 s11, s1, 1
	s_wait_alu 0xfffe
	s_cmp_ge_u32 s6, s33
	s_mul_i32 s30, s7, s15
	s_cselect_b32 s1, s11, s1
	s_ashr_i32 s11, s20, 31
	s_xor_b32 s1, s1, s0
	s_ashr_i32 s29, s28, 31
	s_sub_co_i32 s0, s1, s0
	s_mov_b32 s34, s21
	s_ashr_i32 s1, s0, 31
	s_mov_b32 s36, s8
	s_wait_alu 0xfffe
	s_mul_u64 s[0:1], s[0:1], s[10:11]
	s_ashr_i32 s31, s30, 31
	s_lshl_b64 s[62:63], s[0:1], 2
	s_ashr_i32 s35, s21, 31
	s_ashr_i32 s37, s8, 31
	s_lshl_b64 s[60:61], s[28:29], 2
	s_wait_kmcnt 0x0
	s_add_nc_u64 s[0:1], s[16:17], s[62:63]
	s_lshl_b64 s[64:65], s[30:31], 2
	s_wait_alu 0xfffe
	s_mul_u64 s[20:21], s[36:37], s[26:27]
	s_add_nc_u64 s[0:1], s[0:1], s[60:61]
	s_mul_u64 s[28:29], s[34:35], s[24:25]
	s_add_nc_u64 s[10:11], s[0:1], s[64:65]
	s_lshl_b64 s[20:21], s[20:21], 3
	s_lshl_b64 s[0:1], s[28:29], 2
	s_movk_i32 s6, 0x900
	s_cmp_lt_i32 s26, s5
	s_wait_alu 0xfffe
	v_mad_u32_u24 v0, v55, s6, 0x100
	s_add_nc_u64 s[18:19], s[18:19], s[0:1]
	s_cselect_b32 s1, -1, 0
	s_or_b32 s0, s26, 1
	v_mul_u32_u24_e32 v1, 0x90, v57
	v_mov_b32_e32 v62, 0
	v_and_b32_e32 v2, 0x3f0, v48
	s_cmp_lt_i32 s0, s5
	s_add_nc_u64 s[62:63], s[62:63], s[64:65]
	s_cselect_b32 s12, -1, 0
	s_or_b32 s0, s26, 2
	v_lshl_add_u32 v60, v48, 2, v0
	v_add3_u32 v61, v0, v1, v2
	v_dual_mov_b32 v63, 0x100 :: v_dual_lshlrev_b32 v0, 2, v59
	s_cmp_lt_i32 s0, s5
	s_add_nc_u64 s[60:61], s[62:63], s[60:61]
	s_add_nc_u64 s[18:19], s[18:19], s[20:21]
	s_cselect_b32 s20, -1, 0
	s_or_b32 s0, s26, 3
	s_add_nc_u64 s[16:17], s[16:17], s[60:61]
	s_lshl_b32 s21, s8, 2
	s_cmp_lt_i32 s0, s5
	v_add_co_u32 v50, s0, s16, v0
	v_lshl_add_u32 v49, v55, 6, v58
	v_add_co_ci_u32_e64 v51, null, s17, 0, s0
	v_dual_mov_b32 v0, 0 :: v_dual_mov_b32 v3, v62
	v_dual_mov_b32 v1, v62 :: v_dual_mov_b32 v2, v62
	;; [unrolled: 1-line block ×8, first 2 shown]
	s_cselect_b32 s28, -1, 0
	s_ashr_i32 s67, s7, 31
	s_mov_b32 s66, s7
	s_add_co_i32 s29, s7, s7
	s_mul_i32 s30, s7, 3
	s_lshl_b32 s31, s7, 2
	s_mul_i32 s33, s7, 5
	s_mul_i32 s34, s7, 6
	;; [unrolled: 1-line block ×3, first 2 shown]
	s_lshl_b32 s36, s7, 3
	s_mul_i32 s37, s7, 9
	s_mul_i32 s38, s7, 10
	;; [unrolled: 1-line block ×7, first 2 shown]
	s_lshl_b32 s44, s7, 4
	s_mul_i32 s45, s7, 17
	s_mul_i32 s46, s7, 18
	;; [unrolled: 1-line block ×15, first 2 shown]
	s_lshl_b64 s[6:7], s[66:67], 2
	s_mul_i32 s16, s8, 6
	s_lshl_b32 s17, s8, 1
	s_mov_b32 s8, 0
	s_branch .LBB46_26
.LBB46_24:                              ;   in Loop: Header=BB46_26 Depth=1
	v_mul_lo_u32 v52, v52, s13
	s_delay_alu instid0(VALU_DEP_1) | instskip(NEXT) | instid1(VALU_DEP_1)
	v_add3_u32 v52, v52, s16, v49
	v_ashrrev_i32_e32 v53, 31, v52
	s_delay_alu instid0(VALU_DEP_1) | instskip(NEXT) | instid1(VALU_DEP_1)
	v_lshlrev_b64_e32 v[52:53], 2, v[52:53]
	v_add_co_u32 v52, vcc_lo, s18, v52
	s_wait_alu 0xfffd
	s_delay_alu instid0(VALU_DEP_2)
	v_add_co_ci_u32_e64 v53, null, s19, v53, vcc_lo
	global_load_b64 v[52:53], v[52:53], off
.LBB46_25:                              ;   in Loop: Header=BB46_26 Depth=1
	s_wait_loadcnt 0x0
	s_delay_alu instid0(VALU_DEP_1) | instskip(NEXT) | instid1(VALU_DEP_2)
	v_cvt_f16_f32_e32 v52, v52
	v_cvt_f16_f32_e32 v53, v53
	v_add_nc_u32_e32 v54, 0x400, v60
	v_add_nc_u32_e32 v64, 0x600, v60
	ds_store_2addr_b32 v60, v62, v62 offset0:196 offset1:232
	v_add_nc_u32_e32 v59, 0xe0, v59
	v_pack_b32_f16 v52, v52, v53
	ds_store_2addr_b32 v54, v62, v62 offset0:12 offset1:48
	ds_store_2addr_b32 v54, v62, v62 offset0:84 offset1:120
	;; [unrolled: 1-line block ×5, first 2 shown]
	ds_store_b32 v60, v62 offset:2224
	ds_load_b128 v[64:67], v61 offset:64
	ds_load_b128 v[68:71], v61 offset:96
	;; [unrolled: 1-line block ×4, first 2 shown]
	v_add_co_u32 v50, s0, 0x380, v50
	v_cmp_le_i32_e32 vcc_lo, s4, v59
	v_add_nc_u32_e32 v49, 0x1c0, v49
	s_wait_alu 0xf1ff
	v_add_co_ci_u32_e64 v51, null, 0, v51, s0
	s_or_b32 s8, vcc_lo, s8
	s_wait_dscnt 0x3
	v_wmma_f32_16x16x16_f16 v[8:15], v[32:35], v[64:67], v[8:15]
	v_wmma_f32_16x16x16_f16 v[0:7], v[44:47], v[64:67], v[0:7]
	s_wait_dscnt 0x2
	s_delay_alu instid0(VALU_DEP_2) | instskip(NEXT) | instid1(VALU_DEP_2)
	v_wmma_f32_16x16x16_f16 v[8:15], v[28:31], v[68:71], v[8:15]
	v_wmma_f32_16x16x16_f16 v[0:7], v[40:43], v[68:71], v[0:7]
	s_wait_dscnt 0x1
	s_delay_alu instid0(VALU_DEP_2) | instskip(NEXT) | instid1(VALU_DEP_2)
	;; [unrolled: 4-line block ×3, first 2 shown]
	v_wmma_f32_16x16x16_f16 v[8:15], v[16:19], v[76:79], v[8:15]
	v_wmma_f32_16x16x16_f16 v[0:7], v[20:23], v[76:79], v[0:7]
	s_and_not1_b32 exec_lo, exec_lo, s8
	s_cbranch_execz .LBB46_41
.LBB46_26:                              ; =>This Inner Loop Header: Depth=1
	v_add_nc_u32_e32 v22, s31, v59
	v_add_nc_u32_e32 v16, s29, v59
	s_wait_alu 0xfffe
	v_add_co_u32 v20, vcc_lo, v50, s6
	v_add_nc_u32_e32 v18, s30, v59
	s_wait_alu 0xfffd
	v_add_co_ci_u32_e64 v21, null, s7, v51, vcc_lo
	v_ashrrev_i32_e32 v23, 31, v22
	v_ashrrev_i32_e32 v17, 31, v16
	v_add_nc_u32_e32 v24, s33, v59
	v_ashrrev_i32_e32 v19, 31, v18
	s_clause 0x1
	global_load_b32 v38, v[50:51], off
	global_load_b32 v39, v[20:21], off
	v_lshlrev_b64_e32 v[20:21], 2, v[22:23]
	v_add_nc_u32_e32 v22, s34, v59
	v_lshlrev_b64_e32 v[16:17], 2, v[16:17]
	v_add_nc_u32_e32 v26, s35, v59
	v_ashrrev_i32_e32 v25, 31, v24
	v_lshlrev_b64_e32 v[18:19], 2, v[18:19]
	v_add_nc_u32_e32 v28, s36, v59
	v_ashrrev_i32_e32 v23, 31, v22
	v_add_nc_u32_e32 v30, s37, v59
	v_ashrrev_i32_e32 v27, 31, v26
	v_add_co_u32 v16, vcc_lo, s10, v16
	v_lshlrev_b64_e32 v[24:25], 2, v[24:25]
	v_ashrrev_i32_e32 v29, 31, v28
	s_wait_alu 0xfffd
	v_add_co_ci_u32_e64 v17, null, s11, v17, vcc_lo
	v_add_co_u32 v18, vcc_lo, s10, v18
	v_lshlrev_b64_e32 v[22:23], 2, v[22:23]
	v_ashrrev_i32_e32 v31, 31, v30
	s_wait_alu 0xfffd
	v_add_co_ci_u32_e64 v19, null, s11, v19, vcc_lo
	v_add_co_u32 v20, vcc_lo, s10, v20
	v_lshlrev_b64_e32 v[26:27], 2, v[26:27]
	s_wait_alu 0xfffd
	v_add_co_ci_u32_e64 v21, null, s11, v21, vcc_lo
	v_add_co_u32 v24, vcc_lo, s10, v24
	v_lshlrev_b64_e32 v[28:29], 2, v[28:29]
	;; [unrolled: 4-line block ×3, first 2 shown]
	s_wait_alu 0xfffd
	v_add_co_ci_u32_e64 v23, null, s11, v23, vcc_lo
	v_add_co_u32 v26, vcc_lo, s10, v26
	v_add_nc_u32_e32 v32, s38, v59
	s_wait_alu 0xfffd
	v_add_co_ci_u32_e64 v27, null, s11, v27, vcc_lo
	v_add_co_u32 v28, vcc_lo, s10, v28
	v_add_nc_u32_e32 v34, s39, v59
	;; [unrolled: 4-line block ×3, first 2 shown]
	v_ashrrev_i32_e32 v33, 31, v32
	s_wait_alu 0xfffd
	v_add_co_ci_u32_e64 v31, null, s11, v31, vcc_lo
	s_clause 0x7
	global_load_b32 v40, v[16:17], off
	global_load_b32 v41, v[18:19], off
	;; [unrolled: 1-line block ×8, first 2 shown]
	v_add_nc_u32_e32 v18, s41, v59
	v_ashrrev_i32_e32 v35, 31, v34
	v_add_nc_u32_e32 v24, s42, v59
	v_ashrrev_i32_e32 v37, 31, v36
	v_lshlrev_b64_e32 v[32:33], 2, v[32:33]
	v_add_nc_u32_e32 v26, s43, v59
	v_ashrrev_i32_e32 v19, 31, v18
	v_lshlrev_b64_e32 v[16:17], 2, v[34:35]
	v_add_nc_u32_e32 v28, s44, v59
	v_ashrrev_i32_e32 v25, 31, v24
	v_lshlrev_b64_e32 v[22:23], 2, v[36:37]
	v_add_nc_u32_e32 v30, s45, v59
	v_ashrrev_i32_e32 v27, 31, v26
	v_add_co_u32 v20, vcc_lo, s10, v32
	v_lshlrev_b64_e32 v[18:19], 2, v[18:19]
	v_ashrrev_i32_e32 v29, 31, v28
	s_wait_alu 0xfffd
	v_add_co_ci_u32_e64 v21, null, s11, v33, vcc_lo
	v_add_co_u32 v16, vcc_lo, s10, v16
	v_lshlrev_b64_e32 v[24:25], 2, v[24:25]
	v_ashrrev_i32_e32 v31, 31, v30
	s_wait_alu 0xfffd
	v_add_co_ci_u32_e64 v17, null, s11, v17, vcc_lo
	v_add_co_u32 v22, vcc_lo, s10, v22
	v_lshlrev_b64_e32 v[26:27], 2, v[26:27]
	s_wait_alu 0xfffd
	v_add_co_ci_u32_e64 v23, null, s11, v23, vcc_lo
	v_add_co_u32 v18, vcc_lo, s10, v18
	v_lshlrev_b64_e32 v[28:29], 2, v[28:29]
	;; [unrolled: 4-line block ×3, first 2 shown]
	s_wait_alu 0xfffd
	v_add_co_ci_u32_e64 v25, null, s11, v25, vcc_lo
	v_add_co_u32 v26, vcc_lo, s10, v26
	v_add_nc_u32_e32 v32, s46, v59
	s_wait_alu 0xfffd
	v_add_co_ci_u32_e64 v27, null, s11, v27, vcc_lo
	v_add_co_u32 v28, vcc_lo, s10, v28
	v_add_nc_u32_e32 v34, s47, v59
	;; [unrolled: 4-line block ×3, first 2 shown]
	v_ashrrev_i32_e32 v33, 31, v32
	s_wait_alu 0xfffd
	v_add_co_ci_u32_e64 v31, null, s11, v31, vcc_lo
	s_clause 0x7
	global_load_b32 v52, v[20:21], off
	global_load_b32 v53, v[16:17], off
	;; [unrolled: 1-line block ×8, first 2 shown]
	v_add_nc_u32_e32 v18, s49, v59
	v_ashrrev_i32_e32 v35, 31, v34
	v_add_nc_u32_e32 v24, s50, v59
	v_ashrrev_i32_e32 v37, 31, v36
	v_lshlrev_b64_e32 v[32:33], 2, v[32:33]
	v_add_nc_u32_e32 v26, s51, v59
	v_ashrrev_i32_e32 v19, 31, v18
	v_lshlrev_b64_e32 v[16:17], 2, v[34:35]
	;; [unrolled: 3-line block ×3, first 2 shown]
	v_add_nc_u32_e32 v30, s53, v59
	v_ashrrev_i32_e32 v27, 31, v26
	v_add_co_u32 v20, vcc_lo, s10, v32
	v_lshlrev_b64_e32 v[18:19], 2, v[18:19]
	v_ashrrev_i32_e32 v29, 31, v28
	s_wait_alu 0xfffd
	v_add_co_ci_u32_e64 v21, null, s11, v33, vcc_lo
	v_add_co_u32 v16, vcc_lo, s10, v16
	v_lshlrev_b64_e32 v[24:25], 2, v[24:25]
	v_ashrrev_i32_e32 v31, 31, v30
	s_wait_alu 0xfffd
	v_add_co_ci_u32_e64 v17, null, s11, v17, vcc_lo
	v_add_co_u32 v22, vcc_lo, s10, v22
	v_lshlrev_b64_e32 v[26:27], 2, v[26:27]
	s_wait_alu 0xfffd
	v_add_co_ci_u32_e64 v23, null, s11, v23, vcc_lo
	v_add_co_u32 v18, vcc_lo, s10, v18
	v_lshlrev_b64_e32 v[28:29], 2, v[28:29]
	;; [unrolled: 4-line block ×3, first 2 shown]
	s_wait_alu 0xfffd
	v_add_co_ci_u32_e64 v25, null, s11, v25, vcc_lo
	v_add_co_u32 v26, vcc_lo, s10, v26
	v_add_nc_u32_e32 v32, s54, v59
	s_wait_alu 0xfffd
	v_add_co_ci_u32_e64 v27, null, s11, v27, vcc_lo
	v_add_co_u32 v28, vcc_lo, s10, v28
	v_add_nc_u32_e32 v34, s55, v59
	;; [unrolled: 4-line block ×3, first 2 shown]
	v_ashrrev_i32_e32 v33, 31, v32
	s_wait_alu 0xfffd
	v_add_co_ci_u32_e64 v31, null, s11, v31, vcc_lo
	s_clause 0x7
	global_load_b32 v69, v[20:21], off
	global_load_b32 v70, v[16:17], off
	global_load_b32 v71, v[22:23], off
	global_load_b32 v72, v[18:19], off
	global_load_b32 v73, v[24:25], off
	global_load_b32 v74, v[26:27], off
	global_load_b32 v75, v[28:29], off
	global_load_b32 v76, v[30:31], off
	v_add_nc_u32_e32 v18, s57, v59
	v_ashrrev_i32_e32 v35, 31, v34
	v_add_nc_u32_e32 v24, s58, v59
	v_ashrrev_i32_e32 v37, 31, v36
	v_lshlrev_b64_e32 v[32:33], 2, v[32:33]
	v_add_nc_u32_e32 v26, s59, v59
	v_ashrrev_i32_e32 v19, 31, v18
	v_lshlrev_b64_e32 v[16:17], 2, v[34:35]
	v_ashrrev_i32_e32 v25, 31, v24
	v_lshlrev_b64_e32 v[22:23], 2, v[36:37]
	v_ashrrev_i32_e32 v27, 31, v26
	v_add_co_u32 v20, vcc_lo, s10, v32
	v_lshlrev_b64_e32 v[18:19], 2, v[18:19]
	s_wait_alu 0xfffd
	v_add_co_ci_u32_e64 v21, null, s11, v33, vcc_lo
	v_add_co_u32 v16, vcc_lo, s10, v16
	v_lshlrev_b64_e32 v[24:25], 2, v[24:25]
	s_wait_alu 0xfffd
	v_add_co_ci_u32_e64 v17, null, s11, v17, vcc_lo
	;; [unrolled: 4-line block ×3, first 2 shown]
	v_add_co_u32 v18, vcc_lo, s10, v18
	s_wait_alu 0xfffd
	v_add_co_ci_u32_e64 v19, null, s11, v19, vcc_lo
	v_add_co_u32 v24, vcc_lo, s10, v24
	s_wait_alu 0xfffd
	v_add_co_ci_u32_e64 v25, null, s11, v25, vcc_lo
	;; [unrolled: 3-line block ×3, first 2 shown]
	s_clause 0x5
	global_load_b32 v20, v[20:21], off
	global_load_b32 v21, v[16:17], off
	;; [unrolled: 1-line block ×6, first 2 shown]
	s_and_not1_b32 vcc_lo, exec_lo, s1
	s_wait_loadcnt 0x1f
	ds_store_b32 v60, v38 offset:64
	s_wait_loadcnt 0x1e
	ds_store_b32 v60, v39 offset:208
	;; [unrolled: 2-line block ×16, first 2 shown]
	ds_load_b128 v[32:35], v61 offset:64
	ds_load_b128 v[28:31], v61 offset:96
	;; [unrolled: 1-line block ×4, first 2 shown]
	s_wait_loadcnt 0xf
	ds_store_b32 v60, v67 offset:64
	s_wait_loadcnt 0xe
	ds_store_b32 v60, v68 offset:208
	;; [unrolled: 2-line block ×16, first 2 shown]
	ds_load_b128 v[44:47], v61 offset:64
	ds_load_b128 v[40:43], v61 offset:96
	;; [unrolled: 1-line block ×4, first 2 shown]
	v_dual_mov_b32 v52, 0 :: v_dual_mov_b32 v53, 0
	s_wait_alu 0xfffe
	s_cbranch_vccnz .LBB46_30
; %bb.27:                               ;   in Loop: Header=BB46_26 Depth=1
	ds_load_b32 v52, v63
	s_wait_dscnt 0x0
	v_cmp_gt_i32_e32 vcc_lo, 0, v52
	s_cbranch_vccnz .LBB46_29
; %bb.28:                               ;   in Loop: Header=BB46_26 Depth=1
	v_mad_co_u64_u32 v[52:53], null, v52, s13, v[49:50]
	s_delay_alu instid0(VALU_DEP_1) | instskip(NEXT) | instid1(VALU_DEP_1)
	v_ashrrev_i32_e32 v53, 31, v52
	v_lshlrev_b64_e32 v[52:53], 2, v[52:53]
	s_delay_alu instid0(VALU_DEP_1) | instskip(SKIP_1) | instid1(VALU_DEP_2)
	v_add_co_u32 v52, vcc_lo, s18, v52
	s_wait_alu 0xfffd
	v_add_co_ci_u32_e64 v53, null, s19, v53, vcc_lo
	global_load_b64 v[52:53], v[52:53], off
	s_branch .LBB46_30
.LBB46_29:                              ;   in Loop: Header=BB46_26 Depth=1
	v_dual_mov_b32 v52, 0 :: v_dual_mov_b32 v53, 0
.LBB46_30:                              ;   in Loop: Header=BB46_26 Depth=1
	s_wait_loadcnt 0x0
	s_delay_alu instid0(VALU_DEP_1) | instskip(NEXT) | instid1(VALU_DEP_2)
	v_cvt_f16_f32_e32 v52, v52
	v_cvt_f16_f32_e32 v53, v53
	v_mov_b32_e32 v54, 0
	s_and_not1_b32 vcc_lo, exec_lo, s12
	s_delay_alu instid0(VALU_DEP_2)
	v_pack_b32_f16 v64, v52, v53
	v_dual_mov_b32 v52, 0 :: v_dual_mov_b32 v53, 0
	ds_store_b32 v60, v64 offset:64
	s_wait_alu 0xfffe
	s_cbranch_vccnz .LBB46_34
; %bb.31:                               ;   in Loop: Header=BB46_26 Depth=1
	ds_load_b32 v53, v63 offset:4
	s_wait_dscnt 0x0
	v_cmp_gt_i32_e32 vcc_lo, 0, v53
	s_cbranch_vccnz .LBB46_33
; %bb.32:                               ;   in Loop: Header=BB46_26 Depth=1
	v_mul_lo_u32 v53, v53, s13
	s_delay_alu instid0(VALU_DEP_1) | instskip(NEXT) | instid1(VALU_DEP_1)
	v_add3_u32 v53, v53, s17, v49
	v_ashrrev_i32_e32 v54, 31, v53
	s_delay_alu instid0(VALU_DEP_1) | instskip(NEXT) | instid1(VALU_DEP_1)
	v_lshlrev_b64_e32 v[53:54], 2, v[53:54]
	v_add_co_u32 v53, vcc_lo, s18, v53
	s_wait_alu 0xfffd
	s_delay_alu instid0(VALU_DEP_2)
	v_add_co_ci_u32_e64 v54, null, s19, v54, vcc_lo
	global_load_b64 v[53:54], v[53:54], off
	s_branch .LBB46_34
.LBB46_33:                              ;   in Loop: Header=BB46_26 Depth=1
	v_dual_mov_b32 v53, 0 :: v_dual_mov_b32 v54, 0
.LBB46_34:                              ;   in Loop: Header=BB46_26 Depth=1
	s_wait_loadcnt 0x0
	s_delay_alu instid0(VALU_DEP_1) | instskip(NEXT) | instid1(VALU_DEP_2)
	v_cvt_f16_f32_e32 v53, v53
	v_cvt_f16_f32_e32 v54, v54
	s_and_not1_b32 vcc_lo, exec_lo, s20
	s_delay_alu instid0(VALU_DEP_1)
	v_pack_b32_f16 v54, v53, v54
	v_mov_b32_e32 v53, 0
	ds_store_b32 v60, v54 offset:208
	s_wait_alu 0xfffe
	s_cbranch_vccnz .LBB46_38
; %bb.35:                               ;   in Loop: Header=BB46_26 Depth=1
	ds_load_b32 v52, v63 offset:8
	s_wait_dscnt 0x0
	v_cmp_gt_i32_e32 vcc_lo, 0, v52
	s_cbranch_vccnz .LBB46_37
; %bb.36:                               ;   in Loop: Header=BB46_26 Depth=1
	v_mul_lo_u32 v52, v52, s13
	s_delay_alu instid0(VALU_DEP_1) | instskip(NEXT) | instid1(VALU_DEP_1)
	v_add3_u32 v52, v52, s21, v49
	v_ashrrev_i32_e32 v53, 31, v52
	s_delay_alu instid0(VALU_DEP_1) | instskip(NEXT) | instid1(VALU_DEP_1)
	v_lshlrev_b64_e32 v[52:53], 2, v[52:53]
	v_add_co_u32 v52, vcc_lo, s18, v52
	s_wait_alu 0xfffd
	s_delay_alu instid0(VALU_DEP_2)
	v_add_co_ci_u32_e64 v53, null, s19, v53, vcc_lo
	global_load_b64 v[52:53], v[52:53], off
	s_branch .LBB46_38
.LBB46_37:                              ;   in Loop: Header=BB46_26 Depth=1
	v_dual_mov_b32 v52, 0 :: v_dual_mov_b32 v53, 0
.LBB46_38:                              ;   in Loop: Header=BB46_26 Depth=1
	s_wait_loadcnt 0x0
	s_delay_alu instid0(VALU_DEP_1) | instskip(NEXT) | instid1(VALU_DEP_2)
	v_cvt_f16_f32_e32 v52, v52
	v_cvt_f16_f32_e32 v53, v53
	s_and_not1_b32 vcc_lo, exec_lo, s28
	s_delay_alu instid0(VALU_DEP_1)
	v_pack_b32_f16 v54, v52, v53
	v_dual_mov_b32 v52, 0 :: v_dual_mov_b32 v53, 0
	ds_store_b32 v60, v54 offset:352
	s_wait_alu 0xfffe
	s_cbranch_vccnz .LBB46_25
; %bb.39:                               ;   in Loop: Header=BB46_26 Depth=1
	ds_load_b32 v52, v63 offset:12
	s_wait_dscnt 0x0
	v_cmp_gt_i32_e32 vcc_lo, 0, v52
	s_cbranch_vccz .LBB46_24
; %bb.40:                               ;   in Loop: Header=BB46_26 Depth=1
	v_dual_mov_b32 v52, 0 :: v_dual_mov_b32 v53, 0
	s_branch .LBB46_25
.LBB46_41:
	s_or_b32 exec_lo, exec_lo, s8
.LBB46_42:
	s_delay_alu instid0(SALU_CYCLE_1)
	s_or_b32 exec_lo, exec_lo, s23
	v_lshl_add_u32 v16, v56, 2, 0x100
	v_mul_u32_u24_e32 v17, 0x390, v57
	v_and_b32_e32 v18, 0x7e0, v58
	v_cmp_gt_u32_e32 vcc_lo, 4, v55
	s_wait_loadcnt_dscnt 0x0
	s_barrier_signal -1
	s_barrier_wait -1
	v_add3_u32 v17, v16, v17, v18
	global_inv scope:SCOPE_SE
	ds_store_2addr_b32 v17, v8, v9 offset0:16 offset1:17
	ds_store_2addr_b32 v17, v10, v11 offset0:18 offset1:19
	;; [unrolled: 1-line block ×8, first 2 shown]
	s_wait_loadcnt_dscnt 0x0
	s_barrier_signal -1
	s_barrier_wait -1
	global_inv scope:SCOPE_SE
	s_and_b32 exec_lo, exec_lo, vcc_lo
	s_cbranch_execz .LBB46_45
; %bb.43:
	v_mad_i32_i24 v0, 0xffffff84, v55, v16
	v_or_b32_e32 v1, s26, v55
	ds_load_b32 v0, v0
	v_cmp_gt_i32_e64 s0, s5, v1
	s_wait_dscnt 0x0
	v_cmp_lt_i32_e32 vcc_lo, -1, v0
	s_and_b32 s0, vcc_lo, s0
	s_wait_alu 0xfffe
	s_and_b32 exec_lo, exec_lo, s0
	s_cbranch_execz .LBB46_45
; %bb.44:
	v_lshlrev_b32_e32 v1, 2, v48
	v_mul_u32_u24_e32 v2, 0x390, v55
	v_mul_lo_u32 v0, v0, s14
	s_ashr_i32 s1, s22, 31
	s_mov_b32 s0, s22
	s_ashr_i32 s5, s9, 31
	v_add3_u32 v7, 0x100, v1, v2
	s_mov_b32 s4, s9
	s_wait_alu 0xfffe
	s_mul_u64 s[0:1], s[0:1], s[24:25]
	s_mul_u64 s[4:5], s[26:27], s[4:5]
	ds_load_2addr_b32 v[1:2], v7 offset0:16 offset1:48
	ds_load_2addr_b32 v[3:4], v7 offset0:80 offset1:112
	;; [unrolled: 1-line block ×3, first 2 shown]
	ds_load_b32 v7, v7 offset:832
	s_wait_alu 0xfffe
	s_lshl_b64 s[0:1], s[0:1], 2
	s_lshl_b64 s[4:5], s[4:5], 2
	s_wait_kmcnt 0x0
	s_wait_alu 0xfffe
	s_add_nc_u64 s[0:1], s[2:3], s[0:1]
	s_wait_alu 0xfffe
	s_add_nc_u64 s[0:1], s[0:1], s[4:5]
	s_wait_dscnt 0x3
	v_add_f32_e32 v1, 0, v1
	s_delay_alu instid0(VALU_DEP_1) | instskip(SKIP_1) | instid1(VALU_DEP_1)
	v_dual_add_f32 v1, v1, v2 :: v_dual_add_nc_u32 v2, s15, v48
	s_wait_dscnt 0x2
	v_add_f32_e32 v1, v1, v3
	v_mul_lo_u32 v3, v55, s9
	s_delay_alu instid0(VALU_DEP_2) | instskip(NEXT) | instid1(VALU_DEP_2)
	v_dual_add_f32 v4, v1, v4 :: v_dual_mov_b32 v1, 0
	v_add3_u32 v0, v2, v3, v0
	s_wait_dscnt 0x1
	s_delay_alu instid0(VALU_DEP_2) | instskip(NEXT) | instid1(VALU_DEP_2)
	v_add_f32_e32 v4, v4, v5
	v_lshlrev_b64_e32 v[0:1], 2, v[0:1]
	s_delay_alu instid0(VALU_DEP_2) | instskip(SKIP_1) | instid1(VALU_DEP_2)
	v_add_f32_e32 v2, v4, v6
	s_wait_alu 0xfffe
	v_add_co_u32 v0, vcc_lo, s0, v0
	s_wait_dscnt 0x0
	s_delay_alu instid0(VALU_DEP_2)
	v_add_f32_e32 v2, v2, v7
	s_wait_alu 0xfffd
	v_add_co_ci_u32_e64 v1, null, s1, v1, vcc_lo
	global_store_b32 v[0:1], v2, off
.LBB46_45:
	s_endpgm
	.section	.rodata,"a",@progbits
	.p2align	6, 0x0
	.amdhsa_kernel _ZL9mul_mat_fI7__half2Li32ELi4ELi7ELb1EEvPKT_PKfPKiPfiiiiiiiiiiiiiiii
		.amdhsa_group_segment_fixed_size 256
		.amdhsa_private_segment_fixed_size 0
		.amdhsa_kernarg_size 352
		.amdhsa_user_sgpr_count 2
		.amdhsa_user_sgpr_dispatch_ptr 0
		.amdhsa_user_sgpr_queue_ptr 0
		.amdhsa_user_sgpr_kernarg_segment_ptr 1
		.amdhsa_user_sgpr_dispatch_id 0
		.amdhsa_user_sgpr_private_segment_size 0
		.amdhsa_wavefront_size32 1
		.amdhsa_uses_dynamic_stack 0
		.amdhsa_enable_private_segment 0
		.amdhsa_system_sgpr_workgroup_id_x 1
		.amdhsa_system_sgpr_workgroup_id_y 1
		.amdhsa_system_sgpr_workgroup_id_z 1
		.amdhsa_system_sgpr_workgroup_info 0
		.amdhsa_system_vgpr_workitem_id 2
		.amdhsa_next_free_vgpr 80
		.amdhsa_next_free_sgpr 68
		.amdhsa_reserve_vcc 1
		.amdhsa_float_round_mode_32 0
		.amdhsa_float_round_mode_16_64 0
		.amdhsa_float_denorm_mode_32 3
		.amdhsa_float_denorm_mode_16_64 3
		.amdhsa_fp16_overflow 0
		.amdhsa_workgroup_processor_mode 1
		.amdhsa_memory_ordered 1
		.amdhsa_forward_progress 1
		.amdhsa_inst_pref_size 40
		.amdhsa_round_robin_scheduling 0
		.amdhsa_exception_fp_ieee_invalid_op 0
		.amdhsa_exception_fp_denorm_src 0
		.amdhsa_exception_fp_ieee_div_zero 0
		.amdhsa_exception_fp_ieee_overflow 0
		.amdhsa_exception_fp_ieee_underflow 0
		.amdhsa_exception_fp_ieee_inexact 0
		.amdhsa_exception_int_div_zero 0
	.end_amdhsa_kernel
	.section	.text._ZL9mul_mat_fI7__half2Li32ELi4ELi7ELb1EEvPKT_PKfPKiPfiiiiiiiiiiiiiiii,"axG",@progbits,_ZL9mul_mat_fI7__half2Li32ELi4ELi7ELb1EEvPKT_PKfPKiPfiiiiiiiiiiiiiiii,comdat
.Lfunc_end46:
	.size	_ZL9mul_mat_fI7__half2Li32ELi4ELi7ELb1EEvPKT_PKfPKiPfiiiiiiiiiiiiiiii, .Lfunc_end46-_ZL9mul_mat_fI7__half2Li32ELi4ELi7ELb1EEvPKT_PKfPKiPfiiiiiiiiiiiiiiii
                                        ; -- End function
	.set _ZL9mul_mat_fI7__half2Li32ELi4ELi7ELb1EEvPKT_PKfPKiPfiiiiiiiiiiiiiiii.num_vgpr, 80
	.set _ZL9mul_mat_fI7__half2Li32ELi4ELi7ELb1EEvPKT_PKfPKiPfiiiiiiiiiiiiiiii.num_agpr, 0
	.set _ZL9mul_mat_fI7__half2Li32ELi4ELi7ELb1EEvPKT_PKfPKiPfiiiiiiiiiiiiiiii.numbered_sgpr, 68
	.set _ZL9mul_mat_fI7__half2Li32ELi4ELi7ELb1EEvPKT_PKfPKiPfiiiiiiiiiiiiiiii.num_named_barrier, 0
	.set _ZL9mul_mat_fI7__half2Li32ELi4ELi7ELb1EEvPKT_PKfPKiPfiiiiiiiiiiiiiiii.private_seg_size, 0
	.set _ZL9mul_mat_fI7__half2Li32ELi4ELi7ELb1EEvPKT_PKfPKiPfiiiiiiiiiiiiiiii.uses_vcc, 1
	.set _ZL9mul_mat_fI7__half2Li32ELi4ELi7ELb1EEvPKT_PKfPKiPfiiiiiiiiiiiiiiii.uses_flat_scratch, 0
	.set _ZL9mul_mat_fI7__half2Li32ELi4ELi7ELb1EEvPKT_PKfPKiPfiiiiiiiiiiiiiiii.has_dyn_sized_stack, 0
	.set _ZL9mul_mat_fI7__half2Li32ELi4ELi7ELb1EEvPKT_PKfPKiPfiiiiiiiiiiiiiiii.has_recursion, 0
	.set _ZL9mul_mat_fI7__half2Li32ELi4ELi7ELb1EEvPKT_PKfPKiPfiiiiiiiiiiiiiiii.has_indirect_call, 0
	.section	.AMDGPU.csdata,"",@progbits
; Kernel info:
; codeLenInByte = 5120
; TotalNumSgprs: 70
; NumVgprs: 80
; ScratchSize: 0
; MemoryBound: 0
; FloatMode: 240
; IeeeMode: 1
; LDSByteSize: 256 bytes/workgroup (compile time only)
; SGPRBlocks: 0
; VGPRBlocks: 9
; NumSGPRsForWavesPerEU: 70
; NumVGPRsForWavesPerEU: 80
; Occupancy: 16
; WaveLimiterHint : 0
; COMPUTE_PGM_RSRC2:SCRATCH_EN: 0
; COMPUTE_PGM_RSRC2:USER_SGPR: 2
; COMPUTE_PGM_RSRC2:TRAP_HANDLER: 0
; COMPUTE_PGM_RSRC2:TGID_X_EN: 1
; COMPUTE_PGM_RSRC2:TGID_Y_EN: 1
; COMPUTE_PGM_RSRC2:TGID_Z_EN: 1
; COMPUTE_PGM_RSRC2:TIDIG_COMP_CNT: 2
	.section	.text._ZL9mul_mat_fI7__half2Li32ELi4ELi7ELb0EEvPKT_PKfPKiPfiiiiiiiiiiiiiiii,"axG",@progbits,_ZL9mul_mat_fI7__half2Li32ELi4ELi7ELb0EEvPKT_PKfPKiPfiiiiiiiiiiiiiiii,comdat
	.globl	_ZL9mul_mat_fI7__half2Li32ELi4ELi7ELb0EEvPKT_PKfPKiPfiiiiiiiiiiiiiiii ; -- Begin function _ZL9mul_mat_fI7__half2Li32ELi4ELi7ELb0EEvPKT_PKfPKiPfiiiiiiiiiiiiiiii
	.p2align	8
	.type	_ZL9mul_mat_fI7__half2Li32ELi4ELi7ELb0EEvPKT_PKfPKiPfiiiiiiiiiiiiiiii,@function
_ZL9mul_mat_fI7__half2Li32ELi4ELi7ELb0EEvPKT_PKfPKiPfiiiiiiiiiiiiiiii: ; @_ZL9mul_mat_fI7__half2Li32ELi4ELi7ELb0EEvPKT_PKfPKiPfiiiiiiiiiiiiiiii
; %bb.0:
	s_clause 0x1
	s_load_b256 s[4:11], s[0:1], 0x40
	s_load_b32 s21, s[0:1], 0x20
	v_bfe_u32 v37, v0, 10, 10
	v_and_b32_e32 v36, 0x3ff, v0
	s_mov_b32 s15, exec_lo
	s_delay_alu instid0(VALU_DEP_2) | instskip(NEXT) | instid1(VALU_DEP_2)
	v_lshlrev_b32_e32 v39, 5, v37
	v_and_b32_e32 v40, 15, v36
	s_delay_alu instid0(VALU_DEP_2)
	v_add_nc_u32_e32 v41, v39, v36
	s_wait_kmcnt 0x0
	s_abs_i32 s12, s4
	s_abs_i32 s23, s8
	s_cvt_f32_u32 s2, s12
	s_cvt_f32_u32 s3, s23
	s_delay_alu instid0(SALU_CYCLE_2) | instskip(NEXT) | instid1(SALU_CYCLE_2)
	v_rcp_iflag_f32_e32 v0, s2
	v_rcp_iflag_f32_e32 v1, s3
	s_mov_b32 s3, 0
	s_lshr_b32 s2, ttmp7, 16
	s_delay_alu instid0(TRANS32_DEP_2) | instskip(NEXT) | instid1(TRANS32_DEP_1)
	v_readfirstlane_b32 s13, v0
	v_readfirstlane_b32 s14, v1
	v_cmpx_le_i32_e64 s21, v41
	s_xor_b32 s15, exec_lo, s15
; %bb.1:
	v_and_b32_e32 v40, 15, v36
                                        ; implicit-def: $vgpr41
; %bb.2:
	s_or_saveexec_b32 s22, s15
	s_load_b96 s[16:18], s[0:1], 0x2c
	v_dual_mov_b32 v15, 0 :: v_dual_lshlrev_b32 v38, 2, v36
	s_and_b32 s19, ttmp7, 0xffff
	s_lshl_b32 s20, ttmp9, 5
	s_delay_alu instid0(VALU_DEP_1)
	v_dual_mov_b32 v14, v15 :: v_dual_mov_b32 v13, v15
	v_dual_mov_b32 v12, v15 :: v_dual_mov_b32 v11, v15
	;; [unrolled: 1-line block ×7, first 2 shown]
	v_mov_b32_e32 v0, v15
	s_xor_b32 exec_lo, exec_lo, s22
	s_cbranch_execz .LBB47_6
; %bb.3:
	s_mul_f32 s13, s13, 0x4f7ffffe
	s_mul_f32 s14, s14, 0x4f7ffffe
	s_sub_co_i32 s24, 0, s12
	s_sub_co_i32 s25, 0, s23
	s_cvt_u32_f32 s13, s13
	s_cvt_u32_f32 s27, s14
	s_abs_i32 s14, s19
	s_mov_b32 s15, s3
	s_mul_i32 s24, s24, s13
	s_mul_i32 s25, s25, s27
	s_mul_hi_u32 s24, s13, s24
	s_mul_hi_u32 s28, s27, s25
	s_add_co_i32 s24, s13, s24
	s_mov_b32 s25, s3
	s_abs_i32 s26, s2
	s_mul_u64 s[24:25], s[14:15], s[24:25]
	s_ashr_i32 s24, s8, 31
	s_mul_i32 s13, s25, s12
	s_add_co_i32 s28, s27, s28
	s_sub_co_i32 s8, s14, s13
	s_ashr_i32 s4, s4, 31
	s_add_co_i32 s13, s25, 1
	s_sub_co_i32 s14, s8, s12
	s_cmp_ge_u32 s8, s12
	s_mov_b32 s27, s3
	s_cselect_b32 s13, s13, s25
	s_mov_b32 s29, s3
	s_cselect_b32 s8, s14, s8
	s_add_co_i32 s14, s13, 1
	s_mul_u64 s[28:29], s[26:27], s[28:29]
	s_cmp_ge_u32 s8, s12
	s_mul_i32 s12, s29, s23
	s_cselect_b32 s8, s14, s13
	s_sub_co_i32 s25, s26, s12
	s_xor_b32 s8, s8, s4
	s_load_b128 s[12:15], s[0:1], 0x0
	s_sub_co_i32 s26, s8, s4
	s_add_co_i32 s4, s29, 1
	s_sub_co_i32 s8, s25, s23
	s_cmp_ge_u32 s25, s23
	v_mad_u32_u24 v0, 0x900, v37, 0
	s_cselect_b32 s4, s4, s29
	s_cselect_b32 s8, s8, s25
	s_add_co_i32 s25, s4, 1
	s_cmp_ge_u32 s8, s23
	s_mov_b32 s8, s9
	s_cselect_b32 s4, s25, s4
	s_ashr_i32 s9, s9, 31
	s_xor_b32 s4, s4, s24
	v_mul_u32_u24_e32 v1, 0x90, v40
	s_sub_co_i32 s24, s4, s24
	v_and_b32_e32 v2, 0x3f0, v36
	s_ashr_i32 s25, s24, 31
	v_add_nc_u32_e32 v42, v0, v38
	s_mul_u64 s[8:9], s[24:25], s[8:9]
	s_mul_i32 s24, s26, s5
	s_lshl_b64 s[54:55], s[8:9], 2
	s_ashr_i32 s25, s24, 31
	s_wait_kmcnt 0x0
	s_add_nc_u64 s[8:9], s[12:13], s[54:55]
	s_lshl_b64 s[56:57], s[24:25], 2
	s_mul_i32 s24, s16, s20
	v_add3_u32 v43, v0, v1, v2
	s_ashr_i32 s25, s24, 31
	v_dual_mov_b32 v0, 0 :: v_dual_lshlrev_b32 v1, 7, v37
	s_lshl_b64 s[60:61], s[24:25], 2
	s_add_nc_u64 s[8:9], s[8:9], s[56:57]
	s_add_nc_u64 s[56:57], s[56:57], s[60:61]
	s_mov_b32 s4, s10
	s_add_nc_u64 s[54:55], s[56:57], s[54:55]
	s_ashr_i32 s5, s10, 31
	v_add_co_u32 v1, s53, s54, v1
	s_delay_alu instid0(VALU_DEP_1) | instskip(SKIP_2) | instid1(VALU_DEP_3)
	v_add_co_ci_u32_e64 v2, null, s55, 0, s53
	v_dual_mov_b32 v44, 0 :: v_dual_lshlrev_b32 v3, 8, v37
	s_mul_u64 s[4:5], s[4:5], s[2:3]
	v_add_co_u32 v1, vcc_lo, v1, v38
	s_lshl_b64 s[58:59], s[4:5], 2
	v_add_co_ci_u32_e64 v2, null, 0, v2, vcc_lo
	v_add_co_u32 v3, s53, s58, v3
	v_lshlrev_b32_e32 v5, 3, v36
	s_mul_i32 s4, s6, s19
	s_wait_alu 0xf1ff
	v_add_co_ci_u32_e64 v4, null, s59, 0, s53
	v_add_co_u32 v32, vcc_lo, s12, v1
	s_ashr_i32 s5, s4, 31
	s_wait_alu 0xfffd
	v_add_co_ci_u32_e64 v33, null, s13, v2, vcc_lo
	v_add_co_u32 v1, vcc_lo, v3, v5
	s_lshl_b64 s[62:63], s[4:5], 2
	s_wait_alu 0xfffd
	v_add_co_ci_u32_e64 v2, null, 0, v4, vcc_lo
	s_add_nc_u64 s[12:13], s[14:15], s[62:63]
	v_dual_mov_b32 v3, v0 :: v_dual_mov_b32 v4, v0
	s_wait_alu 0xfffe
	v_add_co_u32 v34, vcc_lo, s12, v1
	s_wait_alu 0xfffd
	v_add_co_ci_u32_e64 v35, null, s13, v2, vcc_lo
	v_dual_mov_b32 v1, v0 :: v_dual_mov_b32 v2, v0
	v_dual_mov_b32 v5, v0 :: v_dual_mov_b32 v6, v0
	;; [unrolled: 1-line block ×6, first 2 shown]
	v_mov_b32_e32 v15, v0
	s_add_nc_u64 s[26:27], s[14:15], s[58:59]
	s_ashr_i32 s65, s16, 31
	s_mov_b32 s64, s16
	s_ashr_i32 s67, s17, 31
	s_mov_b32 s66, s17
	s_add_nc_u64 s[4:5], s[8:9], s[60:61]
	s_add_nc_u64 s[8:9], s[26:27], s[62:63]
	s_mov_b32 s6, 0
	s_add_co_i32 s10, s16, s16
	s_add_co_i32 s23, s17, s17
	s_mul_i32 s17, s17, 3
	s_mul_i32 s24, s16, 3
	s_lshl_b32 s25, s16, 2
	s_mul_i32 s26, s16, 5
	s_mul_i32 s27, s16, 6
	;; [unrolled: 1-line block ×3, first 2 shown]
	s_lshl_b32 s29, s16, 3
	s_mul_i32 s30, s16, 9
	s_mul_i32 s31, s16, 10
	;; [unrolled: 1-line block ×7, first 2 shown]
	s_lshl_b32 s38, s16, 4
	s_mul_i32 s39, s16, 17
	s_mul_i32 s40, s16, 18
	;; [unrolled: 1-line block ×15, first 2 shown]
	s_lshl_b64 s[12:13], s[64:65], 2
	s_lshl_b64 s[14:15], s[66:67], 3
.LBB47_4:                               ; =>This Inner Loop Header: Depth=1
	global_load_b32 v16, v[32:33], off
	v_add_nc_u32_e32 v45, s38, v41
	s_delay_alu instid0(VALU_DEP_1) | instskip(NEXT) | instid1(VALU_DEP_1)
	v_ashrrev_i32_e32 v46, 31, v45
	v_lshlrev_b64_e32 v[45:46], 2, v[45:46]
	s_wait_loadcnt 0x0
	ds_store_b32 v42, v16
	s_wait_alu 0xfffe
	v_add_co_u32 v16, vcc_lo, v32, s12
	s_wait_alu 0xfffd
	v_add_co_ci_u32_e64 v17, null, s13, v33, vcc_lo
	global_load_b32 v16, v[16:17], off
	s_wait_loadcnt 0x0
	ds_store_b32 v42, v16 offset:144
	v_add_nc_u32_e32 v16, s10, v41
	s_delay_alu instid0(VALU_DEP_1) | instskip(NEXT) | instid1(VALU_DEP_1)
	v_ashrrev_i32_e32 v17, 31, v16
	v_lshlrev_b64_e32 v[16:17], 2, v[16:17]
	s_delay_alu instid0(VALU_DEP_1) | instskip(SKIP_1) | instid1(VALU_DEP_2)
	v_add_co_u32 v16, vcc_lo, s4, v16
	s_wait_alu 0xfffd
	v_add_co_ci_u32_e64 v17, null, s5, v17, vcc_lo
	global_load_b32 v16, v[16:17], off
	s_wait_loadcnt 0x0
	ds_store_b32 v42, v16 offset:288
	v_add_nc_u32_e32 v16, s24, v41
	s_delay_alu instid0(VALU_DEP_1) | instskip(NEXT) | instid1(VALU_DEP_1)
	v_ashrrev_i32_e32 v17, 31, v16
	v_lshlrev_b64_e32 v[16:17], 2, v[16:17]
	s_delay_alu instid0(VALU_DEP_1) | instskip(SKIP_1) | instid1(VALU_DEP_2)
	;; [unrolled: 11-line block ×14, first 2 shown]
	v_add_co_u32 v16, vcc_lo, s4, v16
	s_wait_alu 0xfffd
	v_add_co_ci_u32_e64 v17, null, s5, v17, vcc_lo
	v_add_co_u32 v45, vcc_lo, s4, v45
	s_wait_alu 0xfffd
	v_add_co_ci_u32_e64 v46, null, s5, v46, vcc_lo
	global_load_b32 v16, v[16:17], off
	s_wait_loadcnt 0x0
	ds_store_b32 v42, v16 offset:2160
	ds_load_b128 v[28:31], v43
	ds_load_b128 v[24:27], v43 offset:32
	ds_load_b128 v[20:23], v43 offset:64
	;; [unrolled: 1-line block ×3, first 2 shown]
	global_load_b32 v45, v[45:46], off
	s_wait_loadcnt 0x0
	ds_store_b32 v42, v45
	v_add_nc_u32_e32 v45, s39, v41
	s_delay_alu instid0(VALU_DEP_1) | instskip(NEXT) | instid1(VALU_DEP_1)
	v_ashrrev_i32_e32 v46, 31, v45
	v_lshlrev_b64_e32 v[45:46], 2, v[45:46]
	s_delay_alu instid0(VALU_DEP_1) | instskip(SKIP_1) | instid1(VALU_DEP_2)
	v_add_co_u32 v45, vcc_lo, s4, v45
	s_wait_alu 0xfffd
	v_add_co_ci_u32_e64 v46, null, s5, v46, vcc_lo
	global_load_b32 v45, v[45:46], off
	s_wait_loadcnt 0x0
	ds_store_b32 v42, v45 offset:144
	v_add_nc_u32_e32 v45, s40, v41
	s_delay_alu instid0(VALU_DEP_1) | instskip(NEXT) | instid1(VALU_DEP_1)
	v_ashrrev_i32_e32 v46, 31, v45
	v_lshlrev_b64_e32 v[45:46], 2, v[45:46]
	s_delay_alu instid0(VALU_DEP_1) | instskip(SKIP_1) | instid1(VALU_DEP_2)
	v_add_co_u32 v45, vcc_lo, s4, v45
	s_wait_alu 0xfffd
	v_add_co_ci_u32_e64 v46, null, s5, v46, vcc_lo
	global_load_b32 v45, v[45:46], off
	s_wait_loadcnt 0x0
	ds_store_b32 v42, v45 offset:288
	;; [unrolled: 11-line block ×15, first 2 shown]
	ds_load_b128 v[45:48], v43
	ds_load_b128 v[49:52], v43 offset:32
	ds_load_b128 v[53:56], v43 offset:64
	ds_load_b128 v[57:60], v43 offset:96
	global_load_b64 v[61:62], v[34:35], off
	s_wait_loadcnt 0x0
	v_cvt_f16_f32_e32 v61, v61
	v_cvt_f16_f32_e32 v62, v62
	s_delay_alu instid0(VALU_DEP_1)
	v_pack_b32_f16 v61, v61, v62
	ds_store_b32 v42, v61
	v_add_co_u32 v61, vcc_lo, v34, s14
	s_wait_alu 0xfffd
	v_add_co_ci_u32_e64 v62, null, s15, v35, vcc_lo
	global_load_b64 v[61:62], v[61:62], off
	s_wait_loadcnt 0x0
	v_cvt_f16_f32_e32 v61, v61
	v_cvt_f16_f32_e32 v62, v62
	s_delay_alu instid0(VALU_DEP_1) | instskip(SKIP_2) | instid1(VALU_DEP_1)
	v_pack_b32_f16 v61, v61, v62
	ds_store_b32 v42, v61 offset:144
	v_add_nc_u32_e32 v61, s23, v41
	v_ashrrev_i32_e32 v62, 31, v61
	s_delay_alu instid0(VALU_DEP_1) | instskip(NEXT) | instid1(VALU_DEP_1)
	v_lshlrev_b64_e32 v[61:62], 3, v[61:62]
	v_add_co_u32 v61, vcc_lo, s8, v61
	s_wait_alu 0xfffd
	s_delay_alu instid0(VALU_DEP_2) | instskip(SKIP_4) | instid1(VALU_DEP_1)
	v_add_co_ci_u32_e64 v62, null, s9, v62, vcc_lo
	global_load_b64 v[61:62], v[61:62], off
	s_wait_loadcnt 0x0
	v_cvt_f16_f32_e32 v61, v61
	v_cvt_f16_f32_e32 v62, v62
	v_pack_b32_f16 v61, v61, v62
	ds_store_b32 v42, v61 offset:288
	v_add_nc_u32_e32 v61, s17, v41
	v_add_nc_u32_e32 v41, 0xe0, v41
	s_delay_alu instid0(VALU_DEP_2) | instskip(NEXT) | instid1(VALU_DEP_1)
	v_ashrrev_i32_e32 v62, 31, v61
	v_lshlrev_b64_e32 v[61:62], 3, v[61:62]
	s_delay_alu instid0(VALU_DEP_1) | instskip(SKIP_1) | instid1(VALU_DEP_2)
	v_add_co_u32 v61, vcc_lo, s8, v61
	s_wait_alu 0xfffd
	v_add_co_ci_u32_e64 v62, null, s9, v62, vcc_lo
	v_add_co_u32 v32, vcc_lo, 0x380, v32
	s_wait_alu 0xfffd
	v_add_co_ci_u32_e64 v33, null, 0, v33, vcc_lo
	global_load_b64 v[61:62], v[61:62], off
	v_add_co_u32 v34, vcc_lo, 0x700, v34
	s_wait_alu 0xfffd
	v_add_co_ci_u32_e64 v35, null, 0, v35, vcc_lo
	v_cmp_le_i32_e32 vcc_lo, s21, v41
	s_or_b32 s6, vcc_lo, s6
	s_wait_loadcnt 0x0
	v_cvt_f16_f32_e32 v61, v61
	v_cvt_f16_f32_e32 v62, v62
	s_delay_alu instid0(VALU_DEP_1)
	v_pack_b32_f16 v61, v61, v62
	ds_store_b32 v42, v61 offset:432
	ds_store_b32 v42, v44 offset:576
	;; [unrolled: 1-line block ×13, first 2 shown]
	ds_load_b128 v[61:64], v43
	ds_load_b128 v[65:68], v43 offset:32
	s_wait_dscnt 0x1
	v_wmma_f32_16x16x16_f16 v[8:15], v[28:31], v[61:64], v[8:15]
	v_wmma_f32_16x16x16_f16 v[0:7], v[45:48], v[61:64], v[0:7]
	s_wait_dscnt 0x0
	s_delay_alu instid0(VALU_DEP_2)
	v_wmma_f32_16x16x16_f16 v[8:15], v[24:27], v[65:68], v[8:15]
	ds_load_b128 v[24:27], v43 offset:64
	v_wmma_f32_16x16x16_f16 v[0:7], v[49:52], v[65:68], v[0:7]
	s_wait_dscnt 0x0
	v_wmma_f32_16x16x16_f16 v[8:15], v[20:23], v[24:27], v[8:15]
	ds_load_b128 v[20:23], v43 offset:96
	v_wmma_f32_16x16x16_f16 v[0:7], v[53:56], v[24:27], v[0:7]
	s_wait_dscnt 0x0
	v_wmma_f32_16x16x16_f16 v[8:15], v[16:19], v[20:23], v[8:15]
	s_delay_alu instid0(VALU_DEP_2)
	v_wmma_f32_16x16x16_f16 v[0:7], v[57:60], v[20:23], v[0:7]
	s_and_not1_b32 exec_lo, exec_lo, s6
	s_cbranch_execnz .LBB47_4
; %bb.5:
	s_or_b32 exec_lo, exec_lo, s6
.LBB47_6:
	s_delay_alu instid0(SALU_CYCLE_1)
	s_or_b32 exec_lo, exec_lo, s22
	s_load_b64 s[0:1], s[0:1], 0x18
	v_lshlrev_b32_e32 v16, 1, v36
	v_lshl_add_u32 v17, v39, 2, 0
	v_mul_u32_u24_e32 v18, 0x390, v40
	s_barrier_signal -1
	s_delay_alu instid0(VALU_DEP_3)
	v_and_b32_e32 v16, 0x7e0, v16
	s_barrier_wait -1
	global_inv scope:SCOPE_SE
	s_mov_b32 s4, exec_lo
	v_add3_u32 v16, v17, v18, v16
	ds_store_2addr_b32 v16, v8, v9 offset1:1
	ds_store_2addr_b32 v16, v10, v11 offset0:2 offset1:3
	ds_store_2addr_b32 v16, v12, v13 offset0:4 offset1:5
	;; [unrolled: 1-line block ×7, first 2 shown]
	s_wait_loadcnt_dscnt 0x0
	s_barrier_signal -1
	s_barrier_wait -1
	global_inv scope:SCOPE_SE
	v_cmpx_gt_u32_e32 4, v37
	s_cbranch_execz .LBB47_8
; %bb.7:
	v_mul_u32_u24_e32 v0, 0x390, v37
	s_ashr_i32 s5, s11, 31
	s_mov_b32 s4, s11
	s_mul_i32 s6, s7, s19
	s_wait_alu 0xfffe
	s_mul_u64 s[2:3], s[4:5], s[2:3]
	v_add3_u32 v6, 0, v38, v0
	s_ashr_i32 s7, s6, 31
	s_wait_alu 0xfffe
	s_lshl_b64 s[2:3], s[2:3], 2
	s_lshl_b64 s[4:5], s[6:7], 2
	s_wait_kmcnt 0x0
	s_wait_alu 0xfffe
	s_add_nc_u64 s[0:1], s[0:1], s[2:3]
	ds_load_2addr_b32 v[0:1], v6 offset1:32
	ds_load_2addr_b32 v[2:3], v6 offset0:64 offset1:96
	ds_load_2addr_b32 v[4:5], v6 offset0:128 offset1:160
	ds_load_b32 v6, v6 offset:768
	s_add_nc_u64 s[0:1], s[0:1], s[4:5]
	s_wait_dscnt 0x3
	v_add_f32_e32 v0, 0, v0
	s_delay_alu instid0(VALU_DEP_1) | instskip(SKIP_1) | instid1(VALU_DEP_1)
	v_dual_add_f32 v0, v0, v1 :: v_dual_mov_b32 v1, 0
	s_wait_dscnt 0x2
	v_add_f32_e32 v0, v0, v2
	v_mul_lo_u32 v2, v37, s18
	s_delay_alu instid0(VALU_DEP_2) | instskip(SKIP_1) | instid1(VALU_DEP_1)
	v_add_f32_e32 v0, v0, v3
	s_wait_dscnt 0x1
	v_add_f32_e32 v3, v0, v4
	s_delay_alu instid0(VALU_DEP_3) | instskip(NEXT) | instid1(VALU_DEP_2)
	v_add3_u32 v0, s20, v36, v2
	v_add_f32_e32 v2, v3, v5
	s_delay_alu instid0(VALU_DEP_2) | instskip(SKIP_1) | instid1(VALU_DEP_2)
	v_lshlrev_b64_e32 v[0:1], 2, v[0:1]
	s_wait_dscnt 0x0
	v_add_f32_e32 v2, v2, v6
	s_delay_alu instid0(VALU_DEP_2) | instskip(SKIP_1) | instid1(VALU_DEP_3)
	v_add_co_u32 v0, vcc_lo, s0, v0
	s_wait_alu 0xfffd
	v_add_co_ci_u32_e64 v1, null, s1, v1, vcc_lo
	global_store_b32 v[0:1], v2, off
.LBB47_8:
	s_endpgm
	.section	.rodata,"a",@progbits
	.p2align	6, 0x0
	.amdhsa_kernel _ZL9mul_mat_fI7__half2Li32ELi4ELi7ELb0EEvPKT_PKfPKiPfiiiiiiiiiiiiiiii
		.amdhsa_group_segment_fixed_size 0
		.amdhsa_private_segment_fixed_size 0
		.amdhsa_kernarg_size 96
		.amdhsa_user_sgpr_count 2
		.amdhsa_user_sgpr_dispatch_ptr 0
		.amdhsa_user_sgpr_queue_ptr 0
		.amdhsa_user_sgpr_kernarg_segment_ptr 1
		.amdhsa_user_sgpr_dispatch_id 0
		.amdhsa_user_sgpr_private_segment_size 0
		.amdhsa_wavefront_size32 1
		.amdhsa_uses_dynamic_stack 0
		.amdhsa_enable_private_segment 0
		.amdhsa_system_sgpr_workgroup_id_x 1
		.amdhsa_system_sgpr_workgroup_id_y 1
		.amdhsa_system_sgpr_workgroup_id_z 1
		.amdhsa_system_sgpr_workgroup_info 0
		.amdhsa_system_vgpr_workitem_id 1
		.amdhsa_next_free_vgpr 69
		.amdhsa_next_free_sgpr 68
		.amdhsa_reserve_vcc 1
		.amdhsa_float_round_mode_32 0
		.amdhsa_float_round_mode_16_64 0
		.amdhsa_float_denorm_mode_32 3
		.amdhsa_float_denorm_mode_16_64 3
		.amdhsa_fp16_overflow 0
		.amdhsa_workgroup_processor_mode 1
		.amdhsa_memory_ordered 1
		.amdhsa_forward_progress 1
		.amdhsa_inst_pref_size 31
		.amdhsa_round_robin_scheduling 0
		.amdhsa_exception_fp_ieee_invalid_op 0
		.amdhsa_exception_fp_denorm_src 0
		.amdhsa_exception_fp_ieee_div_zero 0
		.amdhsa_exception_fp_ieee_overflow 0
		.amdhsa_exception_fp_ieee_underflow 0
		.amdhsa_exception_fp_ieee_inexact 0
		.amdhsa_exception_int_div_zero 0
	.end_amdhsa_kernel
	.section	.text._ZL9mul_mat_fI7__half2Li32ELi4ELi7ELb0EEvPKT_PKfPKiPfiiiiiiiiiiiiiiii,"axG",@progbits,_ZL9mul_mat_fI7__half2Li32ELi4ELi7ELb0EEvPKT_PKfPKiPfiiiiiiiiiiiiiiii,comdat
.Lfunc_end47:
	.size	_ZL9mul_mat_fI7__half2Li32ELi4ELi7ELb0EEvPKT_PKfPKiPfiiiiiiiiiiiiiiii, .Lfunc_end47-_ZL9mul_mat_fI7__half2Li32ELi4ELi7ELb0EEvPKT_PKfPKiPfiiiiiiiiiiiiiiii
                                        ; -- End function
	.set _ZL9mul_mat_fI7__half2Li32ELi4ELi7ELb0EEvPKT_PKfPKiPfiiiiiiiiiiiiiiii.num_vgpr, 69
	.set _ZL9mul_mat_fI7__half2Li32ELi4ELi7ELb0EEvPKT_PKfPKiPfiiiiiiiiiiiiiiii.num_agpr, 0
	.set _ZL9mul_mat_fI7__half2Li32ELi4ELi7ELb0EEvPKT_PKfPKiPfiiiiiiiiiiiiiiii.numbered_sgpr, 68
	.set _ZL9mul_mat_fI7__half2Li32ELi4ELi7ELb0EEvPKT_PKfPKiPfiiiiiiiiiiiiiiii.num_named_barrier, 0
	.set _ZL9mul_mat_fI7__half2Li32ELi4ELi7ELb0EEvPKT_PKfPKiPfiiiiiiiiiiiiiiii.private_seg_size, 0
	.set _ZL9mul_mat_fI7__half2Li32ELi4ELi7ELb0EEvPKT_PKfPKiPfiiiiiiiiiiiiiiii.uses_vcc, 1
	.set _ZL9mul_mat_fI7__half2Li32ELi4ELi7ELb0EEvPKT_PKfPKiPfiiiiiiiiiiiiiiii.uses_flat_scratch, 0
	.set _ZL9mul_mat_fI7__half2Li32ELi4ELi7ELb0EEvPKT_PKfPKiPfiiiiiiiiiiiiiiii.has_dyn_sized_stack, 0
	.set _ZL9mul_mat_fI7__half2Li32ELi4ELi7ELb0EEvPKT_PKfPKiPfiiiiiiiiiiiiiiii.has_recursion, 0
	.set _ZL9mul_mat_fI7__half2Li32ELi4ELi7ELb0EEvPKT_PKfPKiPfiiiiiiiiiiiiiiii.has_indirect_call, 0
	.section	.AMDGPU.csdata,"",@progbits
; Kernel info:
; codeLenInByte = 3952
; TotalNumSgprs: 70
; NumVgprs: 69
; ScratchSize: 0
; MemoryBound: 0
; FloatMode: 240
; IeeeMode: 1
; LDSByteSize: 0 bytes/workgroup (compile time only)
; SGPRBlocks: 0
; VGPRBlocks: 8
; NumSGPRsForWavesPerEU: 70
; NumVGPRsForWavesPerEU: 69
; Occupancy: 16
; WaveLimiterHint : 0
; COMPUTE_PGM_RSRC2:SCRATCH_EN: 0
; COMPUTE_PGM_RSRC2:USER_SGPR: 2
; COMPUTE_PGM_RSRC2:TRAP_HANDLER: 0
; COMPUTE_PGM_RSRC2:TGID_X_EN: 1
; COMPUTE_PGM_RSRC2:TGID_Y_EN: 1
; COMPUTE_PGM_RSRC2:TGID_Z_EN: 1
; COMPUTE_PGM_RSRC2:TIDIG_COMP_CNT: 1
	.section	.text._ZL13mul_mat_f_idsI7__half2Li32ELi4ELi8EEvPKT_PKfPKiS7_S7_Pfiiiiiiiiiiiiii15HIP_vector_typeIjLj3EESA_,"axG",@progbits,_ZL13mul_mat_f_idsI7__half2Li32ELi4ELi8EEvPKT_PKfPKiS7_S7_Pfiiiiiiiiiiiiii15HIP_vector_typeIjLj3EESA_,comdat
	.globl	_ZL13mul_mat_f_idsI7__half2Li32ELi4ELi8EEvPKT_PKfPKiS7_S7_Pfiiiiiiiiiiiiii15HIP_vector_typeIjLj3EESA_ ; -- Begin function _ZL13mul_mat_f_idsI7__half2Li32ELi4ELi8EEvPKT_PKfPKiS7_S7_Pfiiiiiiiiiiiiii15HIP_vector_typeIjLj3EESA_
	.p2align	8
	.type	_ZL13mul_mat_f_idsI7__half2Li32ELi4ELi8EEvPKT_PKfPKiS7_S7_Pfiiiiiiiiiiiiii15HIP_vector_typeIjLj3EESA_,@function
_ZL13mul_mat_f_idsI7__half2Li32ELi4ELi8EEvPKT_PKfPKiS7_S7_Pfiiiiiiiiiiiiii15HIP_vector_typeIjLj3EESA_: ; @_ZL13mul_mat_f_idsI7__half2Li32ELi4ELi8EEvPKT_PKfPKiS7_S7_Pfiiiiiiiiiiiiii15HIP_vector_typeIjLj3EESA_
; %bb.0:
	s_load_b64 s[4:5], s[0:1], 0x20
	s_and_b32 s2, ttmp7, 0xffff
	s_delay_alu instid0(SALU_CYCLE_1) | instskip(SKIP_4) | instid1(SALU_CYCLE_1)
	s_lshl_b32 s3, s2, 2
	s_wait_kmcnt 0x0
	s_load_b64 s[24:25], s[4:5], s3 offset:0x0
	s_wait_kmcnt 0x0
	s_sub_co_i32 s19, s25, s24
	s_add_co_i32 s3, s19, 3
	s_delay_alu instid0(SALU_CYCLE_1) | instskip(NEXT) | instid1(SALU_CYCLE_1)
	s_ashr_i32 s4, s3, 31
	s_lshr_b32 s4, s4, 30
	s_delay_alu instid0(SALU_CYCLE_1) | instskip(NEXT) | instid1(SALU_CYCLE_1)
	s_add_co_i32 s3, s3, s4
	s_ashr_i32 s4, s3, 2
	s_lshr_b32 s3, ttmp7, 16
	s_delay_alu instid0(SALU_CYCLE_1)
	s_cmp_ge_i32 s3, s4
	s_cbranch_scc1 .LBB48_23
; %bb.1:
	s_clause 0x3
	s_load_b128 s[4:7], s[0:1], 0x30
	s_load_b64 s[20:21], s[0:1], 0x40
	s_load_b128 s[8:11], s[0:1], 0x68
	s_load_b64 s[22:23], s[0:1], 0x78
	v_bfe_u32 v52, v0, 10, 10
	v_and_b32_e32 v51, 0x3ff, v0
	s_ashr_i32 s25, s24, 31
	s_mov_b32 s12, exec_lo
	s_delay_alu instid0(VALU_DEP_2) | instskip(NEXT) | instid1(VALU_DEP_2)
	v_lshlrev_b32_e32 v53, 5, v52
	v_and_b32_e32 v54, 15, v51
	s_delay_alu instid0(VALU_DEP_2) | instskip(SKIP_1) | instid1(VALU_DEP_1)
	v_add_nc_u32_e32 v48, v53, v51
	s_wait_kmcnt 0x0
	v_cmpx_le_i32_e64 s4, v48
	s_xor_b32 s12, exec_lo, s12
; %bb.2:
	v_and_b32_e32 v54, 15, v51
                                        ; implicit-def: $vgpr48
; %bb.3:
	s_or_saveexec_b32 s37, s12
	s_clause 0x1
	s_load_b64 s[26:27], s[0:1], 0x28
	s_load_b96 s[16:18], s[0:1], 0x4c
	v_mov_b32_e32 v7, 0
	s_lshl_b32 s33, ttmp9, 5
	s_lshl_b32 s36, s3, 2
	s_delay_alu instid0(VALU_DEP_1)
	v_dual_mov_b32 v6, v7 :: v_dual_mov_b32 v5, v7
	v_dual_mov_b32 v4, v7 :: v_dual_mov_b32 v3, v7
	;; [unrolled: 1-line block ×7, first 2 shown]
	v_mov_b32_e32 v8, v7
	s_xor_b32 exec_lo, exec_lo, s37
	s_cbranch_execz .LBB48_19
; %bb.4:
	s_clause 0x1
	s_load_b128 s[12:15], s[0:1], 0x0
	s_load_b64 s[28:29], s[0:1], 0x10
	s_wait_kmcnt 0x0
	s_mul_i32 s30, s16, s2
	s_mul_i32 s34, s7, s33
	s_ashr_i32 s31, s30, 31
	s_ashr_i32 s35, s34, 31
	s_lshl_b64 s[38:39], s[24:25], 2
	s_lshl_b64 s[68:69], s[30:31], 2
	;; [unrolled: 1-line block ×3, first 2 shown]
	s_cmp_lt_i32 s36, s19
	v_mad_u32_u24 v0, 0x900, v52, 0
	v_dual_mov_b32 v8, 0 :: v_dual_lshlrev_b32 v1, 2, v51
	v_mul_u32_u24_e32 v2, 0x90, v54
	s_cselect_b32 s16, -1, 0
	s_or_b32 s30, s36, 1
	v_mov_b32_e32 v57, 0
	v_and_b32_e32 v3, 0x3f0, v51
	s_lshl_b32 s2, s36, 2
	s_cmp_lt_i32 s30, s19
	s_add_nc_u64 s[30:31], s[12:13], s[68:69]
	s_add_nc_u64 s[34:35], s[28:29], s[38:39]
	;; [unrolled: 1-line block ×3, first 2 shown]
	s_cselect_b32 s38, -1, 0
	s_or_b32 s30, s36, 2
	v_dual_mov_b32 v10, v57 :: v_dual_add_nc_u32 v55, v0, v1
	v_add3_u32 v56, v0, v2, v3
	v_dual_mov_b32 v9, v57 :: v_dual_lshlrev_b32 v0, 7, v52
	s_mov_b32 s3, 0
	s_cmp_lt_i32 s30, s19
	s_add_nc_u64 s[30:31], s[34:35], s[2:3]
	s_cselect_b32 s39, -1, 0
	s_or_b32 s2, s36, 3
	s_add_nc_u64 s[68:69], s[68:69], s[70:71]
	s_cmp_lt_i32 s2, s19
	v_add_co_u32 v0, s2, s68, v0
	s_delay_alu instid0(VALU_DEP_1) | instskip(SKIP_2) | instid1(VALU_DEP_1)
	v_add_co_ci_u32_e64 v2, null, s69, 0, s2
	s_mov_b32 s34, s8
	v_add_co_u32 v0, vcc_lo, v0, v1
	v_add_co_ci_u32_e64 v1, null, 0, v2, vcc_lo
	s_cselect_b32 s8, -1, 0
	v_add_co_u32 v49, vcc_lo, s12, v0
	s_wait_alu 0xfffd
	v_add_co_ci_u32_e64 v50, null, s13, v1, vcc_lo
	v_dual_mov_b32 v0, 0 :: v_dual_mov_b32 v11, v57
	v_mov_b32_e32 v14, v57
	v_dual_mov_b32 v12, v57 :: v_dual_mov_b32 v13, v57
	v_dual_mov_b32 v2, v57 :: v_dual_mov_b32 v15, v57
	v_dual_mov_b32 v4, v57 :: v_dual_mov_b32 v1, v57
	v_dual_mov_b32 v6, v57 :: v_dual_mov_b32 v3, v57
	v_mov_b32_e32 v5, v57
	v_mov_b32_e32 v7, v57
	s_ashr_i32 s73, s7, 31
	s_mov_b32 s72, s7
	s_mov_b32 s35, s3
	s_add_co_i32 s40, s7, s7
	s_mul_i32 s41, s7, 3
	s_lshl_b32 s42, s7, 2
	s_mul_i32 s43, s7, 5
	s_mul_i32 s44, s7, 6
	;; [unrolled: 1-line block ×3, first 2 shown]
	s_lshl_b32 s46, s7, 3
	s_mul_i32 s47, s7, 9
	s_mul_i32 s48, s7, 10
	;; [unrolled: 1-line block ×7, first 2 shown]
	s_lshl_b32 s54, s7, 4
	s_mul_i32 s55, s7, 17
	s_mul_i32 s56, s7, 18
	;; [unrolled: 1-line block ×15, first 2 shown]
	s_lshl_b64 s[12:13], s[72:73], 2
	s_mov_b32 s69, 0
	s_branch .LBB48_6
.LBB48_5:                               ;   in Loop: Header=BB48_6 Depth=1
	v_perm_b32 v58, v58, v59, 0x5040100
	v_perm_b32 v59, v61, v62, 0x5040100
	;; [unrolled: 1-line block ×4, first 2 shown]
	v_add_nc_u32_e32 v62, 0x400, v55
	ds_store_2addr_b32 v55, v58, v59 offset1:36
	ds_store_2addr_b32 v55, v60, v61 offset0:72 offset1:108
	ds_store_2addr_b32 v55, v57, v57 offset0:144 offset1:180
	v_add_nc_u32_e32 v58, 0x600, v55
	ds_store_2addr_b32 v55, v57, v57 offset0:216 offset1:252
	ds_store_2addr_b32 v62, v57, v57 offset0:32 offset1:68
	;; [unrolled: 1-line block ×5, first 2 shown]
	ds_load_b128 v[58:61], v56
	ds_load_b128 v[62:65], v56 offset:32
	ds_load_b128 v[66:69], v56 offset:64
	;; [unrolled: 1-line block ×3, first 2 shown]
	v_add_nc_u32_e32 v48, 0x100, v48
	v_add_co_u32 v49, s2, 0x400, v49
	s_wait_alu 0xf1ff
	v_add_co_ci_u32_e64 v50, null, 0, v50, s2
	s_delay_alu instid0(VALU_DEP_3)
	v_cmp_le_i32_e32 vcc_lo, s4, v48
	s_or_b32 s69, vcc_lo, s69
	s_wait_dscnt 0x3
	v_wmma_f32_16x16x16_f16 v[8:15], v[32:35], v[58:61], v[8:15]
	v_wmma_f32_16x16x16_f16 v[0:7], v[44:47], v[58:61], v[0:7]
	s_wait_dscnt 0x2
	s_delay_alu instid0(VALU_DEP_2) | instskip(NEXT) | instid1(VALU_DEP_2)
	v_wmma_f32_16x16x16_f16 v[8:15], v[28:31], v[62:65], v[8:15]
	v_wmma_f32_16x16x16_f16 v[0:7], v[40:43], v[62:65], v[0:7]
	s_wait_dscnt 0x1
	s_delay_alu instid0(VALU_DEP_2) | instskip(NEXT) | instid1(VALU_DEP_2)
	;; [unrolled: 4-line block ×3, first 2 shown]
	v_wmma_f32_16x16x16_f16 v[8:15], v[16:19], v[70:73], v[8:15]
	v_wmma_f32_16x16x16_f16 v[0:7], v[20:23], v[70:73], v[0:7]
	s_wait_alu 0xfffe
	s_and_not1_b32 exec_lo, exec_lo, s69
	s_cbranch_execz .LBB48_18
.LBB48_6:                               ; =>This Inner Loop Header: Depth=1
	v_add_nc_u32_e32 v22, s42, v48
	v_add_nc_u32_e32 v16, s40, v48
	s_wait_alu 0xfffe
	v_add_co_u32 v20, vcc_lo, v49, s12
	v_add_nc_u32_e32 v18, s41, v48
	s_wait_alu 0xfffd
	v_add_co_ci_u32_e64 v21, null, s13, v50, vcc_lo
	v_ashrrev_i32_e32 v23, 31, v22
	v_ashrrev_i32_e32 v17, 31, v16
	v_add_nc_u32_e32 v24, s43, v48
	v_ashrrev_i32_e32 v19, 31, v18
	s_clause 0x1
	global_load_b32 v38, v[49:50], off
	global_load_b32 v39, v[20:21], off
	v_lshlrev_b64_e32 v[20:21], 2, v[22:23]
	v_add_nc_u32_e32 v22, s44, v48
	v_lshlrev_b64_e32 v[16:17], 2, v[16:17]
	v_add_nc_u32_e32 v26, s45, v48
	v_ashrrev_i32_e32 v25, 31, v24
	v_lshlrev_b64_e32 v[18:19], 2, v[18:19]
	v_add_nc_u32_e32 v28, s46, v48
	v_ashrrev_i32_e32 v23, 31, v22
	v_add_nc_u32_e32 v30, s47, v48
	v_ashrrev_i32_e32 v27, 31, v26
	v_add_co_u32 v16, vcc_lo, s28, v16
	v_lshlrev_b64_e32 v[24:25], 2, v[24:25]
	v_ashrrev_i32_e32 v29, 31, v28
	s_wait_alu 0xfffd
	v_add_co_ci_u32_e64 v17, null, s29, v17, vcc_lo
	v_add_co_u32 v18, vcc_lo, s28, v18
	v_lshlrev_b64_e32 v[22:23], 2, v[22:23]
	v_ashrrev_i32_e32 v31, 31, v30
	s_wait_alu 0xfffd
	v_add_co_ci_u32_e64 v19, null, s29, v19, vcc_lo
	v_add_co_u32 v20, vcc_lo, s28, v20
	v_lshlrev_b64_e32 v[26:27], 2, v[26:27]
	s_wait_alu 0xfffd
	v_add_co_ci_u32_e64 v21, null, s29, v21, vcc_lo
	v_add_co_u32 v24, vcc_lo, s28, v24
	v_lshlrev_b64_e32 v[28:29], 2, v[28:29]
	;; [unrolled: 4-line block ×3, first 2 shown]
	s_wait_alu 0xfffd
	v_add_co_ci_u32_e64 v23, null, s29, v23, vcc_lo
	v_add_co_u32 v26, vcc_lo, s28, v26
	v_add_nc_u32_e32 v32, s48, v48
	s_wait_alu 0xfffd
	v_add_co_ci_u32_e64 v27, null, s29, v27, vcc_lo
	v_add_co_u32 v28, vcc_lo, s28, v28
	v_add_nc_u32_e32 v34, s49, v48
	;; [unrolled: 4-line block ×3, first 2 shown]
	v_ashrrev_i32_e32 v33, 31, v32
	s_wait_alu 0xfffd
	v_add_co_ci_u32_e64 v31, null, s29, v31, vcc_lo
	s_clause 0x7
	global_load_b32 v40, v[16:17], off
	global_load_b32 v41, v[18:19], off
	;; [unrolled: 1-line block ×8, first 2 shown]
	v_add_nc_u32_e32 v18, s51, v48
	v_ashrrev_i32_e32 v35, 31, v34
	v_add_nc_u32_e32 v24, s52, v48
	v_ashrrev_i32_e32 v37, 31, v36
	v_lshlrev_b64_e32 v[32:33], 2, v[32:33]
	v_add_nc_u32_e32 v26, s53, v48
	v_ashrrev_i32_e32 v19, 31, v18
	v_lshlrev_b64_e32 v[16:17], 2, v[34:35]
	;; [unrolled: 3-line block ×3, first 2 shown]
	v_add_nc_u32_e32 v30, s55, v48
	v_ashrrev_i32_e32 v27, 31, v26
	v_add_co_u32 v20, vcc_lo, s28, v32
	v_lshlrev_b64_e32 v[18:19], 2, v[18:19]
	v_ashrrev_i32_e32 v29, 31, v28
	s_wait_alu 0xfffd
	v_add_co_ci_u32_e64 v21, null, s29, v33, vcc_lo
	v_add_co_u32 v16, vcc_lo, s28, v16
	v_lshlrev_b64_e32 v[24:25], 2, v[24:25]
	v_ashrrev_i32_e32 v31, 31, v30
	s_wait_alu 0xfffd
	v_add_co_ci_u32_e64 v17, null, s29, v17, vcc_lo
	v_add_co_u32 v22, vcc_lo, s28, v22
	v_lshlrev_b64_e32 v[26:27], 2, v[26:27]
	s_wait_alu 0xfffd
	v_add_co_ci_u32_e64 v23, null, s29, v23, vcc_lo
	v_add_co_u32 v18, vcc_lo, s28, v18
	v_lshlrev_b64_e32 v[28:29], 2, v[28:29]
	;; [unrolled: 4-line block ×3, first 2 shown]
	s_wait_alu 0xfffd
	v_add_co_ci_u32_e64 v25, null, s29, v25, vcc_lo
	v_add_co_u32 v26, vcc_lo, s28, v26
	v_add_nc_u32_e32 v32, s56, v48
	s_wait_alu 0xfffd
	v_add_co_ci_u32_e64 v27, null, s29, v27, vcc_lo
	v_add_co_u32 v28, vcc_lo, s28, v28
	v_add_nc_u32_e32 v34, s57, v48
	;; [unrolled: 4-line block ×3, first 2 shown]
	v_ashrrev_i32_e32 v33, 31, v32
	s_wait_alu 0xfffd
	v_add_co_ci_u32_e64 v31, null, s29, v31, vcc_lo
	s_clause 0x7
	global_load_b32 v58, v[20:21], off
	global_load_b32 v59, v[16:17], off
	;; [unrolled: 1-line block ×8, first 2 shown]
	v_add_nc_u32_e32 v18, s59, v48
	v_ashrrev_i32_e32 v35, 31, v34
	v_add_nc_u32_e32 v24, s60, v48
	v_ashrrev_i32_e32 v37, 31, v36
	v_lshlrev_b64_e32 v[32:33], 2, v[32:33]
	v_add_nc_u32_e32 v26, s61, v48
	v_ashrrev_i32_e32 v19, 31, v18
	v_lshlrev_b64_e32 v[16:17], 2, v[34:35]
	;; [unrolled: 3-line block ×3, first 2 shown]
	v_add_nc_u32_e32 v30, s63, v48
	v_ashrrev_i32_e32 v27, 31, v26
	v_add_co_u32 v20, vcc_lo, s28, v32
	v_lshlrev_b64_e32 v[18:19], 2, v[18:19]
	v_ashrrev_i32_e32 v29, 31, v28
	s_wait_alu 0xfffd
	v_add_co_ci_u32_e64 v21, null, s29, v33, vcc_lo
	v_add_co_u32 v16, vcc_lo, s28, v16
	v_lshlrev_b64_e32 v[24:25], 2, v[24:25]
	v_ashrrev_i32_e32 v31, 31, v30
	s_wait_alu 0xfffd
	v_add_co_ci_u32_e64 v17, null, s29, v17, vcc_lo
	v_add_co_u32 v22, vcc_lo, s28, v22
	v_lshlrev_b64_e32 v[26:27], 2, v[26:27]
	s_wait_alu 0xfffd
	v_add_co_ci_u32_e64 v23, null, s29, v23, vcc_lo
	v_add_co_u32 v18, vcc_lo, s28, v18
	v_lshlrev_b64_e32 v[28:29], 2, v[28:29]
	;; [unrolled: 4-line block ×3, first 2 shown]
	s_wait_alu 0xfffd
	v_add_co_ci_u32_e64 v25, null, s29, v25, vcc_lo
	v_add_co_u32 v26, vcc_lo, s28, v26
	v_add_nc_u32_e32 v32, s64, v48
	s_wait_alu 0xfffd
	v_add_co_ci_u32_e64 v27, null, s29, v27, vcc_lo
	v_add_co_u32 v28, vcc_lo, s28, v28
	v_add_nc_u32_e32 v34, s65, v48
	;; [unrolled: 4-line block ×3, first 2 shown]
	v_ashrrev_i32_e32 v33, 31, v32
	s_wait_alu 0xfffd
	v_add_co_ci_u32_e64 v31, null, s29, v31, vcc_lo
	s_clause 0x7
	global_load_b32 v66, v[20:21], off
	global_load_b32 v67, v[16:17], off
	;; [unrolled: 1-line block ×8, first 2 shown]
	v_add_nc_u32_e32 v18, s67, v48
	v_ashrrev_i32_e32 v35, 31, v34
	v_add_nc_u32_e32 v24, s68, v48
	v_ashrrev_i32_e32 v37, 31, v36
	v_lshlrev_b64_e32 v[32:33], 2, v[32:33]
	v_add_nc_u32_e32 v26, s7, v48
	v_ashrrev_i32_e32 v19, 31, v18
	v_lshlrev_b64_e32 v[16:17], 2, v[34:35]
	v_ashrrev_i32_e32 v25, 31, v24
	v_lshlrev_b64_e32 v[22:23], 2, v[36:37]
	v_ashrrev_i32_e32 v27, 31, v26
	v_add_co_u32 v20, vcc_lo, s28, v32
	v_lshlrev_b64_e32 v[18:19], 2, v[18:19]
	s_wait_alu 0xfffd
	v_add_co_ci_u32_e64 v21, null, s29, v33, vcc_lo
	v_add_co_u32 v16, vcc_lo, s28, v16
	v_lshlrev_b64_e32 v[24:25], 2, v[24:25]
	s_wait_alu 0xfffd
	v_add_co_ci_u32_e64 v17, null, s29, v17, vcc_lo
	;; [unrolled: 4-line block ×3, first 2 shown]
	v_add_co_u32 v18, vcc_lo, s28, v18
	s_wait_alu 0xfffd
	v_add_co_ci_u32_e64 v19, null, s29, v19, vcc_lo
	v_add_co_u32 v24, vcc_lo, s28, v24
	s_wait_alu 0xfffd
	v_add_co_ci_u32_e64 v25, null, s29, v25, vcc_lo
	;; [unrolled: 3-line block ×3, first 2 shown]
	s_clause 0x5
	global_load_b32 v20, v[20:21], off
	global_load_b32 v21, v[16:17], off
	;; [unrolled: 1-line block ×6, first 2 shown]
	s_and_not1_b32 vcc_lo, exec_lo, s16
	s_wait_loadcnt 0x1f
	ds_store_b32 v55, v38
	s_wait_loadcnt 0x1e
	ds_store_b32 v55, v39 offset:144
	s_wait_loadcnt 0x1d
	ds_store_b32 v55, v40 offset:288
	;; [unrolled: 2-line block ×15, first 2 shown]
	ds_load_b128 v[32:35], v56
	ds_load_b128 v[28:31], v56 offset:32
	ds_load_b128 v[24:27], v56 offset:64
	;; [unrolled: 1-line block ×3, first 2 shown]
	s_wait_loadcnt 0xf
	ds_store_b32 v55, v64
	s_wait_loadcnt 0xe
	ds_store_b32 v55, v65 offset:144
	s_wait_loadcnt 0xd
	ds_store_b32 v55, v66 offset:288
	;; [unrolled: 2-line block ×15, first 2 shown]
	ds_load_b128 v[44:47], v56
	ds_load_b128 v[40:43], v56 offset:32
	ds_load_b128 v[36:39], v56 offset:64
	;; [unrolled: 1-line block ×3, first 2 shown]
	v_dual_mov_b32 v59, 0 :: v_dual_mov_b32 v58, 0
	s_wait_alu 0xfffe
	s_cbranch_vccnz .LBB48_9
; %bb.7:                                ;   in Loop: Header=BB48_6 Depth=1
	s_load_b32 s2, s[30:31], 0x0
	v_dual_mov_b32 v58, 0 :: v_dual_mov_b32 v59, 0
	s_wait_kmcnt 0x0
	s_mul_u64 s[70:71], s[2:3], s[34:35]
	s_wait_alu 0xfffe
	s_add_co_i32 s70, s2, s71
	s_wait_alu 0xfffe
	s_lshr_b32 s70, s70, s9
	s_wait_alu 0xfffe
	s_cmp_ge_i32 s70, s5
	s_cbranch_scc1 .LBB48_9
; %bb.8:                                ;   in Loop: Header=BB48_6 Depth=1
	v_mad_co_u64_u32 v[58:59], null, s70, s20, v[48:49]
	s_mul_i32 s70, s70, s10
	s_wait_alu 0xfffe
	s_sub_co_i32 s2, s2, s70
	s_wait_alu 0xfffe
	s_mul_i32 s2, s2, s17
	s_wait_alu 0xfffe
	v_lshl_add_u32 v58, v58, 1, s2
	s_delay_alu instid0(VALU_DEP_1) | instskip(NEXT) | instid1(VALU_DEP_1)
	v_ashrrev_i32_e32 v59, 31, v58
	v_lshlrev_b64_e32 v[58:59], 2, v[58:59]
	s_delay_alu instid0(VALU_DEP_1) | instskip(SKIP_1) | instid1(VALU_DEP_2)
	v_add_co_u32 v58, vcc_lo, s14, v58
	s_wait_alu 0xfffd
	v_add_co_ci_u32_e64 v59, null, s15, v59, vcc_lo
	global_load_b64 v[59:60], v[58:59], off
	s_wait_loadcnt 0x0
	v_cvt_f16_f32_e32 v59, v59
	v_cvt_f16_f32_e32 v58, v60
.LBB48_9:                               ;   in Loop: Header=BB48_6 Depth=1
	v_dual_mov_b32 v60, 0 :: v_dual_mov_b32 v61, 0
	v_mov_b32_e32 v62, 0
	s_and_not1_b32 vcc_lo, exec_lo, s38
	s_wait_alu 0xfffe
	s_cbranch_vccnz .LBB48_12
; %bb.10:                               ;   in Loop: Header=BB48_6 Depth=1
	s_load_b32 s2, s[30:31], 0x4
	v_dual_mov_b32 v61, 0 :: v_dual_mov_b32 v62, 0
	s_wait_kmcnt 0x0
	s_mul_u64 s[70:71], s[2:3], s[34:35]
	s_wait_alu 0xfffe
	s_add_co_i32 s70, s2, s71
	s_wait_alu 0xfffe
	s_lshr_b32 s70, s70, s9
	s_wait_alu 0xfffe
	s_cmp_ge_i32 s70, s5
	s_cbranch_scc1 .LBB48_12
; %bb.11:                               ;   in Loop: Header=BB48_6 Depth=1
	v_mad_co_u64_u32 v[61:62], null, s70, s20, v[48:49]
	s_mul_i32 s70, s70, s10
	s_wait_alu 0xfffe
	s_sub_co_i32 s2, s2, s70
	s_wait_alu 0xfffe
	s_mul_i32 s2, s2, s17
	s_wait_alu 0xfffe
	v_lshl_add_u32 v61, v61, 1, s2
	s_delay_alu instid0(VALU_DEP_1) | instskip(NEXT) | instid1(VALU_DEP_1)
	v_ashrrev_i32_e32 v62, 31, v61
	v_lshlrev_b64_e32 v[61:62], 2, v[61:62]
	s_delay_alu instid0(VALU_DEP_1) | instskip(SKIP_1) | instid1(VALU_DEP_2)
	v_add_co_u32 v61, vcc_lo, s14, v61
	s_wait_alu 0xfffd
	v_add_co_ci_u32_e64 v62, null, s15, v62, vcc_lo
	global_load_b64 v[62:63], v[61:62], off
	s_wait_loadcnt 0x0
	v_cvt_f16_f32_e32 v62, v62
	v_cvt_f16_f32_e32 v61, v63
.LBB48_12:                              ;   in Loop: Header=BB48_6 Depth=1
	v_mov_b32_e32 v63, 0
	s_and_not1_b32 vcc_lo, exec_lo, s39
	s_wait_alu 0xfffe
	s_cbranch_vccnz .LBB48_15
; %bb.13:                               ;   in Loop: Header=BB48_6 Depth=1
	s_load_b32 s2, s[30:31], 0x8
	v_dual_mov_b32 v63, 0 :: v_dual_mov_b32 v60, 0
	s_wait_kmcnt 0x0
	s_mul_u64 s[70:71], s[2:3], s[34:35]
	s_wait_alu 0xfffe
	s_add_co_i32 s70, s2, s71
	s_wait_alu 0xfffe
	s_lshr_b32 s70, s70, s9
	s_wait_alu 0xfffe
	s_cmp_ge_i32 s70, s5
	s_cbranch_scc1 .LBB48_15
; %bb.14:                               ;   in Loop: Header=BB48_6 Depth=1
	v_mad_co_u64_u32 v[63:64], null, s70, s20, v[48:49]
	s_mul_i32 s70, s70, s10
	s_wait_alu 0xfffe
	s_sub_co_i32 s2, s2, s70
	s_wait_alu 0xfffe
	s_mul_i32 s2, s2, s17
	s_wait_alu 0xfffe
	v_lshl_add_u32 v63, v63, 1, s2
	s_delay_alu instid0(VALU_DEP_1) | instskip(NEXT) | instid1(VALU_DEP_1)
	v_ashrrev_i32_e32 v64, 31, v63
	v_lshlrev_b64_e32 v[63:64], 2, v[63:64]
	s_delay_alu instid0(VALU_DEP_1) | instskip(SKIP_1) | instid1(VALU_DEP_2)
	v_add_co_u32 v63, vcc_lo, s14, v63
	s_wait_alu 0xfffd
	v_add_co_ci_u32_e64 v64, null, s15, v64, vcc_lo
	global_load_b64 v[63:64], v[63:64], off
	s_wait_loadcnt 0x0
	v_cvt_f16_f32_e32 v60, v63
	v_cvt_f16_f32_e32 v63, v64
.LBB48_15:                              ;   in Loop: Header=BB48_6 Depth=1
	v_dual_mov_b32 v64, 0 :: v_dual_mov_b32 v65, 0
	s_and_not1_b32 vcc_lo, exec_lo, s8
	s_wait_alu 0xfffe
	s_cbranch_vccnz .LBB48_5
; %bb.16:                               ;   in Loop: Header=BB48_6 Depth=1
	s_load_b32 s2, s[30:31], 0xc
	v_dual_mov_b32 v65, 0 :: v_dual_mov_b32 v64, 0
	s_wait_kmcnt 0x0
	s_mul_u64 s[70:71], s[2:3], s[34:35]
	s_wait_alu 0xfffe
	s_add_co_i32 s70, s2, s71
	s_wait_alu 0xfffe
	s_lshr_b32 s70, s70, s9
	s_wait_alu 0xfffe
	s_cmp_ge_i32 s70, s5
	s_cbranch_scc1 .LBB48_5
; %bb.17:                               ;   in Loop: Header=BB48_6 Depth=1
	v_mad_co_u64_u32 v[64:65], null, s70, s20, v[48:49]
	s_mul_i32 s70, s70, s10
	s_wait_alu 0xfffe
	s_sub_co_i32 s2, s2, s70
	s_wait_alu 0xfffe
	s_mul_i32 s2, s2, s17
	s_wait_alu 0xfffe
	v_lshl_add_u32 v64, v64, 1, s2
	s_delay_alu instid0(VALU_DEP_1) | instskip(NEXT) | instid1(VALU_DEP_1)
	v_ashrrev_i32_e32 v65, 31, v64
	v_lshlrev_b64_e32 v[64:65], 2, v[64:65]
	s_delay_alu instid0(VALU_DEP_1) | instskip(SKIP_1) | instid1(VALU_DEP_2)
	v_add_co_u32 v64, vcc_lo, s14, v64
	s_wait_alu 0xfffd
	v_add_co_ci_u32_e64 v65, null, s15, v65, vcc_lo
	global_load_b64 v[64:65], v[64:65], off
	s_wait_loadcnt 0x0
	v_cvt_f16_f32_e32 v64, v64
	v_cvt_f16_f32_e32 v65, v65
	s_branch .LBB48_5
.LBB48_18:
	s_or_b32 exec_lo, exec_lo, s69
.LBB48_19:
	s_delay_alu instid0(SALU_CYCLE_1)
	s_or_b32 exec_lo, exec_lo, s37
	s_load_b64 s[0:1], s[0:1], 0x18
	v_lshlrev_b32_e32 v16, 1, v51
	v_lshl_add_u32 v17, v53, 2, 0
	v_mul_u32_u24_e32 v18, 0x410, v54
	s_barrier_signal -1
	s_delay_alu instid0(VALU_DEP_3)
	v_and_b32_e32 v16, 0x7e0, v16
	s_barrier_wait -1
	global_inv scope:SCOPE_SE
	s_mov_b32 s2, exec_lo
	v_add3_u32 v16, v17, v18, v16
	ds_store_2addr_b32 v16, v8, v9 offset1:1
	ds_store_2addr_b32 v16, v10, v11 offset0:2 offset1:3
	ds_store_2addr_b32 v16, v12, v13 offset0:4 offset1:5
	ds_store_2addr_b32 v16, v14, v15 offset0:6 offset1:7
	ds_store_2addr_b32 v16, v0, v1 offset0:16 offset1:17
	ds_store_2addr_b32 v16, v2, v3 offset0:18 offset1:19
	ds_store_2addr_b32 v16, v4, v5 offset0:20 offset1:21
	ds_store_2addr_b32 v16, v6, v7 offset0:22 offset1:23
	s_wait_loadcnt_dscnt 0x0
	s_barrier_signal -1
	s_barrier_wait -1
	global_inv scope:SCOPE_SE
	v_cmpx_gt_u32_e32 4, v52
	s_cbranch_execz .LBB48_23
; %bb.20:
	v_or_b32_e32 v0, s36, v52
	s_cmp_gt_i32 s6, 0
	s_cselect_b32 s2, -1, 0
	s_delay_alu instid0(VALU_DEP_1)
	v_cmp_gt_i32_e32 vcc_lo, s19, v0
	s_wait_alu 0xfffe
	s_and_b32 s2, s2, vcc_lo
	s_wait_alu 0xfffe
	s_and_b32 exec_lo, exec_lo, s2
	s_cbranch_execz .LBB48_23
; %bb.21:
	v_lshlrev_b32_e32 v0, 2, v0
	s_lshl_b64 s[2:3], s[24:25], 2
	s_wait_kmcnt 0x0
	s_wait_alu 0xfffe
	s_add_nc_u64 s[0:1], s[0:1], s[2:3]
	global_load_b32 v0, v0, s[0:1]
	s_wait_loadcnt 0x0
	v_mul_hi_u32 v1, v0, s11
	s_delay_alu instid0(VALU_DEP_1) | instskip(NEXT) | instid1(VALU_DEP_1)
	v_add_nc_u32_e32 v1, v0, v1
	v_lshrrev_b32_e32 v1, s22, v1
	s_delay_alu instid0(VALU_DEP_1)
	v_cmp_gt_i32_e32 vcc_lo, s5, v1
	s_and_b32 exec_lo, exec_lo, vcc_lo
	s_cbranch_execz .LBB48_23
; %bb.22:
	v_lshlrev_b32_e32 v2, 2, v51
	v_mul_u32_u24_e32 v3, 0x410, v52
	v_mul_lo_u32 v9, v1, s23
	s_delay_alu instid0(VALU_DEP_2) | instskip(SKIP_4) | instid1(VALU_DEP_1)
	v_add3_u32 v8, 0, v2, v3
	ds_load_2addr_b32 v[2:3], v8 offset1:32
	ds_load_2addr_b32 v[4:5], v8 offset0:64 offset1:96
	ds_load_2addr_b32 v[6:7], v8 offset0:128 offset1:160
	v_sub_nc_u32_e32 v0, v0, v9
	v_mul_lo_u32 v0, v0, s18
	s_wait_dscnt 0x2
	v_add_f32_e32 v2, 0, v2
	s_delay_alu instid0(VALU_DEP_1) | instskip(SKIP_3) | instid1(VALU_DEP_1)
	v_add_f32_e32 v10, v2, v3
	ds_load_2addr_b32 v[2:3], v8 offset0:192 offset1:224
	s_wait_dscnt 0x2
	v_add_f32_e32 v4, v10, v4
	v_add_f32_e32 v4, v4, v5
	v_mul_lo_u32 v5, v1, s21
	s_wait_dscnt 0x1
	s_delay_alu instid0(VALU_DEP_2) | instskip(SKIP_1) | instid1(VALU_DEP_2)
	v_dual_mov_b32 v1, 0 :: v_dual_add_f32 v4, v4, v6
	v_add_nc_u32_e32 v6, s33, v51
	v_add_f32_e32 v4, v4, v7
	s_delay_alu instid0(VALU_DEP_2) | instskip(SKIP_1) | instid1(VALU_DEP_2)
	v_add3_u32 v0, v6, v5, v0
	s_wait_dscnt 0x0
	v_add_f32_e32 v2, v4, v2
	s_delay_alu instid0(VALU_DEP_2) | instskip(NEXT) | instid1(VALU_DEP_2)
	v_lshlrev_b64_e32 v[0:1], 2, v[0:1]
	v_add_f32_e32 v2, v2, v3
	s_delay_alu instid0(VALU_DEP_2) | instskip(SKIP_1) | instid1(VALU_DEP_3)
	v_add_co_u32 v0, vcc_lo, s26, v0
	s_wait_alu 0xfffd
	v_add_co_ci_u32_e64 v1, null, s27, v1, vcc_lo
	global_store_b32 v[0:1], v2, off
.LBB48_23:
	s_endpgm
	.section	.rodata,"a",@progbits
	.p2align	6, 0x0
	.amdhsa_kernel _ZL13mul_mat_f_idsI7__half2Li32ELi4ELi8EEvPKT_PKfPKiS7_S7_Pfiiiiiiiiiiiiii15HIP_vector_typeIjLj3EESA_
		.amdhsa_group_segment_fixed_size 0
		.amdhsa_private_segment_fixed_size 0
		.amdhsa_kernarg_size 128
		.amdhsa_user_sgpr_count 2
		.amdhsa_user_sgpr_dispatch_ptr 0
		.amdhsa_user_sgpr_queue_ptr 0
		.amdhsa_user_sgpr_kernarg_segment_ptr 1
		.amdhsa_user_sgpr_dispatch_id 0
		.amdhsa_user_sgpr_private_segment_size 0
		.amdhsa_wavefront_size32 1
		.amdhsa_uses_dynamic_stack 0
		.amdhsa_enable_private_segment 0
		.amdhsa_system_sgpr_workgroup_id_x 1
		.amdhsa_system_sgpr_workgroup_id_y 1
		.amdhsa_system_sgpr_workgroup_id_z 1
		.amdhsa_system_sgpr_workgroup_info 0
		.amdhsa_system_vgpr_workitem_id 1
		.amdhsa_next_free_vgpr 74
		.amdhsa_next_free_sgpr 74
		.amdhsa_reserve_vcc 1
		.amdhsa_float_round_mode_32 0
		.amdhsa_float_round_mode_16_64 0
		.amdhsa_float_denorm_mode_32 3
		.amdhsa_float_denorm_mode_16_64 3
		.amdhsa_fp16_overflow 0
		.amdhsa_workgroup_processor_mode 1
		.amdhsa_memory_ordered 1
		.amdhsa_forward_progress 1
		.amdhsa_inst_pref_size 32
		.amdhsa_round_robin_scheduling 0
		.amdhsa_exception_fp_ieee_invalid_op 0
		.amdhsa_exception_fp_denorm_src 0
		.amdhsa_exception_fp_ieee_div_zero 0
		.amdhsa_exception_fp_ieee_overflow 0
		.amdhsa_exception_fp_ieee_underflow 0
		.amdhsa_exception_fp_ieee_inexact 0
		.amdhsa_exception_int_div_zero 0
	.end_amdhsa_kernel
	.section	.text._ZL13mul_mat_f_idsI7__half2Li32ELi4ELi8EEvPKT_PKfPKiS7_S7_Pfiiiiiiiiiiiiii15HIP_vector_typeIjLj3EESA_,"axG",@progbits,_ZL13mul_mat_f_idsI7__half2Li32ELi4ELi8EEvPKT_PKfPKiS7_S7_Pfiiiiiiiiiiiiii15HIP_vector_typeIjLj3EESA_,comdat
.Lfunc_end48:
	.size	_ZL13mul_mat_f_idsI7__half2Li32ELi4ELi8EEvPKT_PKfPKiS7_S7_Pfiiiiiiiiiiiiii15HIP_vector_typeIjLj3EESA_, .Lfunc_end48-_ZL13mul_mat_f_idsI7__half2Li32ELi4ELi8EEvPKT_PKfPKiS7_S7_Pfiiiiiiiiiiiiii15HIP_vector_typeIjLj3EESA_
                                        ; -- End function
	.set _ZL13mul_mat_f_idsI7__half2Li32ELi4ELi8EEvPKT_PKfPKiS7_S7_Pfiiiiiiiiiiiiii15HIP_vector_typeIjLj3EESA_.num_vgpr, 74
	.set _ZL13mul_mat_f_idsI7__half2Li32ELi4ELi8EEvPKT_PKfPKiS7_S7_Pfiiiiiiiiiiiiii15HIP_vector_typeIjLj3EESA_.num_agpr, 0
	.set _ZL13mul_mat_f_idsI7__half2Li32ELi4ELi8EEvPKT_PKfPKiS7_S7_Pfiiiiiiiiiiiiii15HIP_vector_typeIjLj3EESA_.numbered_sgpr, 74
	.set _ZL13mul_mat_f_idsI7__half2Li32ELi4ELi8EEvPKT_PKfPKiS7_S7_Pfiiiiiiiiiiiiii15HIP_vector_typeIjLj3EESA_.num_named_barrier, 0
	.set _ZL13mul_mat_f_idsI7__half2Li32ELi4ELi8EEvPKT_PKfPKiS7_S7_Pfiiiiiiiiiiiiii15HIP_vector_typeIjLj3EESA_.private_seg_size, 0
	.set _ZL13mul_mat_f_idsI7__half2Li32ELi4ELi8EEvPKT_PKfPKiS7_S7_Pfiiiiiiiiiiiiii15HIP_vector_typeIjLj3EESA_.uses_vcc, 1
	.set _ZL13mul_mat_f_idsI7__half2Li32ELi4ELi8EEvPKT_PKfPKiS7_S7_Pfiiiiiiiiiiiiii15HIP_vector_typeIjLj3EESA_.uses_flat_scratch, 0
	.set _ZL13mul_mat_f_idsI7__half2Li32ELi4ELi8EEvPKT_PKfPKiS7_S7_Pfiiiiiiiiiiiiii15HIP_vector_typeIjLj3EESA_.has_dyn_sized_stack, 0
	.set _ZL13mul_mat_f_idsI7__half2Li32ELi4ELi8EEvPKT_PKfPKiS7_S7_Pfiiiiiiiiiiiiii15HIP_vector_typeIjLj3EESA_.has_recursion, 0
	.set _ZL13mul_mat_f_idsI7__half2Li32ELi4ELi8EEvPKT_PKfPKiS7_S7_Pfiiiiiiiiiiiiii15HIP_vector_typeIjLj3EESA_.has_indirect_call, 0
	.section	.AMDGPU.csdata,"",@progbits
; Kernel info:
; codeLenInByte = 4076
; TotalNumSgprs: 76
; NumVgprs: 74
; ScratchSize: 0
; MemoryBound: 0
; FloatMode: 240
; IeeeMode: 1
; LDSByteSize: 0 bytes/workgroup (compile time only)
; SGPRBlocks: 0
; VGPRBlocks: 9
; NumSGPRsForWavesPerEU: 76
; NumVGPRsForWavesPerEU: 74
; Occupancy: 16
; WaveLimiterHint : 1
; COMPUTE_PGM_RSRC2:SCRATCH_EN: 0
; COMPUTE_PGM_RSRC2:USER_SGPR: 2
; COMPUTE_PGM_RSRC2:TRAP_HANDLER: 0
; COMPUTE_PGM_RSRC2:TGID_X_EN: 1
; COMPUTE_PGM_RSRC2:TGID_Y_EN: 1
; COMPUTE_PGM_RSRC2:TGID_Z_EN: 1
; COMPUTE_PGM_RSRC2:TIDIG_COMP_CNT: 1
	.section	.text._ZL9mul_mat_fI7__half2Li32ELi4ELi8ELb1EEvPKT_PKfPKiPfiiiiiiiiiiiiiiii,"axG",@progbits,_ZL9mul_mat_fI7__half2Li32ELi4ELi8ELb1EEvPKT_PKfPKiPfiiiiiiiiiiiiiiii,comdat
	.globl	_ZL9mul_mat_fI7__half2Li32ELi4ELi8ELb1EEvPKT_PKfPKiPfiiiiiiiiiiiiiiii ; -- Begin function _ZL9mul_mat_fI7__half2Li32ELi4ELi8ELb1EEvPKT_PKfPKiPfiiiiiiiiiiiiiiii
	.p2align	8
	.type	_ZL9mul_mat_fI7__half2Li32ELi4ELi8ELb1EEvPKT_PKfPKiPfiiiiiiiiiiiiiiii,@function
_ZL9mul_mat_fI7__half2Li32ELi4ELi8ELb1EEvPKT_PKfPKiPfiiiiiiiiiiiiiiii: ; @_ZL9mul_mat_fI7__half2Li32ELi4ELi8ELb1EEvPKT_PKfPKiPfiiiiiiiiiiiiiiii
; %bb.0:
	s_load_b256 s[4:11], s[0:1], 0x20
	v_bfe_u32 v55, v0, 10, 10
	s_mov_b32 s29, 0
	v_and_b32_e32 v48, 0x3ff, v0
	s_load_b96 s[20:22], s[0:1], 0x54
	s_delay_alu instid0(VALU_DEP_2) | instskip(SKIP_2) | instid1(SALU_CYCLE_1)
	v_mul_i32_i24_e32 v57, 0xfffff704, v55
	s_wait_kmcnt 0x0
	s_add_co_i32 s2, s5, 3
	s_ashr_i32 s3, s2, 31
	s_delay_alu instid0(SALU_CYCLE_1) | instskip(NEXT) | instid1(SALU_CYCLE_1)
	s_lshr_b32 s3, s3, 30
	s_add_co_i32 s2, s2, s3
	s_delay_alu instid0(SALU_CYCLE_1) | instskip(NEXT) | instid1(SALU_CYCLE_1)
	s_ashr_i32 s2, s2, 2
	s_cvt_f32_u32 s3, s2
	s_delay_alu instid0(SALU_CYCLE_3) | instskip(SKIP_1) | instid1(TRANS32_DEP_1)
	v_rcp_iflag_f32_e32 v1, s3
	s_load_b32 s3, s[0:1], 0x64
	v_readfirstlane_b32 s12, v1
	s_mul_f32 s12, s12, 0x4f7ffffe
	s_delay_alu instid0(SALU_CYCLE_3) | instskip(SKIP_1) | instid1(SALU_CYCLE_2)
	s_cvt_u32_f32 s16, s12
	s_sub_co_i32 s12, 0, s2
	s_mul_i32 s12, s12, s16
	s_delay_alu instid0(SALU_CYCLE_1) | instskip(SKIP_4) | instid1(SALU_CYCLE_1)
	s_mul_hi_u32 s17, s16, s12
	s_load_b128 s[12:15], s[0:1], 0x44
	s_add_co_i32 s16, s16, s17
	s_wait_kmcnt 0x0
	s_mul_hi_u32 s16, s3, s16
	s_mul_i32 s17, s16, s2
	s_delay_alu instid0(SALU_CYCLE_1)
	s_sub_co_i32 s3, s3, s17
	s_add_co_i32 s17, s16, 1
	s_wait_alu 0xfffe
	s_sub_co_i32 s18, s3, s2
	s_cmp_ge_u32 s3, s2
	s_cselect_b32 s16, s17, s16
	s_cselect_b32 s3, s18, s3
	s_add_co_i32 s17, s16, 1
	s_wait_alu 0xfffe
	s_cmp_ge_u32 s3, s2
	s_cselect_b32 s18, s17, s16
	s_mov_b32 s17, s29
	s_cvt_f32_u32 s2, s18
	s_abs_i32 s23, s15
	s_and_b32 s16, ttmp7, 0xffff
	s_cvt_f32_u32 s3, s23
	s_wait_alu 0xfffe
	v_rcp_iflag_f32_e32 v1, s2
	s_movk_i32 s2, 0x900
	s_lshr_b32 s24, ttmp7, 16
	v_rcp_iflag_f32_e32 v2, s3
	s_wait_alu 0xfffe
	v_mad_u32_u24 v56, v55, s2, 0x100
	s_delay_alu instid0(TRANS32_DEP_2) | instskip(NEXT) | instid1(TRANS32_DEP_1)
	v_readfirstlane_b32 s3, v1
	v_readfirstlane_b32 s19, v2
	s_mul_f32 s3, s3, 0x4f7ffffe
	s_wait_alu 0xfffe
	s_delay_alu instid0(SALU_CYCLE_2)
	s_cvt_u32_f32 s2, s3
	s_mul_f32 s3, s19, 0x4f7ffffe
	s_sub_co_i32 s19, 0, s18
	s_wait_alu 0xfffe
	s_mul_i32 s19, s19, s2
	s_cvt_u32_f32 s25, s3
	s_mul_hi_u32 s3, s2, s19
	s_sub_co_i32 s19, 0, s23
	s_wait_alu 0xfffe
	s_add_co_i32 s28, s2, s3
	s_mul_i32 s19, s19, s25
	s_mul_u64 s[2:3], s[16:17], s[28:29]
	s_mul_hi_u32 s2, s25, s19
	s_abs_i32 s28, s24
	s_wait_alu 0xfffe
	s_add_co_i32 s30, s25, s2
	s_mov_b32 s2, exec_lo
	v_cmpx_eq_u32_e32 0, v48
; %bb.1:
	v_dual_mov_b32 v2, -1 :: v_dual_add_nc_u32 v1, v56, v57
	ds_store_b32 v1, v2
; %bb.2:
	s_wait_alu 0xfffe
	s_or_b32 exec_lo, exec_lo, s2
	s_mul_i32 s2, s3, s18
	s_add_co_i32 s17, s3, 1
	s_wait_alu 0xfffe
	s_sub_co_i32 s2, s16, s2
	v_mov_b32_e32 v3, 0
	s_wait_alu 0xfffe
	s_sub_co_i32 s19, s2, s18
	s_cmp_ge_u32 s2, s18
	s_mov_b32 s31, s29
	s_cselect_b32 s3, s17, s3
	s_cselect_b32 s2, s19, s2
	s_wait_alu 0xfffe
	s_add_co_i32 s17, s3, 1
	s_cmp_ge_u32 s2, s18
	v_cmp_gt_i32_e64 s2, s6, v48
	s_cselect_b32 s3, s17, s3
	s_wait_alu 0xfffe
	s_lshl_b32 s26, s3, 2
	s_mul_i32 s3, s3, s18
	v_add_nc_u32_e32 v1, s26, v55
	s_wait_alu 0xfffe
	s_sub_co_i32 s33, s16, s3
	s_ashr_i32 s27, s26, 31
	s_delay_alu instid0(VALU_DEP_1)
	v_cmp_gt_i32_e32 vcc_lo, s5, v1
	s_and_b32 s2, vcc_lo, s2
	s_wait_alu 0xfffe
	s_and_saveexec_b32 s3, s2
	s_cbranch_execz .LBB49_8
; %bb.3:
	s_load_b64 s[16:17], s[0:1], 0x10
	v_mul_lo_u32 v2, s11, v55
	s_ashr_i32 s19, s11, 31
	s_mov_b32 s18, s11
	v_mul_lo_u32 v1, v48, s10
	s_mul_u64 s[18:19], s[26:27], s[18:19]
	v_mov_b32_e32 v7, v48
	s_lshl_b64 s[18:19], s[18:19], 2
	s_lshl_b32 s11, s10, 5
	v_ashrrev_i32_e32 v3, 31, v2
	s_mov_b32 s10, 0
	v_add_nc_u32_e32 v4, v56, v57
	s_delay_alu instid0(VALU_DEP_2)
	v_lshlrev_b64_e32 v[5:6], 2, v[2:3]
	v_mov_b32_e32 v3, 0
	s_wait_kmcnt 0x0
	s_add_nc_u64 s[16:17], s[16:17], s[18:19]
	s_delay_alu instid0(VALU_DEP_2) | instid1(SALU_CYCLE_1)
	v_add_co_u32 v5, vcc_lo, s16, v5
	s_delay_alu instid0(VALU_DEP_1)
	v_add_co_ci_u32_e64 v6, null, s17, v6, vcc_lo
	s_branch .LBB49_5
.LBB49_4:                               ;   in Loop: Header=BB49_5 Depth=1
	s_wait_alu 0xfffe
	s_or_b32 exec_lo, exec_lo, s16
	v_add_nc_u32_e32 v7, 32, v7
	s_xor_b32 s16, vcc_lo, -1
	v_add_nc_u32_e32 v1, s11, v1
	s_delay_alu instid0(VALU_DEP_2)
	v_cmp_le_i32_e64 s2, s6, v7
	s_wait_alu 0xfffe
	s_or_b32 s2, s16, s2
	s_wait_alu 0xfffe
	s_and_b32 s2, exec_lo, s2
	s_wait_alu 0xfffe
	s_or_b32 s10, s2, s10
	s_wait_alu 0xfffe
	s_and_not1_b32 exec_lo, exec_lo, s10
	s_cbranch_execz .LBB49_7
.LBB49_5:                               ; =>This Inner Loop Header: Depth=1
	v_ashrrev_i32_e32 v2, 31, v1
	s_mov_b32 s16, exec_lo
	s_delay_alu instid0(VALU_DEP_1) | instskip(NEXT) | instid1(VALU_DEP_1)
	v_lshlrev_b64_e32 v[8:9], 2, v[1:2]
	v_add_co_u32 v8, vcc_lo, v5, v8
	s_wait_alu 0xfffd
	s_delay_alu instid0(VALU_DEP_2)
	v_add_co_ci_u32_e64 v9, null, v6, v9, vcc_lo
	global_load_b32 v2, v[8:9], off
	s_wait_loadcnt 0x0
	v_cmp_ne_u32_e32 vcc_lo, s33, v2
	v_cmpx_eq_u32_e64 s33, v2
	s_cbranch_execz .LBB49_4
; %bb.6:                                ;   in Loop: Header=BB49_5 Depth=1
	v_mov_b32_e32 v3, 1
	ds_store_b32 v4, v7
	s_branch .LBB49_4
.LBB49_7:
	s_or_b32 exec_lo, exec_lo, s10
.LBB49_8:
	s_wait_alu 0xfffe
	s_or_b32 exec_lo, exec_lo, s3
	s_clause 0x1
	s_load_b128 s[16:19], s[0:1], 0x0
	s_load_b64 s[2:3], s[0:1], 0x18
	s_add_nc_u64 s[0:1], s[0:1], 0x60
	v_or_b32_dpp v1, v3, v3 row_shl:1 row_mask:0xf bank_mask:0xf bound_ctrl:1
	s_mul_u64 s[10:11], s[28:29], s[30:31]
	s_load_b64 s[30:31], s[0:1], 0xc
	s_ashr_i32 s6, s15, 31
	s_delay_alu instid0(VALU_DEP_1) | instskip(NEXT) | instid1(VALU_DEP_1)
	v_or_b32_dpp v1, v1, v1 row_shl:2 row_mask:0xf bank_mask:0xf bound_ctrl:1
	v_or_b32_dpp v1, v1, v1 row_shl:4 row_mask:0xf bank_mask:0xf bound_ctrl:1
	s_delay_alu instid0(VALU_DEP_1) | instskip(NEXT) | instid1(VALU_DEP_1)
	v_or_b32_dpp v1, v1, v1 row_shl:8 row_mask:0xf bank_mask:0xf bound_ctrl:1
	v_mov_b32_dpp v1, v1 row_share:0 row_mask:0xf bank_mask:0xf bound_ctrl:1
	s_wait_kmcnt 0x0
	s_lshr_b32 s1, s30, 16
	s_and_b32 s0, s30, 0xffff
	s_and_b32 s15, s31, 0xffff
	s_mul_i32 s10, s1, s0
	v_permlanex16_b32 v2, v1, 0, 0 op_sel:[0,1]
	s_wait_alu 0xfffe
	s_bfe_i32 s10, s10, 0x180000
	s_wait_alu 0xfffe
	s_mul_i32 s10, s10, s15
	s_wait_alu 0xfffe
	s_add_co_i32 s10, s10, 31
	v_or_b32_e32 v2, v2, v1
	s_wait_alu 0xfffe
	s_and_not1_b32 s10, s10, 31
	s_wait_alu 0xfffe
	s_cmp_lg_u32 s10, 32
	s_cbranch_scc0 .LBB49_17
; %bb.9:
	v_bfe_u32 v0, v0, 20, 10
	s_delay_alu instid0(VALU_DEP_1) | instskip(NEXT) | instid1(VALU_DEP_1)
	v_mad_u32_u24 v0, v0, s1, v55
	v_mad_co_u64_u32 v[0:1], null, v0, s0, v[48:49]
	v_mbcnt_lo_u32_b32 v1, -1, 0
	s_mov_b32 s0, exec_lo
	s_delay_alu instid0(VALU_DEP_2) | instskip(NEXT) | instid1(VALU_DEP_1)
	v_lshrrev_b32_e32 v3, 5, v0
	v_or_b32_e32 v3, v1, v3
	s_delay_alu instid0(VALU_DEP_1)
	v_cmpx_eq_u32_e32 0, v3
; %bb.10:
	v_mov_b32_e32 v3, 0
	ds_store_b32 v3, v2
; %bb.11:
	s_wait_alu 0xfffe
	s_or_b32 exec_lo, exec_lo, s0
	v_cmp_eq_u32_e32 vcc_lo, 0, v1
	v_cmp_lt_u32_e64 s0, 31, v0
	s_mov_b32 s1, 0
	s_wait_dscnt 0x0
	s_barrier_signal -1
	s_barrier_wait -1
	s_and_b32 s10, s0, vcc_lo
	global_inv scope:SCOPE_SE
	s_wait_alu 0xfffe
	s_and_saveexec_b32 s0, s10
	s_cbranch_execz .LBB49_16
; %bb.12:
	s_mov_b32 s10, exec_lo
.LBB49_13:                              ; =>This Inner Loop Header: Depth=1
	s_wait_alu 0xfffe
	s_ctz_i32_b32 s15, s10
	s_wait_alu 0xfffe
	v_readlane_b32 s25, v2, s15
	s_lshl_b32 s15, 1, s15
	s_wait_alu 0xfffe
	s_and_not1_b32 s10, s10, s15
	s_or_b32 s1, s1, s25
	s_wait_alu 0xfffe
	s_cmp_lg_u32 s10, 0
	s_cbranch_scc1 .LBB49_13
; %bb.14:
	v_mbcnt_lo_u32_b32 v0, exec_lo, 0
	s_mov_b32 s10, exec_lo
	s_delay_alu instid0(VALU_DEP_1)
	v_cmpx_eq_u32_e32 0, v0
	s_wait_alu 0xfffe
	s_xor_b32 s10, exec_lo, s10
; %bb.15:
	v_dual_mov_b32 v0, 0 :: v_dual_mov_b32 v1, s1
	ds_or_b32 v0, v1
.LBB49_16:
	s_wait_alu 0xfffe
	s_or_b32 exec_lo, exec_lo, s0
	v_mov_b32_e32 v0, 0
	s_wait_loadcnt_dscnt 0x0
	s_barrier_signal -1
	s_barrier_wait -1
	global_inv scope:SCOPE_SE
	ds_load_b32 v2, v0
	s_wait_loadcnt_dscnt 0x0
	s_barrier_signal -1
	s_barrier_wait -1
	global_inv scope:SCOPE_SE
.LBB49_17:
	s_mov_b32 s25, 0
	s_mov_b32 s0, exec_lo
	v_cmpx_ne_u32_e32 0, v2
	s_cbranch_execz .LBB49_43
; %bb.18:
	v_lshlrev_b32_e32 v58, 5, v55
	v_and_b32_e32 v59, 15, v48
	s_mov_b32 s0, exec_lo
	s_delay_alu instid0(VALU_DEP_2) | instskip(NEXT) | instid1(VALU_DEP_1)
	v_add_nc_u32_e32 v61, v58, v48
	v_cmpx_le_i32_e64 s4, v61
	s_wait_alu 0xfffe
	s_xor_b32 s0, exec_lo, s0
; %bb.19:
	v_and_b32_e32 v59, 15, v48
                                        ; implicit-def: $vgpr61
; %bb.20:
	s_wait_alu 0xfffe
	s_or_saveexec_b32 s15, s0
	v_dual_mov_b32 v15, 0 :: v_dual_lshlrev_b32 v60, 1, v48
	s_lshl_b32 s1, ttmp9, 5
	s_delay_alu instid0(VALU_DEP_1)
	v_dual_mov_b32 v14, v15 :: v_dual_mov_b32 v13, v15
	v_dual_mov_b32 v12, v15 :: v_dual_mov_b32 v11, v15
	v_dual_mov_b32 v10, v15 :: v_dual_mov_b32 v9, v15
	v_dual_mov_b32 v8, v15 :: v_dual_mov_b32 v7, v15
	v_dual_mov_b32 v6, v15 :: v_dual_mov_b32 v5, v15
	v_dual_mov_b32 v4, v15 :: v_dual_mov_b32 v3, v15
	v_dual_mov_b32 v2, v15 :: v_dual_mov_b32 v1, v15
	v_mov_b32_e32 v0, v15
	s_wait_alu 0xfffe
	s_xor_b32 exec_lo, exec_lo, s15
	s_cbranch_execz .LBB49_40
; %bb.21:
	s_mul_i32 s0, s11, s23
	s_add_co_i32 s29, s11, 1
	s_wait_alu 0xfffe
	s_sub_co_i32 s0, s28, s0
	s_mul_i32 s28, s33, s12
	s_wait_alu 0xfffe
	s_sub_co_i32 s30, s0, s23
	s_cmp_ge_u32 s0, s23
	s_mov_b32 s10, s20
	s_cselect_b32 s11, s29, s11
	s_cselect_b32 s0, s30, s0
	s_wait_alu 0xfffe
	s_add_co_i32 s12, s11, 1
	s_cmp_ge_u32 s0, s23
	s_mul_i32 s30, s7, s1
	s_cselect_b32 s0, s12, s11
	s_ashr_i32 s11, s20, 31
	s_wait_alu 0xfffe
	s_xor_b32 s0, s0, s6
	s_ashr_i32 s29, s28, 31
	s_wait_alu 0xfffe
	s_sub_co_i32 s38, s0, s6
	s_mov_b32 s34, s21
	s_ashr_i32 s39, s38, 31
	s_mov_b32 s36, s8
	s_mul_u64 s[10:11], s[38:39], s[10:11]
	s_ashr_i32 s35, s21, 31
	s_wait_alu 0xfffe
	s_lshl_b64 s[62:63], s[10:11], 2
	s_ashr_i32 s37, s8, 31
	s_ashr_i32 s31, s30, 31
	s_lshl_b64 s[60:61], s[28:29], 2
	s_add_nc_u64 s[20:21], s[16:17], s[62:63]
	s_mul_u64 s[10:11], s[36:37], s[26:27]
	s_mul_u64 s[28:29], s[34:35], s[24:25]
	s_add_nc_u64 s[20:21], s[20:21], s[60:61]
	s_lshl_b64 s[64:65], s[30:31], 2
	s_wait_alu 0xfffe
	s_lshl_b64 s[30:31], s[10:11], 3
	s_add_nc_u64 s[10:11], s[20:21], s[64:65]
	s_lshl_b64 s[20:21], s[28:29], 2
	s_cmp_lt_i32 s26, s5
	v_mul_u32_u24_e32 v0, 0x90, v59
	s_cselect_b32 s12, -1, 0
	s_or_b32 s0, s26, 1
	v_dual_mov_b32 v64, 0 :: v_dual_and_b32 v1, 0x3f0, v48
	s_wait_alu 0xfffe
	s_cmp_lt_i32 s0, s5
	s_add_nc_u64 s[18:19], s[18:19], s[20:21]
	s_cselect_b32 s20, -1, 0
	s_or_b32 s0, s26, 2
	s_add_nc_u64 s[62:63], s[62:63], s[64:65]
	v_add3_u32 v63, v56, v0, v1
	v_dual_mov_b32 v65, 0x100 :: v_dual_lshlrev_b32 v0, 2, v61
	s_wait_alu 0xfffe
	s_cmp_lt_i32 s0, s5
	s_add_nc_u64 s[60:61], s[62:63], s[60:61]
	s_cselect_b32 s21, -1, 0
	s_or_b32 s0, s26, 3
	s_add_nc_u64 s[16:17], s[16:17], s[60:61]
	s_lshl_b32 s23, s8, 2
	s_wait_alu 0xfffe
	s_cmp_lt_i32 s0, s5
	v_add_co_u32 v50, s0, s16, v0
	v_lshl_add_u32 v62, v48, 2, v56
	v_lshl_add_u32 v49, v55, 6, v60
	s_wait_alu 0xf1ff
	v_add_co_ci_u32_e64 v51, null, s17, 0, s0
	v_dual_mov_b32 v0, 0 :: v_dual_mov_b32 v1, v64
	v_dual_mov_b32 v2, v64 :: v_dual_mov_b32 v3, v64
	;; [unrolled: 1-line block ×8, first 2 shown]
	s_cselect_b32 s28, -1, 0
	s_ashr_i32 s67, s7, 31
	s_mov_b32 s66, s7
	s_add_nc_u64 s[18:19], s[18:19], s[30:31]
	s_add_co_i32 s29, s7, s7
	s_mul_i32 s30, s7, 3
	s_lshl_b32 s31, s7, 2
	s_mul_i32 s33, s7, 5
	s_mul_i32 s34, s7, 6
	;; [unrolled: 1-line block ×3, first 2 shown]
	s_lshl_b32 s36, s7, 3
	s_mul_i32 s37, s7, 9
	s_mul_i32 s38, s7, 10
	;; [unrolled: 1-line block ×7, first 2 shown]
	s_lshl_b32 s44, s7, 4
	s_mul_i32 s45, s7, 17
	s_mul_i32 s46, s7, 18
	;; [unrolled: 1-line block ×15, first 2 shown]
	s_lshl_b64 s[6:7], s[66:67], 2
	s_mul_i32 s16, s8, 6
	s_lshl_b32 s17, s8, 1
	s_mov_b32 s8, 0
	s_branch .LBB49_24
.LBB49_22:                              ;   in Loop: Header=BB49_24 Depth=1
	v_mul_lo_u32 v52, v52, s13
	s_delay_alu instid0(VALU_DEP_1) | instskip(NEXT) | instid1(VALU_DEP_1)
	v_add3_u32 v52, v52, s16, v49
	v_ashrrev_i32_e32 v53, 31, v52
	s_delay_alu instid0(VALU_DEP_1) | instskip(NEXT) | instid1(VALU_DEP_1)
	v_lshlrev_b64_e32 v[52:53], 2, v[52:53]
	v_add_co_u32 v52, vcc_lo, s18, v52
	s_wait_alu 0xfffd
	s_delay_alu instid0(VALU_DEP_2)
	v_add_co_ci_u32_e64 v53, null, s19, v53, vcc_lo
	global_load_b64 v[52:53], v[52:53], off
.LBB49_23:                              ;   in Loop: Header=BB49_24 Depth=1
	s_wait_loadcnt 0x0
	s_delay_alu instid0(VALU_DEP_1) | instskip(NEXT) | instid1(VALU_DEP_2)
	v_cvt_f16_f32_e32 v52, v52
	v_cvt_f16_f32_e32 v53, v53
	v_add_nc_u32_e32 v54, 0x400, v62
	v_add_nc_u32_e32 v66, 0x600, v62
	ds_store_2addr_b32 v62, v64, v64 offset0:196 offset1:232
	v_add_nc_u32_e32 v61, 0x100, v61
	v_pack_b32_f16 v52, v52, v53
	ds_store_2addr_b32 v54, v64, v64 offset0:12 offset1:48
	ds_store_2addr_b32 v54, v64, v64 offset0:84 offset1:120
	;; [unrolled: 1-line block ×5, first 2 shown]
	ds_store_b32 v62, v64 offset:2224
	ds_load_b128 v[66:69], v63 offset:64
	ds_load_b128 v[70:73], v63 offset:96
	;; [unrolled: 1-line block ×4, first 2 shown]
	v_add_co_u32 v50, s0, 0x400, v50
	v_cmp_le_i32_e32 vcc_lo, s4, v61
	v_add_nc_u32_e32 v49, 0x200, v49
	s_wait_alu 0xf1ff
	v_add_co_ci_u32_e64 v51, null, 0, v51, s0
	s_or_b32 s8, vcc_lo, s8
	s_wait_dscnt 0x3
	v_wmma_f32_16x16x16_f16 v[8:15], v[32:35], v[66:69], v[8:15]
	v_wmma_f32_16x16x16_f16 v[0:7], v[44:47], v[66:69], v[0:7]
	s_wait_dscnt 0x2
	s_delay_alu instid0(VALU_DEP_2) | instskip(NEXT) | instid1(VALU_DEP_2)
	v_wmma_f32_16x16x16_f16 v[8:15], v[28:31], v[70:73], v[8:15]
	v_wmma_f32_16x16x16_f16 v[0:7], v[40:43], v[70:73], v[0:7]
	s_wait_dscnt 0x1
	s_delay_alu instid0(VALU_DEP_2) | instskip(NEXT) | instid1(VALU_DEP_2)
	;; [unrolled: 4-line block ×3, first 2 shown]
	v_wmma_f32_16x16x16_f16 v[8:15], v[16:19], v[78:81], v[8:15]
	v_wmma_f32_16x16x16_f16 v[0:7], v[20:23], v[78:81], v[0:7]
	s_and_not1_b32 exec_lo, exec_lo, s8
	s_cbranch_execz .LBB49_39
.LBB49_24:                              ; =>This Inner Loop Header: Depth=1
	v_add_nc_u32_e32 v22, s31, v61
	v_add_nc_u32_e32 v16, s29, v61
	s_wait_alu 0xfffe
	v_add_co_u32 v20, vcc_lo, v50, s6
	v_add_nc_u32_e32 v18, s30, v61
	s_wait_alu 0xfffd
	v_add_co_ci_u32_e64 v21, null, s7, v51, vcc_lo
	v_ashrrev_i32_e32 v23, 31, v22
	v_ashrrev_i32_e32 v17, 31, v16
	v_add_nc_u32_e32 v24, s33, v61
	v_ashrrev_i32_e32 v19, 31, v18
	s_clause 0x1
	global_load_b32 v38, v[50:51], off
	global_load_b32 v39, v[20:21], off
	v_lshlrev_b64_e32 v[20:21], 2, v[22:23]
	v_add_nc_u32_e32 v22, s34, v61
	v_lshlrev_b64_e32 v[16:17], 2, v[16:17]
	v_add_nc_u32_e32 v26, s35, v61
	v_ashrrev_i32_e32 v25, 31, v24
	v_lshlrev_b64_e32 v[18:19], 2, v[18:19]
	v_add_nc_u32_e32 v28, s36, v61
	v_ashrrev_i32_e32 v23, 31, v22
	v_add_nc_u32_e32 v30, s37, v61
	v_ashrrev_i32_e32 v27, 31, v26
	v_add_co_u32 v16, vcc_lo, s10, v16
	v_lshlrev_b64_e32 v[24:25], 2, v[24:25]
	v_ashrrev_i32_e32 v29, 31, v28
	s_wait_alu 0xfffd
	v_add_co_ci_u32_e64 v17, null, s11, v17, vcc_lo
	v_add_co_u32 v18, vcc_lo, s10, v18
	v_lshlrev_b64_e32 v[22:23], 2, v[22:23]
	v_ashrrev_i32_e32 v31, 31, v30
	s_wait_alu 0xfffd
	v_add_co_ci_u32_e64 v19, null, s11, v19, vcc_lo
	v_add_co_u32 v20, vcc_lo, s10, v20
	v_lshlrev_b64_e32 v[26:27], 2, v[26:27]
	s_wait_alu 0xfffd
	v_add_co_ci_u32_e64 v21, null, s11, v21, vcc_lo
	v_add_co_u32 v24, vcc_lo, s10, v24
	v_lshlrev_b64_e32 v[28:29], 2, v[28:29]
	;; [unrolled: 4-line block ×3, first 2 shown]
	s_wait_alu 0xfffd
	v_add_co_ci_u32_e64 v23, null, s11, v23, vcc_lo
	v_add_co_u32 v26, vcc_lo, s10, v26
	v_add_nc_u32_e32 v32, s38, v61
	s_wait_alu 0xfffd
	v_add_co_ci_u32_e64 v27, null, s11, v27, vcc_lo
	v_add_co_u32 v28, vcc_lo, s10, v28
	v_add_nc_u32_e32 v34, s39, v61
	;; [unrolled: 4-line block ×3, first 2 shown]
	v_ashrrev_i32_e32 v33, 31, v32
	s_wait_alu 0xfffd
	v_add_co_ci_u32_e64 v31, null, s11, v31, vcc_lo
	s_clause 0x7
	global_load_b32 v40, v[16:17], off
	global_load_b32 v41, v[18:19], off
	global_load_b32 v42, v[20:21], off
	global_load_b32 v43, v[24:25], off
	global_load_b32 v44, v[22:23], off
	global_load_b32 v45, v[26:27], off
	global_load_b32 v46, v[28:29], off
	global_load_b32 v47, v[30:31], off
	v_add_nc_u32_e32 v18, s41, v61
	v_ashrrev_i32_e32 v35, 31, v34
	v_add_nc_u32_e32 v24, s42, v61
	v_ashrrev_i32_e32 v37, 31, v36
	v_lshlrev_b64_e32 v[32:33], 2, v[32:33]
	v_add_nc_u32_e32 v26, s43, v61
	v_ashrrev_i32_e32 v19, 31, v18
	v_lshlrev_b64_e32 v[16:17], 2, v[34:35]
	;; [unrolled: 3-line block ×3, first 2 shown]
	v_add_nc_u32_e32 v30, s45, v61
	v_ashrrev_i32_e32 v27, 31, v26
	v_add_co_u32 v20, vcc_lo, s10, v32
	v_lshlrev_b64_e32 v[18:19], 2, v[18:19]
	v_ashrrev_i32_e32 v29, 31, v28
	s_wait_alu 0xfffd
	v_add_co_ci_u32_e64 v21, null, s11, v33, vcc_lo
	v_add_co_u32 v16, vcc_lo, s10, v16
	v_lshlrev_b64_e32 v[24:25], 2, v[24:25]
	v_ashrrev_i32_e32 v31, 31, v30
	s_wait_alu 0xfffd
	v_add_co_ci_u32_e64 v17, null, s11, v17, vcc_lo
	v_add_co_u32 v22, vcc_lo, s10, v22
	v_lshlrev_b64_e32 v[26:27], 2, v[26:27]
	s_wait_alu 0xfffd
	v_add_co_ci_u32_e64 v23, null, s11, v23, vcc_lo
	v_add_co_u32 v18, vcc_lo, s10, v18
	v_lshlrev_b64_e32 v[28:29], 2, v[28:29]
	;; [unrolled: 4-line block ×3, first 2 shown]
	s_wait_alu 0xfffd
	v_add_co_ci_u32_e64 v25, null, s11, v25, vcc_lo
	v_add_co_u32 v26, vcc_lo, s10, v26
	v_add_nc_u32_e32 v32, s46, v61
	s_wait_alu 0xfffd
	v_add_co_ci_u32_e64 v27, null, s11, v27, vcc_lo
	v_add_co_u32 v28, vcc_lo, s10, v28
	v_add_nc_u32_e32 v34, s47, v61
	;; [unrolled: 4-line block ×3, first 2 shown]
	v_ashrrev_i32_e32 v33, 31, v32
	s_wait_alu 0xfffd
	v_add_co_ci_u32_e64 v31, null, s11, v31, vcc_lo
	s_clause 0x7
	global_load_b32 v52, v[20:21], off
	global_load_b32 v53, v[16:17], off
	;; [unrolled: 1-line block ×8, first 2 shown]
	v_add_nc_u32_e32 v18, s49, v61
	v_ashrrev_i32_e32 v35, 31, v34
	v_add_nc_u32_e32 v24, s50, v61
	v_ashrrev_i32_e32 v37, 31, v36
	v_lshlrev_b64_e32 v[32:33], 2, v[32:33]
	v_add_nc_u32_e32 v26, s51, v61
	v_ashrrev_i32_e32 v19, 31, v18
	v_lshlrev_b64_e32 v[16:17], 2, v[34:35]
	;; [unrolled: 3-line block ×3, first 2 shown]
	v_add_nc_u32_e32 v30, s53, v61
	v_ashrrev_i32_e32 v27, 31, v26
	v_add_co_u32 v20, vcc_lo, s10, v32
	v_lshlrev_b64_e32 v[18:19], 2, v[18:19]
	v_ashrrev_i32_e32 v29, 31, v28
	s_wait_alu 0xfffd
	v_add_co_ci_u32_e64 v21, null, s11, v33, vcc_lo
	v_add_co_u32 v16, vcc_lo, s10, v16
	v_lshlrev_b64_e32 v[24:25], 2, v[24:25]
	v_ashrrev_i32_e32 v31, 31, v30
	s_wait_alu 0xfffd
	v_add_co_ci_u32_e64 v17, null, s11, v17, vcc_lo
	v_add_co_u32 v22, vcc_lo, s10, v22
	v_lshlrev_b64_e32 v[26:27], 2, v[26:27]
	s_wait_alu 0xfffd
	v_add_co_ci_u32_e64 v23, null, s11, v23, vcc_lo
	v_add_co_u32 v18, vcc_lo, s10, v18
	v_lshlrev_b64_e32 v[28:29], 2, v[28:29]
	;; [unrolled: 4-line block ×3, first 2 shown]
	s_wait_alu 0xfffd
	v_add_co_ci_u32_e64 v25, null, s11, v25, vcc_lo
	v_add_co_u32 v26, vcc_lo, s10, v26
	v_add_nc_u32_e32 v32, s54, v61
	s_wait_alu 0xfffd
	v_add_co_ci_u32_e64 v27, null, s11, v27, vcc_lo
	v_add_co_u32 v28, vcc_lo, s10, v28
	v_add_nc_u32_e32 v34, s55, v61
	;; [unrolled: 4-line block ×3, first 2 shown]
	v_ashrrev_i32_e32 v33, 31, v32
	s_wait_alu 0xfffd
	v_add_co_ci_u32_e64 v31, null, s11, v31, vcc_lo
	s_clause 0x7
	global_load_b32 v71, v[20:21], off
	global_load_b32 v72, v[16:17], off
	;; [unrolled: 1-line block ×8, first 2 shown]
	v_add_nc_u32_e32 v18, s57, v61
	v_ashrrev_i32_e32 v35, 31, v34
	v_add_nc_u32_e32 v24, s58, v61
	v_ashrrev_i32_e32 v37, 31, v36
	v_lshlrev_b64_e32 v[32:33], 2, v[32:33]
	v_add_nc_u32_e32 v26, s59, v61
	v_ashrrev_i32_e32 v19, 31, v18
	v_lshlrev_b64_e32 v[16:17], 2, v[34:35]
	v_ashrrev_i32_e32 v25, 31, v24
	v_lshlrev_b64_e32 v[22:23], 2, v[36:37]
	v_ashrrev_i32_e32 v27, 31, v26
	v_add_co_u32 v20, vcc_lo, s10, v32
	v_lshlrev_b64_e32 v[18:19], 2, v[18:19]
	s_wait_alu 0xfffd
	v_add_co_ci_u32_e64 v21, null, s11, v33, vcc_lo
	v_add_co_u32 v16, vcc_lo, s10, v16
	v_lshlrev_b64_e32 v[24:25], 2, v[24:25]
	s_wait_alu 0xfffd
	v_add_co_ci_u32_e64 v17, null, s11, v17, vcc_lo
	;; [unrolled: 4-line block ×3, first 2 shown]
	v_add_co_u32 v18, vcc_lo, s10, v18
	s_wait_alu 0xfffd
	v_add_co_ci_u32_e64 v19, null, s11, v19, vcc_lo
	v_add_co_u32 v24, vcc_lo, s10, v24
	s_wait_alu 0xfffd
	v_add_co_ci_u32_e64 v25, null, s11, v25, vcc_lo
	;; [unrolled: 3-line block ×3, first 2 shown]
	s_clause 0x5
	global_load_b32 v20, v[20:21], off
	global_load_b32 v21, v[16:17], off
	;; [unrolled: 1-line block ×6, first 2 shown]
	s_and_not1_b32 vcc_lo, exec_lo, s12
	s_wait_loadcnt 0x1f
	ds_store_b32 v62, v38 offset:64
	s_wait_loadcnt 0x1e
	ds_store_b32 v62, v39 offset:208
	;; [unrolled: 2-line block ×16, first 2 shown]
	ds_load_b128 v[32:35], v63 offset:64
	ds_load_b128 v[28:31], v63 offset:96
	;; [unrolled: 1-line block ×4, first 2 shown]
	s_wait_loadcnt 0xf
	ds_store_b32 v62, v69 offset:64
	s_wait_loadcnt 0xe
	ds_store_b32 v62, v70 offset:208
	;; [unrolled: 2-line block ×16, first 2 shown]
	ds_load_b128 v[44:47], v63 offset:64
	ds_load_b128 v[40:43], v63 offset:96
	;; [unrolled: 1-line block ×4, first 2 shown]
	v_dual_mov_b32 v52, 0 :: v_dual_mov_b32 v53, 0
	s_wait_alu 0xfffe
	s_cbranch_vccnz .LBB49_28
; %bb.25:                               ;   in Loop: Header=BB49_24 Depth=1
	ds_load_b32 v52, v65
	s_wait_dscnt 0x0
	v_cmp_gt_i32_e32 vcc_lo, 0, v52
	s_cbranch_vccnz .LBB49_27
; %bb.26:                               ;   in Loop: Header=BB49_24 Depth=1
	v_mad_co_u64_u32 v[52:53], null, v52, s13, v[49:50]
	s_delay_alu instid0(VALU_DEP_1) | instskip(NEXT) | instid1(VALU_DEP_1)
	v_ashrrev_i32_e32 v53, 31, v52
	v_lshlrev_b64_e32 v[52:53], 2, v[52:53]
	s_delay_alu instid0(VALU_DEP_1) | instskip(SKIP_1) | instid1(VALU_DEP_2)
	v_add_co_u32 v52, vcc_lo, s18, v52
	s_wait_alu 0xfffd
	v_add_co_ci_u32_e64 v53, null, s19, v53, vcc_lo
	global_load_b64 v[52:53], v[52:53], off
	s_branch .LBB49_28
.LBB49_27:                              ;   in Loop: Header=BB49_24 Depth=1
	v_dual_mov_b32 v52, 0 :: v_dual_mov_b32 v53, 0
.LBB49_28:                              ;   in Loop: Header=BB49_24 Depth=1
	s_wait_loadcnt 0x0
	s_delay_alu instid0(VALU_DEP_1) | instskip(NEXT) | instid1(VALU_DEP_2)
	v_cvt_f16_f32_e32 v52, v52
	v_cvt_f16_f32_e32 v53, v53
	v_mov_b32_e32 v54, 0
	s_and_not1_b32 vcc_lo, exec_lo, s20
	s_delay_alu instid0(VALU_DEP_2)
	v_pack_b32_f16 v66, v52, v53
	v_dual_mov_b32 v52, 0 :: v_dual_mov_b32 v53, 0
	ds_store_b32 v62, v66 offset:64
	s_wait_alu 0xfffe
	s_cbranch_vccnz .LBB49_32
; %bb.29:                               ;   in Loop: Header=BB49_24 Depth=1
	ds_load_b32 v53, v65 offset:4
	s_wait_dscnt 0x0
	v_cmp_gt_i32_e32 vcc_lo, 0, v53
	s_cbranch_vccnz .LBB49_31
; %bb.30:                               ;   in Loop: Header=BB49_24 Depth=1
	v_mul_lo_u32 v53, v53, s13
	s_delay_alu instid0(VALU_DEP_1) | instskip(NEXT) | instid1(VALU_DEP_1)
	v_add3_u32 v53, v53, s17, v49
	v_ashrrev_i32_e32 v54, 31, v53
	s_delay_alu instid0(VALU_DEP_1) | instskip(NEXT) | instid1(VALU_DEP_1)
	v_lshlrev_b64_e32 v[53:54], 2, v[53:54]
	v_add_co_u32 v53, vcc_lo, s18, v53
	s_wait_alu 0xfffd
	s_delay_alu instid0(VALU_DEP_2)
	v_add_co_ci_u32_e64 v54, null, s19, v54, vcc_lo
	global_load_b64 v[53:54], v[53:54], off
	s_branch .LBB49_32
.LBB49_31:                              ;   in Loop: Header=BB49_24 Depth=1
	v_dual_mov_b32 v53, 0 :: v_dual_mov_b32 v54, 0
.LBB49_32:                              ;   in Loop: Header=BB49_24 Depth=1
	s_wait_loadcnt 0x0
	s_delay_alu instid0(VALU_DEP_1) | instskip(NEXT) | instid1(VALU_DEP_2)
	v_cvt_f16_f32_e32 v53, v53
	v_cvt_f16_f32_e32 v54, v54
	s_and_not1_b32 vcc_lo, exec_lo, s21
	s_delay_alu instid0(VALU_DEP_1)
	v_pack_b32_f16 v54, v53, v54
	v_mov_b32_e32 v53, 0
	ds_store_b32 v62, v54 offset:208
	s_wait_alu 0xfffe
	s_cbranch_vccnz .LBB49_36
; %bb.33:                               ;   in Loop: Header=BB49_24 Depth=1
	ds_load_b32 v52, v65 offset:8
	s_wait_dscnt 0x0
	v_cmp_gt_i32_e32 vcc_lo, 0, v52
	s_cbranch_vccnz .LBB49_35
; %bb.34:                               ;   in Loop: Header=BB49_24 Depth=1
	v_mul_lo_u32 v52, v52, s13
	s_delay_alu instid0(VALU_DEP_1) | instskip(NEXT) | instid1(VALU_DEP_1)
	v_add3_u32 v52, v52, s23, v49
	v_ashrrev_i32_e32 v53, 31, v52
	s_delay_alu instid0(VALU_DEP_1) | instskip(NEXT) | instid1(VALU_DEP_1)
	v_lshlrev_b64_e32 v[52:53], 2, v[52:53]
	v_add_co_u32 v52, vcc_lo, s18, v52
	s_wait_alu 0xfffd
	s_delay_alu instid0(VALU_DEP_2)
	v_add_co_ci_u32_e64 v53, null, s19, v53, vcc_lo
	global_load_b64 v[52:53], v[52:53], off
	s_branch .LBB49_36
.LBB49_35:                              ;   in Loop: Header=BB49_24 Depth=1
	v_dual_mov_b32 v52, 0 :: v_dual_mov_b32 v53, 0
.LBB49_36:                              ;   in Loop: Header=BB49_24 Depth=1
	s_wait_loadcnt 0x0
	s_delay_alu instid0(VALU_DEP_1) | instskip(NEXT) | instid1(VALU_DEP_2)
	v_cvt_f16_f32_e32 v52, v52
	v_cvt_f16_f32_e32 v53, v53
	s_and_not1_b32 vcc_lo, exec_lo, s28
	s_delay_alu instid0(VALU_DEP_1)
	v_pack_b32_f16 v54, v52, v53
	v_dual_mov_b32 v52, 0 :: v_dual_mov_b32 v53, 0
	ds_store_b32 v62, v54 offset:352
	s_wait_alu 0xfffe
	s_cbranch_vccnz .LBB49_23
; %bb.37:                               ;   in Loop: Header=BB49_24 Depth=1
	ds_load_b32 v52, v65 offset:12
	s_wait_dscnt 0x0
	v_cmp_gt_i32_e32 vcc_lo, 0, v52
	s_cbranch_vccz .LBB49_22
; %bb.38:                               ;   in Loop: Header=BB49_24 Depth=1
	v_dual_mov_b32 v52, 0 :: v_dual_mov_b32 v53, 0
	s_branch .LBB49_23
.LBB49_39:
	s_or_b32 exec_lo, exec_lo, s8
.LBB49_40:
	s_delay_alu instid0(SALU_CYCLE_1)
	s_or_b32 exec_lo, exec_lo, s15
	v_lshl_add_u32 v16, v58, 2, 0x100
	v_mul_u32_u24_e32 v17, 0x410, v59
	v_and_b32_e32 v18, 0x7e0, v60
	v_cmp_gt_u32_e32 vcc_lo, 4, v55
	s_wait_loadcnt_dscnt 0x0
	s_barrier_signal -1
	s_barrier_wait -1
	v_add3_u32 v16, v16, v17, v18
	global_inv scope:SCOPE_SE
	ds_store_2addr_b32 v16, v8, v9 offset0:16 offset1:17
	ds_store_2addr_b32 v16, v10, v11 offset0:18 offset1:19
	;; [unrolled: 1-line block ×8, first 2 shown]
	s_wait_loadcnt_dscnt 0x0
	s_barrier_signal -1
	s_barrier_wait -1
	global_inv scope:SCOPE_SE
	s_and_b32 exec_lo, exec_lo, vcc_lo
	s_cbranch_execz .LBB49_43
; %bb.41:
	v_add_nc_u32_e32 v0, v56, v57
	v_or_b32_e32 v1, s26, v55
	ds_load_b32 v0, v0
	v_cmp_gt_i32_e64 s0, s5, v1
	s_wait_dscnt 0x0
	v_cmp_lt_i32_e32 vcc_lo, -1, v0
	s_and_b32 s0, vcc_lo, s0
	s_wait_alu 0xfffe
	s_and_b32 exec_lo, exec_lo, s0
	s_cbranch_execz .LBB49_43
; %bb.42:
	v_lshlrev_b32_e32 v1, 2, v48
	v_mul_u32_u24_e32 v2, 0x410, v55
	v_mul_lo_u32 v0, v0, s14
	s_ashr_i32 s5, s22, 31
	s_mov_b32 s4, s22
	s_ashr_i32 s7, s9, 31
	v_add3_u32 v7, 0x100, v1, v2
	s_mov_b32 s6, s9
	ds_load_2addr_b32 v[1:2], v7 offset0:16 offset1:48
	ds_load_2addr_b32 v[3:4], v7 offset0:80 offset1:112
	;; [unrolled: 1-line block ×3, first 2 shown]
	s_wait_dscnt 0x2
	v_add_f32_e32 v1, 0, v1
	s_delay_alu instid0(VALU_DEP_1) | instskip(SKIP_4) | instid1(VALU_DEP_1)
	v_add_f32_e32 v8, v1, v2
	ds_load_2addr_b32 v[1:2], v7 offset0:208 offset1:240
	v_mul_lo_u32 v7, s9, v55
	s_wait_dscnt 0x2
	v_add_f32_e32 v3, v8, v3
	v_dual_add_f32 v3, v3, v4 :: v_dual_mov_b32 v4, 0
	s_wait_dscnt 0x1
	s_delay_alu instid0(VALU_DEP_1)
	v_add_f32_e32 v3, v3, v5
	v_add_nc_u32_e32 v5, s1, v48
	s_wait_alu 0xfffe
	s_mul_u64 s[0:1], s[4:5], s[24:25]
	s_mul_u64 s[4:5], s[26:27], s[6:7]
	s_wait_alu 0xfffe
	s_lshl_b64 s[0:1], s[0:1], 2
	v_add_f32_e32 v6, v3, v6
	v_add3_u32 v3, v5, v7, v0
	s_lshl_b64 s[4:5], s[4:5], 2
	s_wait_alu 0xfffe
	s_add_nc_u64 s[0:1], s[2:3], s[0:1]
	s_wait_dscnt 0x0
	v_add_f32_e32 v5, v6, v1
	v_lshlrev_b64_e32 v[0:1], 2, v[3:4]
	s_wait_alu 0xfffe
	s_add_nc_u64 s[0:1], s[0:1], s[4:5]
	s_delay_alu instid0(VALU_DEP_2) | instskip(SKIP_1) | instid1(VALU_DEP_2)
	v_add_f32_e32 v2, v5, v2
	s_wait_alu 0xfffe
	v_add_co_u32 v0, vcc_lo, s0, v0
	s_wait_alu 0xfffd
	v_add_co_ci_u32_e64 v1, null, s1, v1, vcc_lo
	global_store_b32 v[0:1], v2, off
.LBB49_43:
	s_endpgm
	.section	.rodata,"a",@progbits
	.p2align	6, 0x0
	.amdhsa_kernel _ZL9mul_mat_fI7__half2Li32ELi4ELi8ELb1EEvPKT_PKfPKiPfiiiiiiiiiiiiiiii
		.amdhsa_group_segment_fixed_size 256
		.amdhsa_private_segment_fixed_size 0
		.amdhsa_kernarg_size 352
		.amdhsa_user_sgpr_count 2
		.amdhsa_user_sgpr_dispatch_ptr 0
		.amdhsa_user_sgpr_queue_ptr 0
		.amdhsa_user_sgpr_kernarg_segment_ptr 1
		.amdhsa_user_sgpr_dispatch_id 0
		.amdhsa_user_sgpr_private_segment_size 0
		.amdhsa_wavefront_size32 1
		.amdhsa_uses_dynamic_stack 0
		.amdhsa_enable_private_segment 0
		.amdhsa_system_sgpr_workgroup_id_x 1
		.amdhsa_system_sgpr_workgroup_id_y 1
		.amdhsa_system_sgpr_workgroup_id_z 1
		.amdhsa_system_sgpr_workgroup_info 0
		.amdhsa_system_vgpr_workitem_id 2
		.amdhsa_next_free_vgpr 82
		.amdhsa_next_free_sgpr 68
		.amdhsa_reserve_vcc 1
		.amdhsa_float_round_mode_32 0
		.amdhsa_float_round_mode_16_64 0
		.amdhsa_float_denorm_mode_32 3
		.amdhsa_float_denorm_mode_16_64 3
		.amdhsa_fp16_overflow 0
		.amdhsa_workgroup_processor_mode 1
		.amdhsa_memory_ordered 1
		.amdhsa_forward_progress 1
		.amdhsa_inst_pref_size 40
		.amdhsa_round_robin_scheduling 0
		.amdhsa_exception_fp_ieee_invalid_op 0
		.amdhsa_exception_fp_denorm_src 0
		.amdhsa_exception_fp_ieee_div_zero 0
		.amdhsa_exception_fp_ieee_overflow 0
		.amdhsa_exception_fp_ieee_underflow 0
		.amdhsa_exception_fp_ieee_inexact 0
		.amdhsa_exception_int_div_zero 0
	.end_amdhsa_kernel
	.section	.text._ZL9mul_mat_fI7__half2Li32ELi4ELi8ELb1EEvPKT_PKfPKiPfiiiiiiiiiiiiiiii,"axG",@progbits,_ZL9mul_mat_fI7__half2Li32ELi4ELi8ELb1EEvPKT_PKfPKiPfiiiiiiiiiiiiiiii,comdat
.Lfunc_end49:
	.size	_ZL9mul_mat_fI7__half2Li32ELi4ELi8ELb1EEvPKT_PKfPKiPfiiiiiiiiiiiiiiii, .Lfunc_end49-_ZL9mul_mat_fI7__half2Li32ELi4ELi8ELb1EEvPKT_PKfPKiPfiiiiiiiiiiiiiiii
                                        ; -- End function
	.set _ZL9mul_mat_fI7__half2Li32ELi4ELi8ELb1EEvPKT_PKfPKiPfiiiiiiiiiiiiiiii.num_vgpr, 82
	.set _ZL9mul_mat_fI7__half2Li32ELi4ELi8ELb1EEvPKT_PKfPKiPfiiiiiiiiiiiiiiii.num_agpr, 0
	.set _ZL9mul_mat_fI7__half2Li32ELi4ELi8ELb1EEvPKT_PKfPKiPfiiiiiiiiiiiiiiii.numbered_sgpr, 68
	.set _ZL9mul_mat_fI7__half2Li32ELi4ELi8ELb1EEvPKT_PKfPKiPfiiiiiiiiiiiiiiii.num_named_barrier, 0
	.set _ZL9mul_mat_fI7__half2Li32ELi4ELi8ELb1EEvPKT_PKfPKiPfiiiiiiiiiiiiiiii.private_seg_size, 0
	.set _ZL9mul_mat_fI7__half2Li32ELi4ELi8ELb1EEvPKT_PKfPKiPfiiiiiiiiiiiiiiii.uses_vcc, 1
	.set _ZL9mul_mat_fI7__half2Li32ELi4ELi8ELb1EEvPKT_PKfPKiPfiiiiiiiiiiiiiiii.uses_flat_scratch, 0
	.set _ZL9mul_mat_fI7__half2Li32ELi4ELi8ELb1EEvPKT_PKfPKiPfiiiiiiiiiiiiiiii.has_dyn_sized_stack, 0
	.set _ZL9mul_mat_fI7__half2Li32ELi4ELi8ELb1EEvPKT_PKfPKiPfiiiiiiiiiiiiiiii.has_recursion, 0
	.set _ZL9mul_mat_fI7__half2Li32ELi4ELi8ELb1EEvPKT_PKfPKiPfiiiiiiiiiiiiiiii.has_indirect_call, 0
	.section	.AMDGPU.csdata,"",@progbits
; Kernel info:
; codeLenInByte = 5112
; TotalNumSgprs: 70
; NumVgprs: 82
; ScratchSize: 0
; MemoryBound: 0
; FloatMode: 240
; IeeeMode: 1
; LDSByteSize: 256 bytes/workgroup (compile time only)
; SGPRBlocks: 0
; VGPRBlocks: 10
; NumSGPRsForWavesPerEU: 70
; NumVGPRsForWavesPerEU: 82
; Occupancy: 16
; WaveLimiterHint : 0
; COMPUTE_PGM_RSRC2:SCRATCH_EN: 0
; COMPUTE_PGM_RSRC2:USER_SGPR: 2
; COMPUTE_PGM_RSRC2:TRAP_HANDLER: 0
; COMPUTE_PGM_RSRC2:TGID_X_EN: 1
; COMPUTE_PGM_RSRC2:TGID_Y_EN: 1
; COMPUTE_PGM_RSRC2:TGID_Z_EN: 1
; COMPUTE_PGM_RSRC2:TIDIG_COMP_CNT: 2
	.section	.text._ZL9mul_mat_fI7__half2Li32ELi4ELi8ELb0EEvPKT_PKfPKiPfiiiiiiiiiiiiiiii,"axG",@progbits,_ZL9mul_mat_fI7__half2Li32ELi4ELi8ELb0EEvPKT_PKfPKiPfiiiiiiiiiiiiiiii,comdat
	.globl	_ZL9mul_mat_fI7__half2Li32ELi4ELi8ELb0EEvPKT_PKfPKiPfiiiiiiiiiiiiiiii ; -- Begin function _ZL9mul_mat_fI7__half2Li32ELi4ELi8ELb0EEvPKT_PKfPKiPfiiiiiiiiiiiiiiii
	.p2align	8
	.type	_ZL9mul_mat_fI7__half2Li32ELi4ELi8ELb0EEvPKT_PKfPKiPfiiiiiiiiiiiiiiii,@function
_ZL9mul_mat_fI7__half2Li32ELi4ELi8ELb0EEvPKT_PKfPKiPfiiiiiiiiiiiiiiii: ; @_ZL9mul_mat_fI7__half2Li32ELi4ELi8ELb0EEvPKT_PKfPKiPfiiiiiiiiiiiiiiii
; %bb.0:
	s_clause 0x1
	s_load_b256 s[4:11], s[0:1], 0x40
	s_load_b32 s21, s[0:1], 0x20
	v_bfe_u32 v37, v0, 10, 10
	v_and_b32_e32 v36, 0x3ff, v0
	s_mov_b32 s15, exec_lo
	s_delay_alu instid0(VALU_DEP_2) | instskip(NEXT) | instid1(VALU_DEP_2)
	v_lshlrev_b32_e32 v39, 5, v37
	v_and_b32_e32 v40, 15, v36
	s_delay_alu instid0(VALU_DEP_2)
	v_add_nc_u32_e32 v41, v39, v36
	s_wait_kmcnt 0x0
	s_abs_i32 s12, s4
	s_abs_i32 s23, s8
	s_cvt_f32_u32 s2, s12
	s_cvt_f32_u32 s3, s23
	s_delay_alu instid0(SALU_CYCLE_2) | instskip(NEXT) | instid1(SALU_CYCLE_2)
	v_rcp_iflag_f32_e32 v0, s2
	v_rcp_iflag_f32_e32 v1, s3
	s_mov_b32 s3, 0
	s_lshr_b32 s2, ttmp7, 16
	s_delay_alu instid0(TRANS32_DEP_2) | instskip(NEXT) | instid1(TRANS32_DEP_1)
	v_readfirstlane_b32 s13, v0
	v_readfirstlane_b32 s14, v1
	v_cmpx_le_i32_e64 s21, v41
	s_xor_b32 s15, exec_lo, s15
; %bb.1:
	v_and_b32_e32 v40, 15, v36
                                        ; implicit-def: $vgpr41
; %bb.2:
	s_or_saveexec_b32 s22, s15
	s_load_b96 s[16:18], s[0:1], 0x2c
	v_dual_mov_b32 v15, 0 :: v_dual_lshlrev_b32 v38, 2, v36
	s_and_b32 s19, ttmp7, 0xffff
	s_lshl_b32 s20, ttmp9, 5
	s_delay_alu instid0(VALU_DEP_1)
	v_dual_mov_b32 v14, v15 :: v_dual_mov_b32 v13, v15
	v_dual_mov_b32 v12, v15 :: v_dual_mov_b32 v11, v15
	;; [unrolled: 1-line block ×7, first 2 shown]
	v_mov_b32_e32 v0, v15
	s_xor_b32 exec_lo, exec_lo, s22
	s_cbranch_execz .LBB50_6
; %bb.3:
	s_mul_f32 s13, s13, 0x4f7ffffe
	s_mul_f32 s14, s14, 0x4f7ffffe
	s_sub_co_i32 s24, 0, s12
	s_sub_co_i32 s25, 0, s23
	s_cvt_u32_f32 s13, s13
	s_cvt_u32_f32 s27, s14
	s_abs_i32 s14, s19
	s_mov_b32 s15, s3
	s_mul_i32 s24, s24, s13
	s_mul_i32 s25, s25, s27
	s_mul_hi_u32 s24, s13, s24
	s_mul_hi_u32 s28, s27, s25
	s_add_co_i32 s24, s13, s24
	s_mov_b32 s25, s3
	s_abs_i32 s26, s2
	s_mul_u64 s[24:25], s[14:15], s[24:25]
	s_ashr_i32 s24, s8, 31
	s_mul_i32 s13, s25, s12
	s_add_co_i32 s28, s27, s28
	s_sub_co_i32 s8, s14, s13
	s_ashr_i32 s4, s4, 31
	s_add_co_i32 s13, s25, 1
	s_sub_co_i32 s14, s8, s12
	s_cmp_ge_u32 s8, s12
	s_mov_b32 s27, s3
	s_cselect_b32 s13, s13, s25
	s_mov_b32 s29, s3
	s_cselect_b32 s8, s14, s8
	s_add_co_i32 s14, s13, 1
	s_mul_u64 s[28:29], s[26:27], s[28:29]
	s_cmp_ge_u32 s8, s12
	s_mul_i32 s12, s29, s23
	s_cselect_b32 s8, s14, s13
	s_sub_co_i32 s25, s26, s12
	s_xor_b32 s8, s8, s4
	s_load_b128 s[12:15], s[0:1], 0x0
	s_sub_co_i32 s26, s8, s4
	s_add_co_i32 s4, s29, 1
	s_sub_co_i32 s8, s25, s23
	s_cmp_ge_u32 s25, s23
	v_mad_u32_u24 v0, 0x900, v37, 0
	s_cselect_b32 s4, s4, s29
	s_cselect_b32 s8, s8, s25
	s_add_co_i32 s25, s4, 1
	s_cmp_ge_u32 s8, s23
	s_mov_b32 s8, s9
	s_cselect_b32 s4, s25, s4
	s_ashr_i32 s9, s9, 31
	s_xor_b32 s4, s4, s24
	v_mul_u32_u24_e32 v1, 0x90, v40
	s_sub_co_i32 s24, s4, s24
	v_and_b32_e32 v2, 0x3f0, v36
	s_ashr_i32 s25, s24, 31
	v_add_nc_u32_e32 v42, v0, v38
	s_mul_u64 s[8:9], s[24:25], s[8:9]
	s_mul_i32 s24, s26, s5
	s_lshl_b64 s[54:55], s[8:9], 2
	s_ashr_i32 s25, s24, 31
	s_wait_kmcnt 0x0
	s_add_nc_u64 s[8:9], s[12:13], s[54:55]
	s_lshl_b64 s[56:57], s[24:25], 2
	s_mul_i32 s24, s16, s20
	v_add3_u32 v43, v0, v1, v2
	s_ashr_i32 s25, s24, 31
	v_dual_mov_b32 v0, 0 :: v_dual_lshlrev_b32 v1, 7, v37
	s_lshl_b64 s[60:61], s[24:25], 2
	s_add_nc_u64 s[8:9], s[8:9], s[56:57]
	s_add_nc_u64 s[56:57], s[56:57], s[60:61]
	s_mov_b32 s4, s10
	s_add_nc_u64 s[54:55], s[56:57], s[54:55]
	s_ashr_i32 s5, s10, 31
	v_add_co_u32 v1, s53, s54, v1
	s_delay_alu instid0(VALU_DEP_1) | instskip(SKIP_2) | instid1(VALU_DEP_3)
	v_add_co_ci_u32_e64 v2, null, s55, 0, s53
	v_dual_mov_b32 v44, 0 :: v_dual_lshlrev_b32 v3, 8, v37
	s_mul_u64 s[4:5], s[4:5], s[2:3]
	v_add_co_u32 v1, vcc_lo, v1, v38
	s_lshl_b64 s[58:59], s[4:5], 2
	v_add_co_ci_u32_e64 v2, null, 0, v2, vcc_lo
	v_add_co_u32 v3, s53, s58, v3
	v_lshlrev_b32_e32 v5, 3, v36
	s_mul_i32 s4, s6, s19
	s_wait_alu 0xf1ff
	v_add_co_ci_u32_e64 v4, null, s59, 0, s53
	v_add_co_u32 v32, vcc_lo, s12, v1
	s_ashr_i32 s5, s4, 31
	s_wait_alu 0xfffd
	v_add_co_ci_u32_e64 v33, null, s13, v2, vcc_lo
	v_add_co_u32 v1, vcc_lo, v3, v5
	s_lshl_b64 s[62:63], s[4:5], 2
	s_wait_alu 0xfffd
	v_add_co_ci_u32_e64 v2, null, 0, v4, vcc_lo
	s_add_nc_u64 s[12:13], s[14:15], s[62:63]
	v_dual_mov_b32 v3, v0 :: v_dual_mov_b32 v4, v0
	s_wait_alu 0xfffe
	v_add_co_u32 v34, vcc_lo, s12, v1
	s_wait_alu 0xfffd
	v_add_co_ci_u32_e64 v35, null, s13, v2, vcc_lo
	v_dual_mov_b32 v1, v0 :: v_dual_mov_b32 v2, v0
	v_dual_mov_b32 v5, v0 :: v_dual_mov_b32 v6, v0
	;; [unrolled: 1-line block ×6, first 2 shown]
	v_mov_b32_e32 v15, v0
	s_add_nc_u64 s[26:27], s[14:15], s[58:59]
	s_ashr_i32 s65, s16, 31
	s_mov_b32 s64, s16
	s_ashr_i32 s67, s17, 31
	s_mov_b32 s66, s17
	s_add_nc_u64 s[4:5], s[8:9], s[60:61]
	s_add_nc_u64 s[8:9], s[26:27], s[62:63]
	s_mov_b32 s6, 0
	s_add_co_i32 s10, s16, s16
	s_add_co_i32 s23, s17, s17
	s_mul_i32 s17, s17, 3
	s_mul_i32 s24, s16, 3
	s_lshl_b32 s25, s16, 2
	s_mul_i32 s26, s16, 5
	s_mul_i32 s27, s16, 6
	;; [unrolled: 1-line block ×3, first 2 shown]
	s_lshl_b32 s29, s16, 3
	s_mul_i32 s30, s16, 9
	s_mul_i32 s31, s16, 10
	;; [unrolled: 1-line block ×7, first 2 shown]
	s_lshl_b32 s38, s16, 4
	s_mul_i32 s39, s16, 17
	s_mul_i32 s40, s16, 18
	;; [unrolled: 1-line block ×15, first 2 shown]
	s_lshl_b64 s[12:13], s[64:65], 2
	s_lshl_b64 s[14:15], s[66:67], 3
.LBB50_4:                               ; =>This Inner Loop Header: Depth=1
	global_load_b32 v16, v[32:33], off
	v_add_nc_u32_e32 v45, s38, v41
	s_delay_alu instid0(VALU_DEP_1) | instskip(NEXT) | instid1(VALU_DEP_1)
	v_ashrrev_i32_e32 v46, 31, v45
	v_lshlrev_b64_e32 v[45:46], 2, v[45:46]
	s_wait_loadcnt 0x0
	ds_store_b32 v42, v16
	s_wait_alu 0xfffe
	v_add_co_u32 v16, vcc_lo, v32, s12
	s_wait_alu 0xfffd
	v_add_co_ci_u32_e64 v17, null, s13, v33, vcc_lo
	global_load_b32 v16, v[16:17], off
	s_wait_loadcnt 0x0
	ds_store_b32 v42, v16 offset:144
	v_add_nc_u32_e32 v16, s10, v41
	s_delay_alu instid0(VALU_DEP_1) | instskip(NEXT) | instid1(VALU_DEP_1)
	v_ashrrev_i32_e32 v17, 31, v16
	v_lshlrev_b64_e32 v[16:17], 2, v[16:17]
	s_delay_alu instid0(VALU_DEP_1) | instskip(SKIP_1) | instid1(VALU_DEP_2)
	v_add_co_u32 v16, vcc_lo, s4, v16
	s_wait_alu 0xfffd
	v_add_co_ci_u32_e64 v17, null, s5, v17, vcc_lo
	global_load_b32 v16, v[16:17], off
	s_wait_loadcnt 0x0
	ds_store_b32 v42, v16 offset:288
	v_add_nc_u32_e32 v16, s24, v41
	s_delay_alu instid0(VALU_DEP_1) | instskip(NEXT) | instid1(VALU_DEP_1)
	v_ashrrev_i32_e32 v17, 31, v16
	v_lshlrev_b64_e32 v[16:17], 2, v[16:17]
	s_delay_alu instid0(VALU_DEP_1) | instskip(SKIP_1) | instid1(VALU_DEP_2)
	;; [unrolled: 11-line block ×14, first 2 shown]
	v_add_co_u32 v16, vcc_lo, s4, v16
	s_wait_alu 0xfffd
	v_add_co_ci_u32_e64 v17, null, s5, v17, vcc_lo
	v_add_co_u32 v45, vcc_lo, s4, v45
	s_wait_alu 0xfffd
	v_add_co_ci_u32_e64 v46, null, s5, v46, vcc_lo
	global_load_b32 v16, v[16:17], off
	s_wait_loadcnt 0x0
	ds_store_b32 v42, v16 offset:2160
	ds_load_b128 v[28:31], v43
	ds_load_b128 v[24:27], v43 offset:32
	ds_load_b128 v[20:23], v43 offset:64
	;; [unrolled: 1-line block ×3, first 2 shown]
	global_load_b32 v45, v[45:46], off
	s_wait_loadcnt 0x0
	ds_store_b32 v42, v45
	v_add_nc_u32_e32 v45, s39, v41
	s_delay_alu instid0(VALU_DEP_1) | instskip(NEXT) | instid1(VALU_DEP_1)
	v_ashrrev_i32_e32 v46, 31, v45
	v_lshlrev_b64_e32 v[45:46], 2, v[45:46]
	s_delay_alu instid0(VALU_DEP_1) | instskip(SKIP_1) | instid1(VALU_DEP_2)
	v_add_co_u32 v45, vcc_lo, s4, v45
	s_wait_alu 0xfffd
	v_add_co_ci_u32_e64 v46, null, s5, v46, vcc_lo
	global_load_b32 v45, v[45:46], off
	s_wait_loadcnt 0x0
	ds_store_b32 v42, v45 offset:144
	v_add_nc_u32_e32 v45, s40, v41
	s_delay_alu instid0(VALU_DEP_1) | instskip(NEXT) | instid1(VALU_DEP_1)
	v_ashrrev_i32_e32 v46, 31, v45
	v_lshlrev_b64_e32 v[45:46], 2, v[45:46]
	s_delay_alu instid0(VALU_DEP_1) | instskip(SKIP_1) | instid1(VALU_DEP_2)
	v_add_co_u32 v45, vcc_lo, s4, v45
	s_wait_alu 0xfffd
	v_add_co_ci_u32_e64 v46, null, s5, v46, vcc_lo
	global_load_b32 v45, v[45:46], off
	s_wait_loadcnt 0x0
	ds_store_b32 v42, v45 offset:288
	;; [unrolled: 11-line block ×15, first 2 shown]
	ds_load_b128 v[45:48], v43
	ds_load_b128 v[49:52], v43 offset:32
	ds_load_b128 v[53:56], v43 offset:64
	;; [unrolled: 1-line block ×3, first 2 shown]
	global_load_b64 v[61:62], v[34:35], off
	s_wait_loadcnt 0x0
	v_cvt_f16_f32_e32 v61, v61
	v_cvt_f16_f32_e32 v62, v62
	s_delay_alu instid0(VALU_DEP_1)
	v_pack_b32_f16 v61, v61, v62
	ds_store_b32 v42, v61
	v_add_co_u32 v61, vcc_lo, v34, s14
	s_wait_alu 0xfffd
	v_add_co_ci_u32_e64 v62, null, s15, v35, vcc_lo
	global_load_b64 v[61:62], v[61:62], off
	s_wait_loadcnt 0x0
	v_cvt_f16_f32_e32 v61, v61
	v_cvt_f16_f32_e32 v62, v62
	s_delay_alu instid0(VALU_DEP_1) | instskip(SKIP_2) | instid1(VALU_DEP_1)
	v_pack_b32_f16 v61, v61, v62
	ds_store_b32 v42, v61 offset:144
	v_add_nc_u32_e32 v61, s23, v41
	v_ashrrev_i32_e32 v62, 31, v61
	s_delay_alu instid0(VALU_DEP_1) | instskip(NEXT) | instid1(VALU_DEP_1)
	v_lshlrev_b64_e32 v[61:62], 3, v[61:62]
	v_add_co_u32 v61, vcc_lo, s8, v61
	s_wait_alu 0xfffd
	s_delay_alu instid0(VALU_DEP_2) | instskip(SKIP_4) | instid1(VALU_DEP_1)
	v_add_co_ci_u32_e64 v62, null, s9, v62, vcc_lo
	global_load_b64 v[61:62], v[61:62], off
	s_wait_loadcnt 0x0
	v_cvt_f16_f32_e32 v61, v61
	v_cvt_f16_f32_e32 v62, v62
	v_pack_b32_f16 v61, v61, v62
	ds_store_b32 v42, v61 offset:288
	v_add_nc_u32_e32 v61, s17, v41
	v_add_nc_u32_e32 v41, 0x100, v41
	s_delay_alu instid0(VALU_DEP_2) | instskip(NEXT) | instid1(VALU_DEP_1)
	v_ashrrev_i32_e32 v62, 31, v61
	v_lshlrev_b64_e32 v[61:62], 3, v[61:62]
	s_delay_alu instid0(VALU_DEP_1) | instskip(SKIP_1) | instid1(VALU_DEP_2)
	v_add_co_u32 v61, vcc_lo, s8, v61
	s_wait_alu 0xfffd
	v_add_co_ci_u32_e64 v62, null, s9, v62, vcc_lo
	v_add_co_u32 v32, vcc_lo, 0x400, v32
	s_wait_alu 0xfffd
	v_add_co_ci_u32_e64 v33, null, 0, v33, vcc_lo
	global_load_b64 v[61:62], v[61:62], off
	v_add_co_u32 v34, vcc_lo, 0x800, v34
	s_wait_alu 0xfffd
	v_add_co_ci_u32_e64 v35, null, 0, v35, vcc_lo
	v_cmp_le_i32_e32 vcc_lo, s21, v41
	s_or_b32 s6, vcc_lo, s6
	s_wait_loadcnt 0x0
	v_cvt_f16_f32_e32 v61, v61
	v_cvt_f16_f32_e32 v62, v62
	s_delay_alu instid0(VALU_DEP_1)
	v_pack_b32_f16 v61, v61, v62
	ds_store_b32 v42, v61 offset:432
	ds_store_b32 v42, v44 offset:576
	;; [unrolled: 1-line block ×13, first 2 shown]
	ds_load_b128 v[61:64], v43
	ds_load_b128 v[65:68], v43 offset:32
	s_wait_dscnt 0x1
	v_wmma_f32_16x16x16_f16 v[8:15], v[28:31], v[61:64], v[8:15]
	v_wmma_f32_16x16x16_f16 v[0:7], v[45:48], v[61:64], v[0:7]
	s_wait_dscnt 0x0
	s_delay_alu instid0(VALU_DEP_2)
	v_wmma_f32_16x16x16_f16 v[8:15], v[24:27], v[65:68], v[8:15]
	ds_load_b128 v[24:27], v43 offset:64
	v_wmma_f32_16x16x16_f16 v[0:7], v[49:52], v[65:68], v[0:7]
	s_wait_dscnt 0x0
	v_wmma_f32_16x16x16_f16 v[8:15], v[20:23], v[24:27], v[8:15]
	ds_load_b128 v[20:23], v43 offset:96
	v_wmma_f32_16x16x16_f16 v[0:7], v[53:56], v[24:27], v[0:7]
	s_wait_dscnt 0x0
	v_wmma_f32_16x16x16_f16 v[8:15], v[16:19], v[20:23], v[8:15]
	s_delay_alu instid0(VALU_DEP_2)
	v_wmma_f32_16x16x16_f16 v[0:7], v[57:60], v[20:23], v[0:7]
	s_and_not1_b32 exec_lo, exec_lo, s6
	s_cbranch_execnz .LBB50_4
; %bb.5:
	s_or_b32 exec_lo, exec_lo, s6
.LBB50_6:
	s_delay_alu instid0(SALU_CYCLE_1)
	s_or_b32 exec_lo, exec_lo, s22
	s_load_b64 s[0:1], s[0:1], 0x18
	v_lshlrev_b32_e32 v16, 1, v36
	v_lshl_add_u32 v17, v39, 2, 0
	v_mul_u32_u24_e32 v18, 0x410, v40
	s_barrier_signal -1
	s_delay_alu instid0(VALU_DEP_3)
	v_and_b32_e32 v16, 0x7e0, v16
	s_barrier_wait -1
	global_inv scope:SCOPE_SE
	s_mov_b32 s4, exec_lo
	v_add3_u32 v16, v17, v18, v16
	ds_store_2addr_b32 v16, v8, v9 offset1:1
	ds_store_2addr_b32 v16, v10, v11 offset0:2 offset1:3
	ds_store_2addr_b32 v16, v12, v13 offset0:4 offset1:5
	;; [unrolled: 1-line block ×7, first 2 shown]
	s_wait_loadcnt_dscnt 0x0
	s_barrier_signal -1
	s_barrier_wait -1
	global_inv scope:SCOPE_SE
	v_cmpx_gt_u32_e32 4, v37
	s_cbranch_execz .LBB50_8
; %bb.7:
	v_mul_u32_u24_e32 v0, 0x410, v37
	s_ashr_i32 s5, s11, 31
	s_mov_b32 s4, s11
	s_mul_i32 s6, s7, s19
	s_wait_alu 0xfffe
	s_mul_u64 s[2:3], s[4:5], s[2:3]
	v_add3_u32 v6, 0, v38, v0
	s_ashr_i32 s7, s6, 31
	s_wait_alu 0xfffe
	s_lshl_b64 s[2:3], s[2:3], 2
	s_lshl_b64 s[4:5], s[6:7], 2
	s_wait_kmcnt 0x0
	s_wait_alu 0xfffe
	s_add_nc_u64 s[0:1], s[0:1], s[2:3]
	ds_load_2addr_b32 v[0:1], v6 offset1:32
	ds_load_2addr_b32 v[2:3], v6 offset0:64 offset1:96
	ds_load_2addr_b32 v[4:5], v6 offset0:128 offset1:160
	s_add_nc_u64 s[0:1], s[0:1], s[4:5]
	s_wait_dscnt 0x2
	v_add_f32_e32 v0, 0, v0
	s_delay_alu instid0(VALU_DEP_1) | instskip(SKIP_4) | instid1(VALU_DEP_1)
	v_add_f32_e32 v7, v0, v1
	ds_load_2addr_b32 v[0:1], v6 offset0:192 offset1:224
	v_mul_lo_u32 v6, s18, v37
	s_wait_dscnt 0x2
	v_add_f32_e32 v2, v7, v2
	v_dual_add_f32 v2, v2, v3 :: v_dual_mov_b32 v3, 0
	s_wait_dscnt 0x1
	s_delay_alu instid0(VALU_DEP_1) | instskip(NEXT) | instid1(VALU_DEP_1)
	v_add_f32_e32 v2, v2, v4
	v_add_f32_e32 v4, v2, v5
	v_add3_u32 v2, s20, v36, v6
	s_wait_dscnt 0x0
	s_delay_alu instid0(VALU_DEP_2) | instskip(NEXT) | instid1(VALU_DEP_2)
	v_add_f32_e32 v0, v4, v0
	v_lshlrev_b64_e32 v[2:3], 2, v[2:3]
	s_delay_alu instid0(VALU_DEP_2) | instskip(NEXT) | instid1(VALU_DEP_2)
	v_add_f32_e32 v4, v0, v1
	v_add_co_u32 v0, vcc_lo, s0, v2
	s_wait_alu 0xfffd
	s_delay_alu instid0(VALU_DEP_3)
	v_add_co_ci_u32_e64 v1, null, s1, v3, vcc_lo
	global_store_b32 v[0:1], v4, off
.LBB50_8:
	s_endpgm
	.section	.rodata,"a",@progbits
	.p2align	6, 0x0
	.amdhsa_kernel _ZL9mul_mat_fI7__half2Li32ELi4ELi8ELb0EEvPKT_PKfPKiPfiiiiiiiiiiiiiiii
		.amdhsa_group_segment_fixed_size 0
		.amdhsa_private_segment_fixed_size 0
		.amdhsa_kernarg_size 96
		.amdhsa_user_sgpr_count 2
		.amdhsa_user_sgpr_dispatch_ptr 0
		.amdhsa_user_sgpr_queue_ptr 0
		.amdhsa_user_sgpr_kernarg_segment_ptr 1
		.amdhsa_user_sgpr_dispatch_id 0
		.amdhsa_user_sgpr_private_segment_size 0
		.amdhsa_wavefront_size32 1
		.amdhsa_uses_dynamic_stack 0
		.amdhsa_enable_private_segment 0
		.amdhsa_system_sgpr_workgroup_id_x 1
		.amdhsa_system_sgpr_workgroup_id_y 1
		.amdhsa_system_sgpr_workgroup_id_z 1
		.amdhsa_system_sgpr_workgroup_info 0
		.amdhsa_system_vgpr_workitem_id 1
		.amdhsa_next_free_vgpr 69
		.amdhsa_next_free_sgpr 68
		.amdhsa_reserve_vcc 1
		.amdhsa_float_round_mode_32 0
		.amdhsa_float_round_mode_16_64 0
		.amdhsa_float_denorm_mode_32 3
		.amdhsa_float_denorm_mode_16_64 3
		.amdhsa_fp16_overflow 0
		.amdhsa_workgroup_processor_mode 1
		.amdhsa_memory_ordered 1
		.amdhsa_forward_progress 1
		.amdhsa_inst_pref_size 31
		.amdhsa_round_robin_scheduling 0
		.amdhsa_exception_fp_ieee_invalid_op 0
		.amdhsa_exception_fp_denorm_src 0
		.amdhsa_exception_fp_ieee_div_zero 0
		.amdhsa_exception_fp_ieee_overflow 0
		.amdhsa_exception_fp_ieee_underflow 0
		.amdhsa_exception_fp_ieee_inexact 0
		.amdhsa_exception_int_div_zero 0
	.end_amdhsa_kernel
	.section	.text._ZL9mul_mat_fI7__half2Li32ELi4ELi8ELb0EEvPKT_PKfPKiPfiiiiiiiiiiiiiiii,"axG",@progbits,_ZL9mul_mat_fI7__half2Li32ELi4ELi8ELb0EEvPKT_PKfPKiPfiiiiiiiiiiiiiiii,comdat
.Lfunc_end50:
	.size	_ZL9mul_mat_fI7__half2Li32ELi4ELi8ELb0EEvPKT_PKfPKiPfiiiiiiiiiiiiiiii, .Lfunc_end50-_ZL9mul_mat_fI7__half2Li32ELi4ELi8ELb0EEvPKT_PKfPKiPfiiiiiiiiiiiiiiii
                                        ; -- End function
	.set _ZL9mul_mat_fI7__half2Li32ELi4ELi8ELb0EEvPKT_PKfPKiPfiiiiiiiiiiiiiiii.num_vgpr, 69
	.set _ZL9mul_mat_fI7__half2Li32ELi4ELi8ELb0EEvPKT_PKfPKiPfiiiiiiiiiiiiiiii.num_agpr, 0
	.set _ZL9mul_mat_fI7__half2Li32ELi4ELi8ELb0EEvPKT_PKfPKiPfiiiiiiiiiiiiiiii.numbered_sgpr, 68
	.set _ZL9mul_mat_fI7__half2Li32ELi4ELi8ELb0EEvPKT_PKfPKiPfiiiiiiiiiiiiiiii.num_named_barrier, 0
	.set _ZL9mul_mat_fI7__half2Li32ELi4ELi8ELb0EEvPKT_PKfPKiPfiiiiiiiiiiiiiiii.private_seg_size, 0
	.set _ZL9mul_mat_fI7__half2Li32ELi4ELi8ELb0EEvPKT_PKfPKiPfiiiiiiiiiiiiiiii.uses_vcc, 1
	.set _ZL9mul_mat_fI7__half2Li32ELi4ELi8ELb0EEvPKT_PKfPKiPfiiiiiiiiiiiiiiii.uses_flat_scratch, 0
	.set _ZL9mul_mat_fI7__half2Li32ELi4ELi8ELb0EEvPKT_PKfPKiPfiiiiiiiiiiiiiiii.has_dyn_sized_stack, 0
	.set _ZL9mul_mat_fI7__half2Li32ELi4ELi8ELb0EEvPKT_PKfPKiPfiiiiiiiiiiiiiiii.has_recursion, 0
	.set _ZL9mul_mat_fI7__half2Li32ELi4ELi8ELb0EEvPKT_PKfPKiPfiiiiiiiiiiiiiiii.has_indirect_call, 0
	.section	.AMDGPU.csdata,"",@progbits
; Kernel info:
; codeLenInByte = 3956
; TotalNumSgprs: 70
; NumVgprs: 69
; ScratchSize: 0
; MemoryBound: 0
; FloatMode: 240
; IeeeMode: 1
; LDSByteSize: 0 bytes/workgroup (compile time only)
; SGPRBlocks: 0
; VGPRBlocks: 8
; NumSGPRsForWavesPerEU: 70
; NumVGPRsForWavesPerEU: 69
; Occupancy: 16
; WaveLimiterHint : 0
; COMPUTE_PGM_RSRC2:SCRATCH_EN: 0
; COMPUTE_PGM_RSRC2:USER_SGPR: 2
; COMPUTE_PGM_RSRC2:TRAP_HANDLER: 0
; COMPUTE_PGM_RSRC2:TGID_X_EN: 1
; COMPUTE_PGM_RSRC2:TGID_Y_EN: 1
; COMPUTE_PGM_RSRC2:TGID_Z_EN: 1
; COMPUTE_PGM_RSRC2:TIDIG_COMP_CNT: 1
	.section	.text._ZL13mul_mat_f_idsI15__hip_bfloat162Li32ELi4ELi1EEvPKT_PKfPKiS7_S7_Pfiiiiiiiiiiiiii15HIP_vector_typeIjLj3EESA_,"axG",@progbits,_ZL13mul_mat_f_idsI15__hip_bfloat162Li32ELi4ELi1EEvPKT_PKfPKiS7_S7_Pfiiiiiiiiiiiiii15HIP_vector_typeIjLj3EESA_,comdat
	.globl	_ZL13mul_mat_f_idsI15__hip_bfloat162Li32ELi4ELi1EEvPKT_PKfPKiS7_S7_Pfiiiiiiiiiiiiii15HIP_vector_typeIjLj3EESA_ ; -- Begin function _ZL13mul_mat_f_idsI15__hip_bfloat162Li32ELi4ELi1EEvPKT_PKfPKiS7_S7_Pfiiiiiiiiiiiiii15HIP_vector_typeIjLj3EESA_
	.p2align	8
	.type	_ZL13mul_mat_f_idsI15__hip_bfloat162Li32ELi4ELi1EEvPKT_PKfPKiS7_S7_Pfiiiiiiiiiiiiii15HIP_vector_typeIjLj3EESA_,@function
_ZL13mul_mat_f_idsI15__hip_bfloat162Li32ELi4ELi1EEvPKT_PKfPKiS7_S7_Pfiiiiiiiiiiiiii15HIP_vector_typeIjLj3EESA_: ; @_ZL13mul_mat_f_idsI15__hip_bfloat162Li32ELi4ELi1EEvPKT_PKfPKiS7_S7_Pfiiiiiiiiiiiiii15HIP_vector_typeIjLj3EESA_
; %bb.0:
	s_load_b64 s[4:5], s[0:1], 0x20
	s_and_b32 s2, ttmp7, 0xffff
	s_delay_alu instid0(SALU_CYCLE_1) | instskip(SKIP_4) | instid1(SALU_CYCLE_1)
	s_lshl_b32 s3, s2, 2
	s_wait_kmcnt 0x0
	s_load_b64 s[26:27], s[4:5], s3 offset:0x0
	s_wait_kmcnt 0x0
	s_sub_co_i32 s19, s27, s26
	s_add_co_i32 s3, s19, 3
	s_delay_alu instid0(SALU_CYCLE_1) | instskip(NEXT) | instid1(SALU_CYCLE_1)
	s_ashr_i32 s4, s3, 31
	s_lshr_b32 s4, s4, 30
	s_delay_alu instid0(SALU_CYCLE_1) | instskip(NEXT) | instid1(SALU_CYCLE_1)
	s_add_co_i32 s3, s3, s4
	s_ashr_i32 s4, s3, 2
	s_lshr_b32 s3, ttmp7, 16
	s_delay_alu instid0(SALU_CYCLE_1)
	s_cmp_ge_i32 s3, s4
	s_cbranch_scc1 .LBB51_31
; %bb.1:
	s_clause 0x3
	s_load_b128 s[4:7], s[0:1], 0x30
	s_load_b64 s[20:21], s[0:1], 0x40
	s_load_b128 s[8:11], s[0:1], 0x68
	s_load_b64 s[22:23], s[0:1], 0x78
	v_bfe_u32 v51, v0, 10, 10
	v_and_b32_e32 v52, 0x3ff, v0
	s_ashr_i32 s27, s26, 31
	s_mov_b32 s12, exec_lo
                                        ; implicit-def: $vgpr54
	s_delay_alu instid0(VALU_DEP_2) | instskip(NEXT) | instid1(VALU_DEP_2)
	v_lshlrev_b32_e32 v53, 5, v51
	v_and_b32_e32 v16, 15, v52
	s_delay_alu instid0(VALU_DEP_2) | instskip(SKIP_1) | instid1(VALU_DEP_1)
	v_or_b32_e32 v48, v53, v52
	s_wait_kmcnt 0x0
	v_cmpx_le_i32_e64 s4, v48
	s_xor_b32 s12, exec_lo, s12
; %bb.2:
	v_mul_u32_u24_e32 v54, 0x90, v16
                                        ; implicit-def: $vgpr48
                                        ; implicit-def: $vgpr16
; %bb.3:
	s_or_saveexec_b32 s37, s12
	s_clause 0x1
	s_load_b64 s[24:25], s[0:1], 0x28
	s_load_b96 s[16:18], s[0:1], 0x4c
	v_mov_b32_e32 v7, 0
	s_lshl_b32 s36, ttmp9, 5
	s_lshl_b32 s33, s3, 2
	s_delay_alu instid0(VALU_DEP_1)
	v_dual_mov_b32 v6, v7 :: v_dual_mov_b32 v5, v7
	v_dual_mov_b32 v4, v7 :: v_dual_mov_b32 v3, v7
	;; [unrolled: 1-line block ×7, first 2 shown]
	v_mov_b32_e32 v8, v7
	s_xor_b32 exec_lo, exec_lo, s37
	s_cbranch_execz .LBB51_19
; %bb.4:
	s_clause 0x1
	s_load_b128 s[12:15], s[0:1], 0x0
	s_load_b64 s[28:29], s[0:1], 0x10
	s_wait_kmcnt 0x0
	s_mul_i32 s30, s16, s2
	s_mul_i32 s34, s7, s36
	s_ashr_i32 s31, s30, 31
	s_ashr_i32 s35, s34, 31
	s_lshl_b64 s[38:39], s[26:27], 2
	s_lshl_b64 s[68:69], s[30:31], 2
	;; [unrolled: 1-line block ×3, first 2 shown]
	s_cmp_lt_i32 s33, s19
	v_mad_u32_u24 v0, 0x900, v51, 0
	v_dual_mov_b32 v8, 0 :: v_dual_lshlrev_b32 v1, 2, v52
	v_mul_u32_u24_e32 v54, 0x90, v16
	v_dual_mov_b32 v57, 0 :: v_dual_and_b32 v2, 0x3f0, v52
	s_cselect_b32 s16, -1, 0
	s_or_b32 s30, s33, 1
	s_lshl_b32 s2, s33, 2
	s_cmp_lt_i32 s30, s19
	s_add_nc_u64 s[30:31], s[12:13], s[68:69]
	s_add_nc_u64 s[34:35], s[28:29], s[38:39]
	;; [unrolled: 1-line block ×3, first 2 shown]
	s_cselect_b32 s38, -1, 0
	s_or_b32 s30, s33, 2
	v_dual_mov_b32 v10, v57 :: v_dual_add_nc_u32 v55, v0, v1
	v_add3_u32 v56, v0, v54, v2
	v_dual_mov_b32 v9, v57 :: v_dual_lshlrev_b32 v0, 7, v51
	s_mov_b32 s3, 0
	s_cmp_lt_i32 s30, s19
	s_add_nc_u64 s[30:31], s[34:35], s[2:3]
	s_cselect_b32 s39, -1, 0
	s_or_b32 s2, s33, 3
	s_add_nc_u64 s[68:69], s[68:69], s[70:71]
	s_cmp_lt_i32 s2, s19
	v_add_co_u32 v0, s2, s68, v0
	s_delay_alu instid0(VALU_DEP_1) | instskip(SKIP_1) | instid1(VALU_DEP_3)
	v_add_co_ci_u32_e64 v2, null, s69, 0, s2
	v_dual_mov_b32 v11, v57 :: v_dual_mov_b32 v12, v57
	v_add_co_u32 v0, vcc_lo, v0, v1
	s_delay_alu instid0(VALU_DEP_1) | instskip(SKIP_1) | instid1(VALU_DEP_3)
	v_add_co_ci_u32_e64 v1, null, 0, v2, vcc_lo
	v_dual_mov_b32 v13, v57 :: v_dual_mov_b32 v14, v57
	v_add_co_u32 v49, vcc_lo, s12, v0
	s_wait_alu 0xfffd
	s_delay_alu instid0(VALU_DEP_3)
	v_add_co_ci_u32_e64 v50, null, s13, v1, vcc_lo
	v_dual_mov_b32 v15, v57 :: v_dual_mov_b32 v0, 0
	v_dual_mov_b32 v1, v57 :: v_dual_mov_b32 v2, v57
	;; [unrolled: 1-line block ×4, first 2 shown]
	v_mov_b32_e32 v7, v57
	s_mov_b32 s34, s8
	s_cselect_b32 s8, -1, 0
	s_ashr_i32 s73, s7, 31
	s_mov_b32 s72, s7
	s_mov_b32 s35, s3
	s_add_co_i32 s40, s7, s7
	s_mul_i32 s41, s7, 3
	s_lshl_b32 s42, s7, 2
	s_mul_i32 s43, s7, 5
	s_mul_i32 s44, s7, 6
	;; [unrolled: 1-line block ×3, first 2 shown]
	s_lshl_b32 s46, s7, 3
	s_mul_i32 s47, s7, 9
	s_mul_i32 s48, s7, 10
	;; [unrolled: 1-line block ×7, first 2 shown]
	s_lshl_b32 s54, s7, 4
	s_mul_i32 s55, s7, 17
	s_mul_i32 s56, s7, 18
	;; [unrolled: 1-line block ×15, first 2 shown]
	s_lshl_b64 s[12:13], s[72:73], 2
	s_mov_b32 s69, 0
	s_branch .LBB51_6
.LBB51_5:                               ;   in Loop: Header=BB51_6 Depth=1
	v_perm_b32 v58, v58, v59, 0x5040100
	v_perm_b32 v59, v61, v62, 0x5040100
	;; [unrolled: 1-line block ×4, first 2 shown]
	v_add_nc_u32_e32 v62, 0x400, v55
	ds_store_2addr_b32 v55, v58, v59 offset1:36
	ds_store_2addr_b32 v55, v60, v61 offset0:72 offset1:108
	ds_store_2addr_b32 v55, v57, v57 offset0:144 offset1:180
	v_add_nc_u32_e32 v58, 0x600, v55
	ds_store_2addr_b32 v55, v57, v57 offset0:216 offset1:252
	ds_store_2addr_b32 v62, v57, v57 offset0:32 offset1:68
	;; [unrolled: 1-line block ×5, first 2 shown]
	ds_load_b128 v[58:61], v56
	ds_load_b128 v[62:65], v56 offset:32
	ds_load_b128 v[66:69], v56 offset:64
	ds_load_b128 v[70:73], v56 offset:96
	v_add_nc_u32_e32 v48, 32, v48
	v_add_co_u32 v49, s2, 0x80, v49
	s_wait_alu 0xf1ff
	v_add_co_ci_u32_e64 v50, null, 0, v50, s2
	s_delay_alu instid0(VALU_DEP_3)
	v_cmp_le_i32_e32 vcc_lo, s4, v48
	s_or_b32 s69, vcc_lo, s69
	s_wait_dscnt 0x3
	v_wmma_f32_16x16x16_bf16 v[8:15], v[32:35], v[58:61], v[8:15]
	v_wmma_f32_16x16x16_bf16 v[0:7], v[44:47], v[58:61], v[0:7]
	s_wait_dscnt 0x2
	s_delay_alu instid0(VALU_DEP_2) | instskip(NEXT) | instid1(VALU_DEP_2)
	v_wmma_f32_16x16x16_bf16 v[8:15], v[28:31], v[62:65], v[8:15]
	v_wmma_f32_16x16x16_bf16 v[0:7], v[40:43], v[62:65], v[0:7]
	s_wait_dscnt 0x1
	s_delay_alu instid0(VALU_DEP_2) | instskip(NEXT) | instid1(VALU_DEP_2)
	v_wmma_f32_16x16x16_bf16 v[8:15], v[24:27], v[66:69], v[8:15]
	v_wmma_f32_16x16x16_bf16 v[0:7], v[36:39], v[66:69], v[0:7]
	s_wait_dscnt 0x0
	s_delay_alu instid0(VALU_DEP_2) | instskip(NEXT) | instid1(VALU_DEP_2)
	v_wmma_f32_16x16x16_bf16 v[8:15], v[16:19], v[70:73], v[8:15]
	v_wmma_f32_16x16x16_bf16 v[0:7], v[20:23], v[70:73], v[0:7]
	s_wait_alu 0xfffe
	s_and_not1_b32 exec_lo, exec_lo, s69
	s_cbranch_execz .LBB51_18
.LBB51_6:                               ; =>This Inner Loop Header: Depth=1
	v_add_nc_u32_e32 v22, s42, v48
	v_add_nc_u32_e32 v16, s40, v48
	s_wait_alu 0xfffe
	v_add_co_u32 v20, vcc_lo, v49, s12
	v_add_nc_u32_e32 v18, s41, v48
	s_wait_alu 0xfffd
	v_add_co_ci_u32_e64 v21, null, s13, v50, vcc_lo
	v_ashrrev_i32_e32 v23, 31, v22
	v_ashrrev_i32_e32 v17, 31, v16
	v_add_nc_u32_e32 v24, s43, v48
	v_ashrrev_i32_e32 v19, 31, v18
	s_clause 0x1
	global_load_b32 v38, v[49:50], off
	global_load_b32 v39, v[20:21], off
	v_lshlrev_b64_e32 v[20:21], 2, v[22:23]
	v_add_nc_u32_e32 v22, s44, v48
	v_lshlrev_b64_e32 v[16:17], 2, v[16:17]
	v_add_nc_u32_e32 v26, s45, v48
	v_ashrrev_i32_e32 v25, 31, v24
	v_lshlrev_b64_e32 v[18:19], 2, v[18:19]
	v_add_nc_u32_e32 v28, s46, v48
	v_ashrrev_i32_e32 v23, 31, v22
	v_add_nc_u32_e32 v30, s47, v48
	v_ashrrev_i32_e32 v27, 31, v26
	v_add_co_u32 v16, vcc_lo, s28, v16
	v_lshlrev_b64_e32 v[24:25], 2, v[24:25]
	v_ashrrev_i32_e32 v29, 31, v28
	s_wait_alu 0xfffd
	v_add_co_ci_u32_e64 v17, null, s29, v17, vcc_lo
	v_add_co_u32 v18, vcc_lo, s28, v18
	v_lshlrev_b64_e32 v[22:23], 2, v[22:23]
	v_ashrrev_i32_e32 v31, 31, v30
	s_wait_alu 0xfffd
	v_add_co_ci_u32_e64 v19, null, s29, v19, vcc_lo
	v_add_co_u32 v20, vcc_lo, s28, v20
	v_lshlrev_b64_e32 v[26:27], 2, v[26:27]
	s_wait_alu 0xfffd
	v_add_co_ci_u32_e64 v21, null, s29, v21, vcc_lo
	v_add_co_u32 v24, vcc_lo, s28, v24
	v_lshlrev_b64_e32 v[28:29], 2, v[28:29]
	s_wait_alu 0xfffd
	v_add_co_ci_u32_e64 v25, null, s29, v25, vcc_lo
	v_add_co_u32 v22, vcc_lo, s28, v22
	v_lshlrev_b64_e32 v[30:31], 2, v[30:31]
	s_wait_alu 0xfffd
	v_add_co_ci_u32_e64 v23, null, s29, v23, vcc_lo
	v_add_co_u32 v26, vcc_lo, s28, v26
	v_add_nc_u32_e32 v32, s48, v48
	s_wait_alu 0xfffd
	v_add_co_ci_u32_e64 v27, null, s29, v27, vcc_lo
	v_add_co_u32 v28, vcc_lo, s28, v28
	v_add_nc_u32_e32 v34, s49, v48
	;; [unrolled: 4-line block ×3, first 2 shown]
	v_ashrrev_i32_e32 v33, 31, v32
	s_wait_alu 0xfffd
	v_add_co_ci_u32_e64 v31, null, s29, v31, vcc_lo
	s_clause 0x7
	global_load_b32 v40, v[16:17], off
	global_load_b32 v41, v[18:19], off
	;; [unrolled: 1-line block ×8, first 2 shown]
	v_add_nc_u32_e32 v18, s51, v48
	v_ashrrev_i32_e32 v35, 31, v34
	v_add_nc_u32_e32 v24, s52, v48
	v_ashrrev_i32_e32 v37, 31, v36
	v_lshlrev_b64_e32 v[32:33], 2, v[32:33]
	v_add_nc_u32_e32 v26, s53, v48
	v_ashrrev_i32_e32 v19, 31, v18
	v_lshlrev_b64_e32 v[16:17], 2, v[34:35]
	;; [unrolled: 3-line block ×3, first 2 shown]
	v_add_nc_u32_e32 v30, s55, v48
	v_ashrrev_i32_e32 v27, 31, v26
	v_add_co_u32 v20, vcc_lo, s28, v32
	v_lshlrev_b64_e32 v[18:19], 2, v[18:19]
	v_ashrrev_i32_e32 v29, 31, v28
	s_wait_alu 0xfffd
	v_add_co_ci_u32_e64 v21, null, s29, v33, vcc_lo
	v_add_co_u32 v16, vcc_lo, s28, v16
	v_lshlrev_b64_e32 v[24:25], 2, v[24:25]
	v_ashrrev_i32_e32 v31, 31, v30
	s_wait_alu 0xfffd
	v_add_co_ci_u32_e64 v17, null, s29, v17, vcc_lo
	v_add_co_u32 v22, vcc_lo, s28, v22
	v_lshlrev_b64_e32 v[26:27], 2, v[26:27]
	s_wait_alu 0xfffd
	v_add_co_ci_u32_e64 v23, null, s29, v23, vcc_lo
	v_add_co_u32 v18, vcc_lo, s28, v18
	v_lshlrev_b64_e32 v[28:29], 2, v[28:29]
	;; [unrolled: 4-line block ×3, first 2 shown]
	s_wait_alu 0xfffd
	v_add_co_ci_u32_e64 v25, null, s29, v25, vcc_lo
	v_add_co_u32 v26, vcc_lo, s28, v26
	v_add_nc_u32_e32 v32, s56, v48
	s_wait_alu 0xfffd
	v_add_co_ci_u32_e64 v27, null, s29, v27, vcc_lo
	v_add_co_u32 v28, vcc_lo, s28, v28
	v_add_nc_u32_e32 v34, s57, v48
	;; [unrolled: 4-line block ×3, first 2 shown]
	v_ashrrev_i32_e32 v33, 31, v32
	s_wait_alu 0xfffd
	v_add_co_ci_u32_e64 v31, null, s29, v31, vcc_lo
	s_clause 0x7
	global_load_b32 v58, v[20:21], off
	global_load_b32 v59, v[16:17], off
	;; [unrolled: 1-line block ×8, first 2 shown]
	v_add_nc_u32_e32 v18, s59, v48
	v_ashrrev_i32_e32 v35, 31, v34
	v_add_nc_u32_e32 v24, s60, v48
	v_ashrrev_i32_e32 v37, 31, v36
	v_lshlrev_b64_e32 v[32:33], 2, v[32:33]
	v_add_nc_u32_e32 v26, s61, v48
	v_ashrrev_i32_e32 v19, 31, v18
	v_lshlrev_b64_e32 v[16:17], 2, v[34:35]
	;; [unrolled: 3-line block ×3, first 2 shown]
	v_add_nc_u32_e32 v30, s63, v48
	v_ashrrev_i32_e32 v27, 31, v26
	v_add_co_u32 v20, vcc_lo, s28, v32
	v_lshlrev_b64_e32 v[18:19], 2, v[18:19]
	v_ashrrev_i32_e32 v29, 31, v28
	s_wait_alu 0xfffd
	v_add_co_ci_u32_e64 v21, null, s29, v33, vcc_lo
	v_add_co_u32 v16, vcc_lo, s28, v16
	v_lshlrev_b64_e32 v[24:25], 2, v[24:25]
	v_ashrrev_i32_e32 v31, 31, v30
	s_wait_alu 0xfffd
	v_add_co_ci_u32_e64 v17, null, s29, v17, vcc_lo
	v_add_co_u32 v22, vcc_lo, s28, v22
	v_lshlrev_b64_e32 v[26:27], 2, v[26:27]
	s_wait_alu 0xfffd
	v_add_co_ci_u32_e64 v23, null, s29, v23, vcc_lo
	v_add_co_u32 v18, vcc_lo, s28, v18
	v_lshlrev_b64_e32 v[28:29], 2, v[28:29]
	;; [unrolled: 4-line block ×3, first 2 shown]
	s_wait_alu 0xfffd
	v_add_co_ci_u32_e64 v25, null, s29, v25, vcc_lo
	v_add_co_u32 v26, vcc_lo, s28, v26
	v_add_nc_u32_e32 v32, s64, v48
	s_wait_alu 0xfffd
	v_add_co_ci_u32_e64 v27, null, s29, v27, vcc_lo
	v_add_co_u32 v28, vcc_lo, s28, v28
	v_add_nc_u32_e32 v34, s65, v48
	s_wait_alu 0xfffd
	v_add_co_ci_u32_e64 v29, null, s29, v29, vcc_lo
	v_add_co_u32 v30, vcc_lo, s28, v30
	v_add_nc_u32_e32 v36, s66, v48
	v_ashrrev_i32_e32 v33, 31, v32
	s_wait_alu 0xfffd
	v_add_co_ci_u32_e64 v31, null, s29, v31, vcc_lo
	s_clause 0x7
	global_load_b32 v66, v[20:21], off
	global_load_b32 v67, v[16:17], off
	;; [unrolled: 1-line block ×8, first 2 shown]
	v_add_nc_u32_e32 v18, s67, v48
	v_ashrrev_i32_e32 v35, 31, v34
	v_add_nc_u32_e32 v24, s68, v48
	v_ashrrev_i32_e32 v37, 31, v36
	v_lshlrev_b64_e32 v[32:33], 2, v[32:33]
	v_add_nc_u32_e32 v26, s7, v48
	v_ashrrev_i32_e32 v19, 31, v18
	v_lshlrev_b64_e32 v[16:17], 2, v[34:35]
	v_ashrrev_i32_e32 v25, 31, v24
	v_lshlrev_b64_e32 v[22:23], 2, v[36:37]
	v_ashrrev_i32_e32 v27, 31, v26
	v_add_co_u32 v20, vcc_lo, s28, v32
	v_lshlrev_b64_e32 v[18:19], 2, v[18:19]
	s_wait_alu 0xfffd
	v_add_co_ci_u32_e64 v21, null, s29, v33, vcc_lo
	v_add_co_u32 v16, vcc_lo, s28, v16
	v_lshlrev_b64_e32 v[24:25], 2, v[24:25]
	s_wait_alu 0xfffd
	v_add_co_ci_u32_e64 v17, null, s29, v17, vcc_lo
	;; [unrolled: 4-line block ×3, first 2 shown]
	v_add_co_u32 v18, vcc_lo, s28, v18
	s_wait_alu 0xfffd
	v_add_co_ci_u32_e64 v19, null, s29, v19, vcc_lo
	v_add_co_u32 v24, vcc_lo, s28, v24
	s_wait_alu 0xfffd
	v_add_co_ci_u32_e64 v25, null, s29, v25, vcc_lo
	;; [unrolled: 3-line block ×3, first 2 shown]
	s_clause 0x5
	global_load_b32 v20, v[20:21], off
	global_load_b32 v21, v[16:17], off
	;; [unrolled: 1-line block ×6, first 2 shown]
	s_and_not1_b32 vcc_lo, exec_lo, s16
	s_wait_loadcnt 0x1f
	ds_store_b32 v55, v38
	s_wait_loadcnt 0x1e
	ds_store_b32 v55, v39 offset:144
	s_wait_loadcnt 0x1d
	ds_store_b32 v55, v40 offset:288
	;; [unrolled: 2-line block ×15, first 2 shown]
	ds_load_b128 v[32:35], v56
	ds_load_b128 v[28:31], v56 offset:32
	ds_load_b128 v[24:27], v56 offset:64
	;; [unrolled: 1-line block ×3, first 2 shown]
	s_wait_loadcnt 0xf
	ds_store_b32 v55, v64
	s_wait_loadcnt 0xe
	ds_store_b32 v55, v65 offset:144
	s_wait_loadcnt 0xd
	ds_store_b32 v55, v66 offset:288
	;; [unrolled: 2-line block ×15, first 2 shown]
	ds_load_b128 v[44:47], v56
	ds_load_b128 v[40:43], v56 offset:32
	ds_load_b128 v[36:39], v56 offset:64
	;; [unrolled: 1-line block ×3, first 2 shown]
	v_dual_mov_b32 v59, 0 :: v_dual_mov_b32 v58, 0
	s_wait_alu 0xfffe
	s_cbranch_vccnz .LBB51_9
; %bb.7:                                ;   in Loop: Header=BB51_6 Depth=1
	s_load_b32 s2, s[30:31], 0x0
	v_dual_mov_b32 v58, 0 :: v_dual_mov_b32 v59, 0
	s_wait_kmcnt 0x0
	s_mul_u64 s[70:71], s[2:3], s[34:35]
	s_wait_alu 0xfffe
	s_add_co_i32 s70, s2, s71
	s_wait_alu 0xfffe
	s_lshr_b32 s70, s70, s9
	s_wait_alu 0xfffe
	s_cmp_ge_i32 s70, s5
	s_cbranch_scc1 .LBB51_9
; %bb.8:                                ;   in Loop: Header=BB51_6 Depth=1
	v_mad_co_u64_u32 v[58:59], null, s70, s20, v[48:49]
	s_mul_i32 s70, s70, s10
	s_wait_alu 0xfffe
	s_sub_co_i32 s2, s2, s70
	s_wait_alu 0xfffe
	s_mul_i32 s2, s2, s17
	s_wait_alu 0xfffe
	v_lshl_add_u32 v58, v58, 1, s2
	s_delay_alu instid0(VALU_DEP_1) | instskip(NEXT) | instid1(VALU_DEP_1)
	v_ashrrev_i32_e32 v59, 31, v58
	v_lshlrev_b64_e32 v[58:59], 2, v[58:59]
	s_delay_alu instid0(VALU_DEP_1) | instskip(SKIP_1) | instid1(VALU_DEP_2)
	v_add_co_u32 v58, vcc_lo, s14, v58
	s_wait_alu 0xfffd
	v_add_co_ci_u32_e64 v59, null, s15, v59, vcc_lo
	global_load_b64 v[58:59], v[58:59], off
	s_wait_loadcnt 0x0
	v_bfe_u32 v60, v58, 16, 1
	v_bfe_u32 v61, v59, 16, 1
	v_or_b32_e32 v62, 0x400000, v58
	v_cmp_u_f32_e32 vcc_lo, v58, v58
	v_or_b32_e32 v63, 0x400000, v59
	v_add3_u32 v60, v60, v58, 0x7fff
	v_add3_u32 v61, v61, v59, 0x7fff
	s_wait_alu 0xfffd
	s_delay_alu instid0(VALU_DEP_2) | instskip(SKIP_1) | instid1(VALU_DEP_2)
	v_cndmask_b32_e32 v58, v60, v62, vcc_lo
	v_cmp_u_f32_e32 vcc_lo, v59, v59
	v_lshrrev_b32_e32 v59, 16, v58
	s_wait_alu 0xfffd
	v_cndmask_b32_e32 v60, v61, v63, vcc_lo
	s_delay_alu instid0(VALU_DEP_1)
	v_lshrrev_b32_e32 v58, 16, v60
.LBB51_9:                               ;   in Loop: Header=BB51_6 Depth=1
	v_dual_mov_b32 v60, 0 :: v_dual_mov_b32 v61, 0
	v_mov_b32_e32 v62, 0
	s_and_not1_b32 vcc_lo, exec_lo, s38
	s_wait_alu 0xfffe
	s_cbranch_vccnz .LBB51_12
; %bb.10:                               ;   in Loop: Header=BB51_6 Depth=1
	s_load_b32 s2, s[30:31], 0x4
	v_dual_mov_b32 v61, 0 :: v_dual_mov_b32 v62, 0
	s_wait_kmcnt 0x0
	s_mul_u64 s[70:71], s[2:3], s[34:35]
	s_wait_alu 0xfffe
	s_add_co_i32 s70, s2, s71
	s_wait_alu 0xfffe
	s_lshr_b32 s70, s70, s9
	s_wait_alu 0xfffe
	s_cmp_ge_i32 s70, s5
	s_cbranch_scc1 .LBB51_12
; %bb.11:                               ;   in Loop: Header=BB51_6 Depth=1
	v_mad_co_u64_u32 v[61:62], null, s70, s20, v[48:49]
	s_mul_i32 s70, s70, s10
	s_wait_alu 0xfffe
	s_sub_co_i32 s2, s2, s70
	s_wait_alu 0xfffe
	s_mul_i32 s2, s2, s17
	s_wait_alu 0xfffe
	v_lshl_add_u32 v61, v61, 1, s2
	s_delay_alu instid0(VALU_DEP_1) | instskip(NEXT) | instid1(VALU_DEP_1)
	v_ashrrev_i32_e32 v62, 31, v61
	v_lshlrev_b64_e32 v[61:62], 2, v[61:62]
	s_delay_alu instid0(VALU_DEP_1) | instskip(SKIP_1) | instid1(VALU_DEP_2)
	v_add_co_u32 v61, vcc_lo, s14, v61
	s_wait_alu 0xfffd
	v_add_co_ci_u32_e64 v62, null, s15, v62, vcc_lo
	global_load_b64 v[61:62], v[61:62], off
	s_wait_loadcnt 0x0
	v_bfe_u32 v63, v61, 16, 1
	v_bfe_u32 v64, v62, 16, 1
	v_or_b32_e32 v65, 0x400000, v61
	v_cmp_u_f32_e32 vcc_lo, v61, v61
	v_or_b32_e32 v66, 0x400000, v62
	v_add3_u32 v63, v63, v61, 0x7fff
	v_add3_u32 v64, v64, v62, 0x7fff
	s_wait_alu 0xfffd
	s_delay_alu instid0(VALU_DEP_2) | instskip(SKIP_1) | instid1(VALU_DEP_2)
	v_cndmask_b32_e32 v61, v63, v65, vcc_lo
	v_cmp_u_f32_e32 vcc_lo, v62, v62
	v_lshrrev_b32_e32 v62, 16, v61
	s_wait_alu 0xfffd
	v_cndmask_b32_e32 v63, v64, v66, vcc_lo
	s_delay_alu instid0(VALU_DEP_1)
	v_lshrrev_b32_e32 v61, 16, v63
.LBB51_12:                              ;   in Loop: Header=BB51_6 Depth=1
	v_mov_b32_e32 v63, 0
	s_and_not1_b32 vcc_lo, exec_lo, s39
	s_wait_alu 0xfffe
	s_cbranch_vccnz .LBB51_15
; %bb.13:                               ;   in Loop: Header=BB51_6 Depth=1
	s_load_b32 s2, s[30:31], 0x8
	v_dual_mov_b32 v63, 0 :: v_dual_mov_b32 v60, 0
	s_wait_kmcnt 0x0
	s_mul_u64 s[70:71], s[2:3], s[34:35]
	s_wait_alu 0xfffe
	s_add_co_i32 s70, s2, s71
	s_wait_alu 0xfffe
	s_lshr_b32 s70, s70, s9
	s_wait_alu 0xfffe
	s_cmp_ge_i32 s70, s5
	s_cbranch_scc1 .LBB51_15
; %bb.14:                               ;   in Loop: Header=BB51_6 Depth=1
	v_mad_co_u64_u32 v[63:64], null, s70, s20, v[48:49]
	s_mul_i32 s70, s70, s10
	s_wait_alu 0xfffe
	s_sub_co_i32 s2, s2, s70
	s_wait_alu 0xfffe
	s_mul_i32 s2, s2, s17
	s_wait_alu 0xfffe
	v_lshl_add_u32 v63, v63, 1, s2
	s_delay_alu instid0(VALU_DEP_1) | instskip(NEXT) | instid1(VALU_DEP_1)
	v_ashrrev_i32_e32 v64, 31, v63
	v_lshlrev_b64_e32 v[63:64], 2, v[63:64]
	s_delay_alu instid0(VALU_DEP_1) | instskip(SKIP_1) | instid1(VALU_DEP_2)
	v_add_co_u32 v63, vcc_lo, s14, v63
	s_wait_alu 0xfffd
	v_add_co_ci_u32_e64 v64, null, s15, v64, vcc_lo
	global_load_b64 v[63:64], v[63:64], off
	s_wait_loadcnt 0x0
	v_bfe_u32 v60, v63, 16, 1
	v_bfe_u32 v65, v64, 16, 1
	v_or_b32_e32 v66, 0x400000, v63
	v_cmp_u_f32_e32 vcc_lo, v63, v63
	v_or_b32_e32 v67, 0x400000, v64
	v_add3_u32 v60, v60, v63, 0x7fff
	v_add3_u32 v65, v65, v64, 0x7fff
	s_wait_alu 0xfffd
	s_delay_alu instid0(VALU_DEP_2) | instskip(SKIP_3) | instid1(VALU_DEP_3)
	v_cndmask_b32_e32 v60, v60, v66, vcc_lo
	v_cmp_u_f32_e32 vcc_lo, v64, v64
	s_wait_alu 0xfffd
	v_cndmask_b32_e32 v63, v65, v67, vcc_lo
	v_lshrrev_b32_e32 v60, 16, v60
	s_delay_alu instid0(VALU_DEP_2)
	v_lshrrev_b32_e32 v63, 16, v63
.LBB51_15:                              ;   in Loop: Header=BB51_6 Depth=1
	v_dual_mov_b32 v64, 0 :: v_dual_mov_b32 v65, 0
	s_and_not1_b32 vcc_lo, exec_lo, s8
	s_wait_alu 0xfffe
	s_cbranch_vccnz .LBB51_5
; %bb.16:                               ;   in Loop: Header=BB51_6 Depth=1
	s_load_b32 s2, s[30:31], 0xc
	v_dual_mov_b32 v65, 0 :: v_dual_mov_b32 v64, 0
	s_wait_kmcnt 0x0
	s_mul_u64 s[70:71], s[2:3], s[34:35]
	s_wait_alu 0xfffe
	s_add_co_i32 s70, s2, s71
	s_wait_alu 0xfffe
	s_lshr_b32 s70, s70, s9
	s_wait_alu 0xfffe
	s_cmp_ge_i32 s70, s5
	s_cbranch_scc1 .LBB51_5
; %bb.17:                               ;   in Loop: Header=BB51_6 Depth=1
	v_mad_co_u64_u32 v[64:65], null, s70, s20, v[48:49]
	s_mul_i32 s70, s70, s10
	s_wait_alu 0xfffe
	s_sub_co_i32 s2, s2, s70
	s_wait_alu 0xfffe
	s_mul_i32 s2, s2, s17
	s_wait_alu 0xfffe
	v_lshl_add_u32 v64, v64, 1, s2
	s_delay_alu instid0(VALU_DEP_1) | instskip(NEXT) | instid1(VALU_DEP_1)
	v_ashrrev_i32_e32 v65, 31, v64
	v_lshlrev_b64_e32 v[64:65], 2, v[64:65]
	s_delay_alu instid0(VALU_DEP_1) | instskip(SKIP_1) | instid1(VALU_DEP_2)
	v_add_co_u32 v64, vcc_lo, s14, v64
	s_wait_alu 0xfffd
	v_add_co_ci_u32_e64 v65, null, s15, v65, vcc_lo
	global_load_b64 v[64:65], v[64:65], off
	s_wait_loadcnt 0x0
	v_bfe_u32 v66, v64, 16, 1
	v_bfe_u32 v67, v65, 16, 1
	v_or_b32_e32 v68, 0x400000, v64
	v_cmp_u_f32_e32 vcc_lo, v64, v64
	v_or_b32_e32 v69, 0x400000, v65
	v_add3_u32 v66, v66, v64, 0x7fff
	v_add3_u32 v67, v67, v65, 0x7fff
	s_wait_alu 0xfffd
	s_delay_alu instid0(VALU_DEP_2) | instskip(SKIP_3) | instid1(VALU_DEP_3)
	v_cndmask_b32_e32 v64, v66, v68, vcc_lo
	v_cmp_u_f32_e32 vcc_lo, v65, v65
	s_wait_alu 0xfffd
	v_cndmask_b32_e32 v65, v67, v69, vcc_lo
	v_lshrrev_b32_e32 v64, 16, v64
	s_delay_alu instid0(VALU_DEP_2)
	v_lshrrev_b32_e32 v65, 16, v65
	s_branch .LBB51_5
.LBB51_18:
	s_or_b32 exec_lo, exec_lo, s69
.LBB51_19:
	s_delay_alu instid0(SALU_CYCLE_1)
	s_or_b32 exec_lo, exec_lo, s37
	s_load_b64 s[0:1], s[0:1], 0x18
	v_lshlrev_b32_e32 v16, 1, v52
	v_lshl_add_u32 v17, v53, 2, 0
	s_lshl_b64 s[8:9], s[26:27], 2
	s_cmp_gt_i32 s6, 0
	v_lshl_add_u32 v18, v52, 2, 0
	v_and_b32_e32 v19, 0x7e0, v16
	v_add_nc_u32_e32 v16, s33, v51
	s_mov_b32 s3, 0
	s_mov_b32 s2, s11
	s_delay_alu instid0(VALU_DEP_2) | instskip(NEXT) | instid1(VALU_DEP_2)
	v_add3_u32 v17, v17, v54, v19
	v_cmp_gt_i32_e32 vcc_lo, s19, v16
	ds_store_2addr_b32 v17, v8, v9 offset1:1
	ds_store_2addr_b32 v17, v10, v11 offset0:2 offset1:3
	ds_store_2addr_b32 v17, v12, v13 offset0:4 offset1:5
	;; [unrolled: 1-line block ×3, first 2 shown]
	v_add_nc_u32_e32 v8, s36, v52
	v_mul_u32_u24_e32 v9, 0x90, v51
	ds_store_2addr_b32 v17, v0, v1 offset0:16 offset1:17
	ds_store_2addr_b32 v17, v2, v3 offset0:18 offset1:19
	;; [unrolled: 1-line block ×4, first 2 shown]
	s_wait_kmcnt 0x0
	s_add_nc_u64 s[6:7], s[0:1], s[8:9]
	v_cmp_gt_u32_e64 s0, 4, v51
	s_cselect_b32 s1, -1, 0
	s_delay_alu instid0(SALU_CYCLE_1)
	s_and_b32 s4, s1, vcc_lo
	s_wait_alu 0xfffe
	s_and_b32 s4, s0, s4
	s_wait_alu 0xfffe
	s_and_saveexec_b32 s0, s4
	s_cbranch_execz .LBB51_22
; %bb.20:
	v_ashrrev_i32_e32 v17, 31, v16
	s_delay_alu instid0(VALU_DEP_1) | instskip(NEXT) | instid1(VALU_DEP_1)
	v_lshlrev_b64_e32 v[0:1], 2, v[16:17]
	v_add_co_u32 v0, vcc_lo, s6, v0
	s_wait_alu 0xfffd
	s_delay_alu instid0(VALU_DEP_2) | instskip(SKIP_3) | instid1(VALU_DEP_1)
	v_add_co_ci_u32_e64 v1, null, s7, v1, vcc_lo
	global_load_b32 v0, v[0:1], off
	s_wait_loadcnt 0x0
	v_mul_hi_u32 v1, v0, s2
	v_add_nc_u32_e32 v1, v0, v1
	s_delay_alu instid0(VALU_DEP_1) | instskip(NEXT) | instid1(VALU_DEP_1)
	v_lshrrev_b32_e32 v1, s22, v1
	v_cmp_gt_i32_e32 vcc_lo, s5, v1
	s_and_b32 exec_lo, exec_lo, vcc_lo
	s_cbranch_execz .LBB51_22
; %bb.21:
	v_mul_lo_u32 v2, v1, s23
	v_add_nc_u32_e32 v3, v18, v9
	s_delay_alu instid0(VALU_DEP_2) | instskip(SKIP_4) | instid1(VALU_DEP_1)
	v_sub_nc_u32_e32 v0, v0, v2
	ds_load_b32 v2, v3
	v_mul_lo_u32 v3, v1, s21
	v_mov_b32_e32 v1, 0
	v_mul_lo_u32 v0, v0, s18
	v_add3_u32 v0, v8, v3, v0
	s_delay_alu instid0(VALU_DEP_1) | instskip(SKIP_2) | instid1(VALU_DEP_2)
	v_lshlrev_b64_e32 v[0:1], 2, v[0:1]
	s_wait_dscnt 0x0
	v_add_f32_e32 v2, 0, v2
	v_add_co_u32 v0, vcc_lo, s24, v0
	s_wait_alu 0xfffd
	s_delay_alu instid0(VALU_DEP_3)
	v_add_co_ci_u32_e64 v1, null, s25, v1, vcc_lo
	global_store_b32 v[0:1], v2, off
.LBB51_22:
	s_or_b32 exec_lo, exec_lo, s0
	v_add_nc_u32_e32 v0, 1, v16
	v_cmp_gt_u32_e64 s0, 3, v51
	s_delay_alu instid0(VALU_DEP_2)
	v_cmp_gt_i32_e32 vcc_lo, s19, v0
	v_add_lshl_u32 v0, v51, s33, 2
	s_and_b32 s4, s1, vcc_lo
	s_wait_alu 0xfffe
	s_and_b32 s4, s0, s4
	s_wait_alu 0xfffe
	s_and_saveexec_b32 s0, s4
	s_cbranch_execz .LBB51_25
; %bb.23:
	global_load_b32 v1, v0, s[6:7] offset:4
	s_wait_loadcnt 0x0
	v_mul_hi_u32 v2, v1, s2
	s_delay_alu instid0(VALU_DEP_1) | instskip(NEXT) | instid1(VALU_DEP_1)
	v_add_nc_u32_e32 v2, v1, v2
	v_lshrrev_b32_e32 v2, s22, v2
	s_delay_alu instid0(VALU_DEP_1)
	v_cmp_gt_i32_e32 vcc_lo, s5, v2
	s_and_b32 exec_lo, exec_lo, vcc_lo
	s_cbranch_execz .LBB51_25
; %bb.24:
	v_mul_lo_u32 v3, v2, s23
	v_add_nc_u32_e32 v4, v9, v18
	s_delay_alu instid0(VALU_DEP_2) | instskip(SKIP_4) | instid1(VALU_DEP_1)
	v_sub_nc_u32_e32 v1, v1, v3
	ds_load_b32 v3, v4 offset:144
	v_mul_lo_u32 v4, v2, s21
	v_mov_b32_e32 v2, 0
	v_mul_lo_u32 v1, v1, s18
	v_add3_u32 v1, v8, v4, v1
	s_delay_alu instid0(VALU_DEP_1) | instskip(SKIP_2) | instid1(VALU_DEP_2)
	v_lshlrev_b64_e32 v[1:2], 2, v[1:2]
	s_wait_dscnt 0x0
	v_add_f32_e32 v3, 0, v3
	v_add_co_u32 v1, vcc_lo, s24, v1
	s_wait_alu 0xfffd
	s_delay_alu instid0(VALU_DEP_3)
	v_add_co_ci_u32_e64 v2, null, s25, v2, vcc_lo
	global_store_b32 v[1:2], v3, off
.LBB51_25:
	s_or_b32 exec_lo, exec_lo, s0
	v_add_nc_u32_e32 v1, 2, v16
	v_cmp_gt_u32_e64 s0, 2, v51
	s_delay_alu instid0(VALU_DEP_2)
	v_cmp_gt_i32_e32 vcc_lo, s19, v1
	s_and_b32 s4, s1, vcc_lo
	s_wait_alu 0xfffe
	s_and_b32 s4, s0, s4
	s_wait_alu 0xfffe
	s_and_saveexec_b32 s0, s4
	s_cbranch_execz .LBB51_28
; %bb.26:
	global_load_b32 v0, v0, s[6:7] offset:8
	s_wait_loadcnt 0x0
	v_mul_hi_u32 v1, v0, s2
	s_delay_alu instid0(VALU_DEP_1) | instskip(NEXT) | instid1(VALU_DEP_1)
	v_add_nc_u32_e32 v1, v0, v1
	v_lshrrev_b32_e32 v1, s22, v1
	s_delay_alu instid0(VALU_DEP_1)
	v_cmp_gt_i32_e32 vcc_lo, s5, v1
	s_and_b32 exec_lo, exec_lo, vcc_lo
	s_cbranch_execz .LBB51_28
; %bb.27:
	v_mul_lo_u32 v2, v1, s23
	v_add_nc_u32_e32 v3, v18, v9
	s_delay_alu instid0(VALU_DEP_2) | instskip(SKIP_4) | instid1(VALU_DEP_1)
	v_sub_nc_u32_e32 v0, v0, v2
	ds_load_b32 v2, v3 offset:288
	v_mul_lo_u32 v3, v1, s21
	v_mov_b32_e32 v1, 0
	v_mul_lo_u32 v0, v0, s18
	v_add3_u32 v0, v8, v3, v0
	s_delay_alu instid0(VALU_DEP_1) | instskip(SKIP_2) | instid1(VALU_DEP_2)
	v_lshlrev_b64_e32 v[0:1], 2, v[0:1]
	s_wait_dscnt 0x0
	v_add_f32_e32 v2, 0, v2
	v_add_co_u32 v0, vcc_lo, s24, v0
	s_wait_alu 0xfffd
	s_delay_alu instid0(VALU_DEP_3)
	v_add_co_ci_u32_e64 v1, null, s25, v1, vcc_lo
	global_store_b32 v[0:1], v2, off
.LBB51_28:
	s_or_b32 exec_lo, exec_lo, s0
	v_add_nc_u32_e32 v0, 3, v16
	v_cmp_eq_u32_e64 s0, 0, v51
	s_delay_alu instid0(VALU_DEP_2) | instskip(SKIP_4) | instid1(SALU_CYCLE_1)
	v_cmp_gt_i32_e32 vcc_lo, s19, v0
	s_and_b32 s4, s1, vcc_lo
	s_mov_b32 s1, 0
	s_wait_alu 0xfffe
	s_and_b32 s0, s0, s4
	s_and_saveexec_b32 s4, s0
	s_cbranch_execz .LBB51_31
; %bb.29:
	s_lshl_b32 s0, s33, 2
	s_load_b32 s0, s[6:7], s0 offset:0xc
	s_wait_kmcnt 0x0
	s_mul_u64 s[2:3], s[0:1], s[2:3]
	s_wait_alu 0xfffe
	s_add_co_i32 s1, s0, s3
	s_delay_alu instid0(SALU_CYCLE_1) | instskip(NEXT) | instid1(SALU_CYCLE_1)
	s_lshr_b32 s1, s1, s22
	s_cmp_ge_i32 s1, s5
	s_cbranch_scc1 .LBB51_31
; %bb.30:
	v_dual_mov_b32 v1, 0 :: v_dual_add_nc_u32 v0, v18, v9
	s_mul_i32 s2, s1, s23
	s_mul_i32 s1, s1, s21
	s_wait_alu 0xfffe
	s_sub_co_i32 s0, s0, s2
	ds_load_b32 v2, v0 offset:432
	s_mul_i32 s0, s0, s18
	s_delay_alu instid0(SALU_CYCLE_1) | instskip(NEXT) | instid1(VALU_DEP_1)
	v_add3_u32 v0, s0, s1, v8
	v_lshlrev_b64_e32 v[0:1], 2, v[0:1]
	s_delay_alu instid0(VALU_DEP_1) | instskip(SKIP_1) | instid1(VALU_DEP_2)
	v_add_co_u32 v0, vcc_lo, s24, v0
	s_wait_alu 0xfffd
	v_add_co_ci_u32_e64 v1, null, s25, v1, vcc_lo
	s_wait_dscnt 0x0
	v_add_f32_e32 v2, 0, v2
	global_store_b32 v[0:1], v2, off
.LBB51_31:
	s_endpgm
	.section	.rodata,"a",@progbits
	.p2align	6, 0x0
	.amdhsa_kernel _ZL13mul_mat_f_idsI15__hip_bfloat162Li32ELi4ELi1EEvPKT_PKfPKiS7_S7_Pfiiiiiiiiiiiiii15HIP_vector_typeIjLj3EESA_
		.amdhsa_group_segment_fixed_size 0
		.amdhsa_private_segment_fixed_size 0
		.amdhsa_kernarg_size 128
		.amdhsa_user_sgpr_count 2
		.amdhsa_user_sgpr_dispatch_ptr 0
		.amdhsa_user_sgpr_queue_ptr 0
		.amdhsa_user_sgpr_kernarg_segment_ptr 1
		.amdhsa_user_sgpr_dispatch_id 0
		.amdhsa_user_sgpr_private_segment_size 0
		.amdhsa_wavefront_size32 1
		.amdhsa_uses_dynamic_stack 0
		.amdhsa_enable_private_segment 0
		.amdhsa_system_sgpr_workgroup_id_x 1
		.amdhsa_system_sgpr_workgroup_id_y 1
		.amdhsa_system_sgpr_workgroup_id_z 1
		.amdhsa_system_sgpr_workgroup_info 0
		.amdhsa_system_vgpr_workitem_id 1
		.amdhsa_next_free_vgpr 74
		.amdhsa_next_free_sgpr 74
		.amdhsa_reserve_vcc 1
		.amdhsa_float_round_mode_32 0
		.amdhsa_float_round_mode_16_64 0
		.amdhsa_float_denorm_mode_32 3
		.amdhsa_float_denorm_mode_16_64 3
		.amdhsa_fp16_overflow 0
		.amdhsa_workgroup_processor_mode 1
		.amdhsa_memory_ordered 1
		.amdhsa_forward_progress 1
		.amdhsa_inst_pref_size 39
		.amdhsa_round_robin_scheduling 0
		.amdhsa_exception_fp_ieee_invalid_op 0
		.amdhsa_exception_fp_denorm_src 0
		.amdhsa_exception_fp_ieee_div_zero 0
		.amdhsa_exception_fp_ieee_overflow 0
		.amdhsa_exception_fp_ieee_underflow 0
		.amdhsa_exception_fp_ieee_inexact 0
		.amdhsa_exception_int_div_zero 0
	.end_amdhsa_kernel
	.section	.text._ZL13mul_mat_f_idsI15__hip_bfloat162Li32ELi4ELi1EEvPKT_PKfPKiS7_S7_Pfiiiiiiiiiiiiii15HIP_vector_typeIjLj3EESA_,"axG",@progbits,_ZL13mul_mat_f_idsI15__hip_bfloat162Li32ELi4ELi1EEvPKT_PKfPKiS7_S7_Pfiiiiiiiiiiiiii15HIP_vector_typeIjLj3EESA_,comdat
.Lfunc_end51:
	.size	_ZL13mul_mat_f_idsI15__hip_bfloat162Li32ELi4ELi1EEvPKT_PKfPKiS7_S7_Pfiiiiiiiiiiiiii15HIP_vector_typeIjLj3EESA_, .Lfunc_end51-_ZL13mul_mat_f_idsI15__hip_bfloat162Li32ELi4ELi1EEvPKT_PKfPKiS7_S7_Pfiiiiiiiiiiiiii15HIP_vector_typeIjLj3EESA_
                                        ; -- End function
	.set _ZL13mul_mat_f_idsI15__hip_bfloat162Li32ELi4ELi1EEvPKT_PKfPKiS7_S7_Pfiiiiiiiiiiiiii15HIP_vector_typeIjLj3EESA_.num_vgpr, 74
	.set _ZL13mul_mat_f_idsI15__hip_bfloat162Li32ELi4ELi1EEvPKT_PKfPKiS7_S7_Pfiiiiiiiiiiiiii15HIP_vector_typeIjLj3EESA_.num_agpr, 0
	.set _ZL13mul_mat_f_idsI15__hip_bfloat162Li32ELi4ELi1EEvPKT_PKfPKiS7_S7_Pfiiiiiiiiiiiiii15HIP_vector_typeIjLj3EESA_.numbered_sgpr, 74
	.set _ZL13mul_mat_f_idsI15__hip_bfloat162Li32ELi4ELi1EEvPKT_PKfPKiS7_S7_Pfiiiiiiiiiiiiii15HIP_vector_typeIjLj3EESA_.num_named_barrier, 0
	.set _ZL13mul_mat_f_idsI15__hip_bfloat162Li32ELi4ELi1EEvPKT_PKfPKiS7_S7_Pfiiiiiiiiiiiiii15HIP_vector_typeIjLj3EESA_.private_seg_size, 0
	.set _ZL13mul_mat_f_idsI15__hip_bfloat162Li32ELi4ELi1EEvPKT_PKfPKiS7_S7_Pfiiiiiiiiiiiiii15HIP_vector_typeIjLj3EESA_.uses_vcc, 1
	.set _ZL13mul_mat_f_idsI15__hip_bfloat162Li32ELi4ELi1EEvPKT_PKfPKiS7_S7_Pfiiiiiiiiiiiiii15HIP_vector_typeIjLj3EESA_.uses_flat_scratch, 0
	.set _ZL13mul_mat_f_idsI15__hip_bfloat162Li32ELi4ELi1EEvPKT_PKfPKiS7_S7_Pfiiiiiiiiiiiiii15HIP_vector_typeIjLj3EESA_.has_dyn_sized_stack, 0
	.set _ZL13mul_mat_f_idsI15__hip_bfloat162Li32ELi4ELi1EEvPKT_PKfPKiS7_S7_Pfiiiiiiiiiiiiii15HIP_vector_typeIjLj3EESA_.has_recursion, 0
	.set _ZL13mul_mat_f_idsI15__hip_bfloat162Li32ELi4ELi1EEvPKT_PKfPKiS7_S7_Pfiiiiiiiiiiiiii15HIP_vector_typeIjLj3EESA_.has_indirect_call, 0
	.section	.AMDGPU.csdata,"",@progbits
; Kernel info:
; codeLenInByte = 4952
; TotalNumSgprs: 76
; NumVgprs: 74
; ScratchSize: 0
; MemoryBound: 0
; FloatMode: 240
; IeeeMode: 1
; LDSByteSize: 0 bytes/workgroup (compile time only)
; SGPRBlocks: 0
; VGPRBlocks: 9
; NumSGPRsForWavesPerEU: 76
; NumVGPRsForWavesPerEU: 74
; Occupancy: 16
; WaveLimiterHint : 1
; COMPUTE_PGM_RSRC2:SCRATCH_EN: 0
; COMPUTE_PGM_RSRC2:USER_SGPR: 2
; COMPUTE_PGM_RSRC2:TRAP_HANDLER: 0
; COMPUTE_PGM_RSRC2:TGID_X_EN: 1
; COMPUTE_PGM_RSRC2:TGID_Y_EN: 1
; COMPUTE_PGM_RSRC2:TGID_Z_EN: 1
; COMPUTE_PGM_RSRC2:TIDIG_COMP_CNT: 1
	.section	.text._ZL9mul_mat_fI15__hip_bfloat162Li32ELi4ELi1ELb1EEvPKT_PKfPKiPfiiiiiiiiiiiiiiii,"axG",@progbits,_ZL9mul_mat_fI15__hip_bfloat162Li32ELi4ELi1ELb1EEvPKT_PKfPKiPfiiiiiiiiiiiiiiii,comdat
	.globl	_ZL9mul_mat_fI15__hip_bfloat162Li32ELi4ELi1ELb1EEvPKT_PKfPKiPfiiiiiiiiiiiiiiii ; -- Begin function _ZL9mul_mat_fI15__hip_bfloat162Li32ELi4ELi1ELb1EEvPKT_PKfPKiPfiiiiiiiiiiiiiiii
	.p2align	8
	.type	_ZL9mul_mat_fI15__hip_bfloat162Li32ELi4ELi1ELb1EEvPKT_PKfPKiPfiiiiiiiiiiiiiiii,@function
_ZL9mul_mat_fI15__hip_bfloat162Li32ELi4ELi1ELb1EEvPKT_PKfPKiPfiiiiiiiiiiiiiiii: ; @_ZL9mul_mat_fI15__hip_bfloat162Li32ELi4ELi1ELb1EEvPKT_PKfPKiPfiiiiiiiiiiiiiiii
; %bb.0:
	s_clause 0x1
	s_load_b256 s[8:15], s[0:1], 0x20
	s_load_b128 s[16:19], s[0:1], 0x44
	v_and_b32_e32 v48, 0x3ff, v0
	v_bfe_u32 v55, v0, 10, 10
	s_mov_b32 s35, 0
	s_delay_alu instid0(VALU_DEP_2) | instskip(NEXT) | instid1(VALU_DEP_2)
	v_cmp_eq_u32_e32 vcc_lo, 0, v48
	v_lshl_add_u32 v56, v55, 2, 0x100
	s_wait_kmcnt 0x0
	s_add_co_i32 s2, s9, 3
	s_delay_alu instid0(SALU_CYCLE_1) | instskip(NEXT) | instid1(SALU_CYCLE_1)
	s_ashr_i32 s3, s2, 31
	s_lshr_b32 s3, s3, 30
	s_delay_alu instid0(SALU_CYCLE_1) | instskip(NEXT) | instid1(SALU_CYCLE_1)
	s_add_co_i32 s2, s2, s3
	s_ashr_i32 s2, s2, 2
	s_delay_alu instid0(SALU_CYCLE_1) | instskip(SKIP_1) | instid1(SALU_CYCLE_2)
	s_cvt_f32_u32 s3, s2
	s_sub_co_i32 s5, 0, s2
	v_rcp_iflag_f32_e32 v1, s3
	s_load_b32 s3, s[0:1], 0x64
	s_delay_alu instid0(TRANS32_DEP_1) | instskip(SKIP_1) | instid1(SALU_CYCLE_3)
	v_readfirstlane_b32 s4, v1
	s_mul_f32 s4, s4, 0x4f7ffffe
	s_cvt_u32_f32 s4, s4
	s_delay_alu instid0(SALU_CYCLE_3) | instskip(NEXT) | instid1(SALU_CYCLE_1)
	s_mul_i32 s5, s5, s4
	s_mul_hi_u32 s5, s4, s5
	s_delay_alu instid0(SALU_CYCLE_1) | instskip(SKIP_2) | instid1(SALU_CYCLE_1)
	s_add_co_i32 s4, s4, s5
	s_wait_kmcnt 0x0
	s_mul_hi_u32 s4, s3, s4
	s_mul_i32 s5, s4, s2
	s_delay_alu instid0(SALU_CYCLE_1)
	s_sub_co_i32 s3, s3, s5
	s_add_co_i32 s5, s4, 1
	s_wait_alu 0xfffe
	s_sub_co_i32 s6, s3, s2
	s_cmp_ge_u32 s3, s2
	s_cselect_b32 s4, s5, s4
	s_cselect_b32 s3, s6, s3
	s_add_co_i32 s5, s4, 1
	s_wait_alu 0xfffe
	s_cmp_ge_u32 s3, s2
	s_cselect_b32 s6, s5, s4
	s_load_b64 s[4:5], s[0:1], 0x10
	s_cvt_f32_u32 s2, s6
	s_abs_i32 s33, s19
	s_sub_co_i32 s7, 0, s6
	s_cvt_f32_u32 s3, s33
	s_wait_alu 0xfffe
	v_rcp_iflag_f32_e32 v1, s2
	s_and_b32 s34, ttmp7, 0xffff
	s_delay_alu instid0(TRANS32_DEP_1) | instskip(SKIP_4) | instid1(SALU_CYCLE_2)
	v_readfirstlane_b32 s2, v1
	v_rcp_iflag_f32_e32 v1, s3
	s_mov_b32 s3, s35
	s_mul_f32 s2, s2, 0x4f7ffffe
	s_wait_alu 0xfffe
	s_cvt_u32_f32 s2, s2
	s_wait_alu 0xfffe
	s_delay_alu instid0(SALU_CYCLE_2) | instskip(NEXT) | instid1(SALU_CYCLE_1)
	s_mul_i32 s7, s7, s2
	s_mul_hi_u32 s7, s2, s7
	s_delay_alu instid0(SALU_CYCLE_1) | instskip(NEXT) | instid1(TRANS32_DEP_1)
	s_add_co_i32 s2, s2, s7
	v_readfirstlane_b32 s7, v1
	s_wait_alu 0xfffe
	s_mul_u64 s[2:3], s[34:35], s[2:3]
	s_and_saveexec_b32 s2, vcc_lo
; %bb.1:
	v_mov_b32_e32 v1, -1
	ds_store_b32 v56, v1
; %bb.2:
	s_wait_alu 0xfffe
	s_or_b32 exec_lo, exec_lo, s2
	s_mul_i32 s2, s3, s6
	s_add_co_i32 s20, s3, 1
	s_wait_alu 0xfffe
	s_sub_co_i32 s2, s34, s2
	v_mov_b32_e32 v3, 0
	s_wait_alu 0xfffe
	s_sub_co_i32 s21, s2, s6
	s_cmp_ge_u32 s2, s6
	s_cselect_b32 s3, s20, s3
	s_cselect_b32 s2, s21, s2
	s_wait_alu 0xfffe
	s_add_co_i32 s20, s3, 1
	s_cmp_ge_u32 s2, s6
	s_mov_b32 s2, s15
	s_cselect_b32 s22, s20, s3
	s_ashr_i32 s3, s15, 31
	s_lshl_b32 s28, s22, 2
	s_mul_i32 s22, s22, s6
	v_add_nc_u32_e32 v1, s28, v55
	s_ashr_i32 s29, s28, 31
	v_cmp_gt_i32_e64 s6, s10, v48
	s_wait_alu 0xfffe
	s_mul_u64 s[20:21], s[28:29], s[2:3]
	s_sub_co_i32 s38, s34, s22
	v_cmp_gt_i32_e64 s2, s9, v1
	s_lshl_b64 s[20:21], s[20:21], 2
	s_wait_kmcnt 0x0
	s_add_nc_u64 s[20:21], s[4:5], s[20:21]
	s_and_saveexec_b32 s5, s2
	s_cbranch_execz .LBB52_10
; %bb.3:
	v_mov_b32_e32 v3, 0
	s_and_saveexec_b32 s22, s6
	s_cbranch_execz .LBB52_9
; %bb.4:
	v_mul_lo_u32 v1, v55, s15
	v_dual_mov_b32 v3, 0 :: v_dual_mov_b32 v6, v48
	s_lshl_b32 s24, s14, 5
	s_mov_b32 s23, 0
	s_delay_alu instid0(VALU_DEP_2) | instskip(NEXT) | instid1(VALU_DEP_1)
	v_ashrrev_i32_e32 v2, 31, v1
	v_lshlrev_b64_e32 v[4:5], 2, v[1:2]
	v_mul_lo_u32 v1, v48, s14
	s_delay_alu instid0(VALU_DEP_2) | instskip(SKIP_1) | instid1(VALU_DEP_3)
	v_add_co_u32 v4, s3, s20, v4
	s_wait_alu 0xf1ff
	v_add_co_ci_u32_e64 v5, null, s21, v5, s3
	s_branch .LBB52_6
.LBB52_5:                               ;   in Loop: Header=BB52_6 Depth=1
	s_wait_alu 0xfffe
	s_or_b32 exec_lo, exec_lo, s25
	v_add_nc_u32_e32 v6, 32, v6
	s_xor_b32 s3, s3, -1
	v_add_nc_u32_e32 v1, s24, v1
	s_delay_alu instid0(VALU_DEP_2)
	v_cmp_le_i32_e64 s4, s10, v6
	s_wait_alu 0xfffe
	s_or_b32 s3, s3, s4
	s_wait_alu 0xfffe
	s_and_b32 s3, exec_lo, s3
	s_wait_alu 0xfffe
	s_or_b32 s23, s3, s23
	s_delay_alu instid0(SALU_CYCLE_1)
	s_and_not1_b32 exec_lo, exec_lo, s23
	s_cbranch_execz .LBB52_8
.LBB52_6:                               ; =>This Inner Loop Header: Depth=1
	s_delay_alu instid0(VALU_DEP_3) | instskip(SKIP_1) | instid1(VALU_DEP_1)
	v_ashrrev_i32_e32 v2, 31, v1
	s_mov_b32 s25, exec_lo
	v_lshlrev_b64_e32 v[7:8], 2, v[1:2]
	s_delay_alu instid0(VALU_DEP_1) | instskip(SKIP_1) | instid1(VALU_DEP_2)
	v_add_co_u32 v7, s3, v4, v7
	s_wait_alu 0xf1ff
	v_add_co_ci_u32_e64 v8, null, v5, v8, s3
	global_load_b32 v2, v[7:8], off
	s_wait_loadcnt 0x0
	v_cmp_ne_u32_e64 s3, s38, v2
	v_cmpx_eq_u32_e64 s38, v2
	s_cbranch_execz .LBB52_5
; %bb.7:                                ;   in Loop: Header=BB52_6 Depth=1
	v_mov_b32_e32 v3, 1
	ds_store_b32 v56, v6
	s_branch .LBB52_5
.LBB52_8:
	s_or_b32 exec_lo, exec_lo, s23
.LBB52_9:
	s_delay_alu instid0(SALU_CYCLE_1)
	s_or_b32 exec_lo, exec_lo, s22
.LBB52_10:
	s_delay_alu instid0(SALU_CYCLE_1)
	s_or_b32 exec_lo, exec_lo, s5
	s_and_saveexec_b32 s3, vcc_lo
; %bb.11:
	v_mov_b32_e32 v1, -1
	ds_store_b32 v56, v1 offset:4
; %bb.12:
	s_wait_alu 0xfffe
	s_or_b32 exec_lo, exec_lo, s3
	v_add_nc_u32_e32 v57, 1, v55
	s_mul_f32 s7, s7, 0x4f7ffffe
	s_delay_alu instid0(VALU_DEP_1) | instskip(NEXT) | instid1(VALU_DEP_1)
	v_add_nc_u32_e32 v1, s28, v57
	v_cmp_gt_i32_e64 s3, s9, v1
	s_and_saveexec_b32 s22, s3
	s_cbranch_execz .LBB52_20
; %bb.13:
	s_and_saveexec_b32 s23, s6
	s_cbranch_execz .LBB52_19
; %bb.14:
	v_mul_lo_u32 v1, v57, s15
	v_mov_b32_e32 v6, v48
	s_lshl_b32 s25, s14, 5
	s_mov_b32 s24, 0
	s_delay_alu instid0(VALU_DEP_2) | instskip(NEXT) | instid1(VALU_DEP_1)
	v_ashrrev_i32_e32 v2, 31, v1
	v_lshlrev_b64_e32 v[4:5], 2, v[1:2]
	v_mul_lo_u32 v1, v48, s14
	s_delay_alu instid0(VALU_DEP_2) | instskip(NEXT) | instid1(VALU_DEP_1)
	v_add_co_u32 v4, s4, s20, v4
	v_add_co_ci_u32_e64 v5, null, s21, v5, s4
	s_branch .LBB52_16
.LBB52_15:                              ;   in Loop: Header=BB52_16 Depth=1
	s_or_b32 exec_lo, exec_lo, s26
	v_add_nc_u32_e32 v6, 32, v6
	s_xor_b32 s4, s4, -1
	s_wait_alu 0xfffe
	v_add_nc_u32_e32 v1, s25, v1
	s_delay_alu instid0(VALU_DEP_2)
	v_cmp_le_i32_e64 s5, s10, v6
	s_or_b32 s4, s4, s5
	s_wait_alu 0xfffe
	s_and_b32 s4, exec_lo, s4
	s_wait_alu 0xfffe
	s_or_b32 s24, s4, s24
	s_wait_alu 0xfffe
	s_and_not1_b32 exec_lo, exec_lo, s24
	s_cbranch_execz .LBB52_18
.LBB52_16:                              ; =>This Inner Loop Header: Depth=1
	s_delay_alu instid0(VALU_DEP_3) | instskip(SKIP_1) | instid1(VALU_DEP_1)
	v_ashrrev_i32_e32 v2, 31, v1
	s_mov_b32 s26, exec_lo
	v_lshlrev_b64_e32 v[7:8], 2, v[1:2]
	s_delay_alu instid0(VALU_DEP_1) | instskip(SKIP_1) | instid1(VALU_DEP_2)
	v_add_co_u32 v7, s4, v4, v7
	s_wait_alu 0xf1ff
	v_add_co_ci_u32_e64 v8, null, v5, v8, s4
	global_load_b32 v2, v[7:8], off
	s_wait_loadcnt 0x0
	v_cmp_ne_u32_e64 s4, s38, v2
	v_cmpx_eq_u32_e64 s38, v2
	s_cbranch_execz .LBB52_15
; %bb.17:                               ;   in Loop: Header=BB52_16 Depth=1
	v_mov_b32_e32 v3, 1
	ds_store_b32 v56, v6 offset:4
	s_branch .LBB52_15
.LBB52_18:
	s_or_b32 exec_lo, exec_lo, s24
.LBB52_19:
	s_delay_alu instid0(SALU_CYCLE_1)
	s_or_b32 exec_lo, exec_lo, s23
.LBB52_20:
	s_delay_alu instid0(SALU_CYCLE_1)
	s_or_b32 exec_lo, exec_lo, s22
	s_cvt_u32_f32 s22, s7
	s_sub_co_i32 s23, 0, s33
	s_and_saveexec_b32 s4, vcc_lo
; %bb.21:
	v_mov_b32_e32 v1, -1
	ds_store_b32 v56, v1 offset:8
; %bb.22:
	s_wait_alu 0xfffe
	s_or_b32 exec_lo, exec_lo, s4
	v_add_nc_u32_e32 v58, 2, v55
	s_mul_i32 s23, s23, s22
	s_delay_alu instid0(VALU_DEP_1) | instskip(NEXT) | instid1(VALU_DEP_1)
	v_add_nc_u32_e32 v1, s28, v58
	v_cmp_gt_i32_e64 s4, s9, v1
	s_and_saveexec_b32 s24, s4
	s_cbranch_execz .LBB52_30
; %bb.23:
	s_and_saveexec_b32 s25, s6
	s_cbranch_execz .LBB52_29
; %bb.24:
	v_mul_lo_u32 v1, v58, s15
	v_mov_b32_e32 v6, v48
	s_lshl_b32 s27, s14, 5
	s_mov_b32 s26, 0
	s_delay_alu instid0(VALU_DEP_2) | instskip(NEXT) | instid1(VALU_DEP_1)
	v_ashrrev_i32_e32 v2, 31, v1
	v_lshlrev_b64_e32 v[4:5], 2, v[1:2]
	v_mul_lo_u32 v1, v48, s14
	s_delay_alu instid0(VALU_DEP_2) | instskip(SKIP_1) | instid1(VALU_DEP_3)
	v_add_co_u32 v4, s5, s20, v4
	s_wait_alu 0xf1ff
	v_add_co_ci_u32_e64 v5, null, s21, v5, s5
	s_branch .LBB52_26
.LBB52_25:                              ;   in Loop: Header=BB52_26 Depth=1
	s_or_b32 exec_lo, exec_lo, s30
	v_add_nc_u32_e32 v6, 32, v6
	s_xor_b32 s5, s5, -1
	v_add_nc_u32_e32 v1, s27, v1
	s_delay_alu instid0(VALU_DEP_2)
	v_cmp_le_i32_e64 s7, s10, v6
	s_wait_alu 0xfffe
	s_or_b32 s5, s5, s7
	s_wait_alu 0xfffe
	s_and_b32 s5, exec_lo, s5
	s_wait_alu 0xfffe
	s_or_b32 s26, s5, s26
	s_wait_alu 0xfffe
	s_and_not1_b32 exec_lo, exec_lo, s26
	s_cbranch_execz .LBB52_28
.LBB52_26:                              ; =>This Inner Loop Header: Depth=1
	s_delay_alu instid0(VALU_DEP_3) | instskip(SKIP_1) | instid1(VALU_DEP_1)
	v_ashrrev_i32_e32 v2, 31, v1
	s_mov_b32 s30, exec_lo
	v_lshlrev_b64_e32 v[7:8], 2, v[1:2]
	s_delay_alu instid0(VALU_DEP_1) | instskip(SKIP_1) | instid1(VALU_DEP_2)
	v_add_co_u32 v7, s5, v4, v7
	s_wait_alu 0xf1ff
	v_add_co_ci_u32_e64 v8, null, v5, v8, s5
	global_load_b32 v2, v[7:8], off
	s_wait_loadcnt 0x0
	v_cmp_ne_u32_e64 s5, s38, v2
	v_cmpx_eq_u32_e64 s38, v2
	s_cbranch_execz .LBB52_25
; %bb.27:                               ;   in Loop: Header=BB52_26 Depth=1
	v_mov_b32_e32 v3, 1
	ds_store_b32 v56, v6 offset:8
	s_branch .LBB52_25
.LBB52_28:
	s_or_b32 exec_lo, exec_lo, s26
.LBB52_29:
	s_wait_alu 0xfffe
	s_or_b32 exec_lo, exec_lo, s25
.LBB52_30:
	s_wait_alu 0xfffe
	s_or_b32 exec_lo, exec_lo, s24
	s_lshr_b32 s30, ttmp7, 16
	s_mul_hi_u32 s7, s22, s23
	s_and_saveexec_b32 s5, vcc_lo
; %bb.31:
	v_mov_b32_e32 v1, -1
	ds_store_b32 v56, v1 offset:12
; %bb.32:
	s_wait_alu 0xfffe
	s_or_b32 exec_lo, exec_lo, s5
	s_load_b96 s[24:26], s[0:1], 0x54
	v_add_nc_u32_e32 v59, 3, v55
	s_abs_i32 s34, s30
	s_add_co_i32 s36, s22, s7
	s_add_nc_u64 s[22:23], s[0:1], 0x60
	s_delay_alu instid0(VALU_DEP_1) | instskip(NEXT) | instid1(VALU_DEP_1)
	v_add_nc_u32_e32 v1, s28, v59
	v_cmp_gt_i32_e64 s5, s9, v1
	s_and_saveexec_b32 s7, s5
	s_cbranch_execz .LBB52_40
; %bb.33:
	s_and_saveexec_b32 s27, s6
	s_cbranch_execz .LBB52_39
; %bb.34:
	v_mul_lo_u32 v1, v59, s15
	v_mov_b32_e32 v6, v48
	s_lshl_b32 s15, s14, 5
	s_delay_alu instid0(VALU_DEP_2) | instskip(NEXT) | instid1(VALU_DEP_1)
	v_ashrrev_i32_e32 v2, 31, v1
	v_lshlrev_b64_e32 v[4:5], 2, v[1:2]
	v_mul_lo_u32 v1, v48, s14
	s_mov_b32 s14, 0
	s_delay_alu instid0(VALU_DEP_2) | instskip(NEXT) | instid1(VALU_DEP_1)
	v_add_co_u32 v4, vcc_lo, s20, v4
	v_add_co_ci_u32_e64 v5, null, s21, v5, vcc_lo
	s_branch .LBB52_36
.LBB52_35:                              ;   in Loop: Header=BB52_36 Depth=1
	s_wait_alu 0xfffe
	s_or_b32 exec_lo, exec_lo, s20
	v_add_nc_u32_e32 v6, 32, v6
	s_xor_b32 s20, vcc_lo, -1
	v_add_nc_u32_e32 v1, s15, v1
	s_delay_alu instid0(VALU_DEP_2) | instskip(SKIP_2) | instid1(SALU_CYCLE_1)
	v_cmp_le_i32_e64 s6, s10, v6
	s_wait_alu 0xfffe
	s_or_b32 s6, s20, s6
	s_and_b32 s6, exec_lo, s6
	s_delay_alu instid0(SALU_CYCLE_1)
	s_or_b32 s14, s6, s14
	s_wait_alu 0xfffe
	s_and_not1_b32 exec_lo, exec_lo, s14
	s_cbranch_execz .LBB52_38
.LBB52_36:                              ; =>This Inner Loop Header: Depth=1
	s_delay_alu instid0(VALU_DEP_3) | instskip(SKIP_1) | instid1(VALU_DEP_1)
	v_ashrrev_i32_e32 v2, 31, v1
	s_mov_b32 s20, exec_lo
	v_lshlrev_b64_e32 v[7:8], 2, v[1:2]
	s_delay_alu instid0(VALU_DEP_1) | instskip(SKIP_1) | instid1(VALU_DEP_2)
	v_add_co_u32 v7, vcc_lo, v4, v7
	s_wait_alu 0xfffd
	v_add_co_ci_u32_e64 v8, null, v5, v8, vcc_lo
	global_load_b32 v2, v[7:8], off
	s_wait_loadcnt 0x0
	v_cmp_ne_u32_e32 vcc_lo, s38, v2
	v_cmpx_eq_u32_e64 s38, v2
	s_cbranch_execz .LBB52_35
; %bb.37:                               ;   in Loop: Header=BB52_36 Depth=1
	v_mov_b32_e32 v3, 1
	ds_store_b32 v56, v6 offset:12
	s_branch .LBB52_35
.LBB52_38:
	s_or_b32 exec_lo, exec_lo, s14
.LBB52_39:
	s_wait_alu 0xfffe
	s_or_b32 exec_lo, exec_lo, s27
.LBB52_40:
	s_delay_alu instid0(SALU_CYCLE_1) | instskip(SKIP_3) | instid1(VALU_DEP_1)
	s_or_b32 exec_lo, exec_lo, s7
	v_or_b32_dpp v1, v3, v3 row_shl:1 row_mask:0xf bank_mask:0xf bound_ctrl:1
	s_load_b64 s[14:15], s[22:23], 0xc
	s_mov_b32 s37, s35
	v_or_b32_dpp v1, v1, v1 row_shl:2 row_mask:0xf bank_mask:0xf bound_ctrl:1
	s_delay_alu instid0(VALU_DEP_1) | instskip(NEXT) | instid1(VALU_DEP_1)
	v_or_b32_dpp v1, v1, v1 row_shl:4 row_mask:0xf bank_mask:0xf bound_ctrl:1
	v_or_b32_dpp v1, v1, v1 row_shl:8 row_mask:0xf bank_mask:0xf bound_ctrl:1
	s_delay_alu instid0(VALU_DEP_1)
	v_mov_b32_dpp v1, v1 row_share:0 row_mask:0xf bank_mask:0xf bound_ctrl:1
	s_wait_kmcnt 0x0
	s_lshr_b32 s7, s14, 16
	s_and_b32 s6, s14, 0xffff
	s_and_b32 s14, s15, 0xffff
	s_mul_i32 s10, s7, s6
	v_permlanex16_b32 v2, v1, 0, 0 op_sel:[0,1]
	s_wait_alu 0xfffe
	s_bfe_i32 s10, s10, 0x180000
	s_wait_alu 0xfffe
	s_mul_i32 s10, s10, s14
	s_wait_alu 0xfffe
	s_add_co_i32 s10, s10, 31
	v_or_b32_e32 v2, v2, v1
	s_wait_alu 0xfffe
	s_and_not1_b32 s10, s10, 31
	s_wait_alu 0xfffe
	s_cmp_lg_u32 s10, 32
	s_cbranch_scc0 .LBB52_49
; %bb.41:
	v_bfe_u32 v0, v0, 20, 10
	s_delay_alu instid0(VALU_DEP_1) | instskip(NEXT) | instid1(VALU_DEP_1)
	v_mad_u32_u24 v0, v0, s7, v55
	v_mad_co_u64_u32 v[0:1], null, v0, s6, v[48:49]
	v_mbcnt_lo_u32_b32 v1, -1, 0
	s_mov_b32 s6, exec_lo
	s_delay_alu instid0(VALU_DEP_2) | instskip(NEXT) | instid1(VALU_DEP_1)
	v_lshrrev_b32_e32 v3, 5, v0
	v_or_b32_e32 v3, v1, v3
	s_delay_alu instid0(VALU_DEP_1)
	v_cmpx_eq_u32_e32 0, v3
; %bb.42:
	v_mov_b32_e32 v3, 0
	ds_store_b32 v3, v2
; %bb.43:
	s_wait_alu 0xfffe
	s_or_b32 exec_lo, exec_lo, s6
	v_cmp_eq_u32_e32 vcc_lo, 0, v1
	v_cmp_lt_u32_e64 s6, 31, v0
	s_mov_b32 s7, 0
	s_wait_dscnt 0x0
	; wave barrier
	global_inv scope:SCOPE_SE
	s_and_b32 s10, s6, vcc_lo
	s_wait_alu 0xfffe
	s_and_saveexec_b32 s6, s10
	s_cbranch_execz .LBB52_48
; %bb.44:
	s_mov_b32 s10, exec_lo
.LBB52_45:                              ; =>This Inner Loop Header: Depth=1
	s_wait_alu 0xfffe
	s_ctz_i32_b32 s14, s10
	s_wait_alu 0xfffe
	v_readlane_b32 s15, v2, s14
	s_lshl_b32 s14, 1, s14
	s_wait_alu 0xfffe
	s_and_not1_b32 s10, s10, s14
	s_or_b32 s7, s7, s15
	s_wait_alu 0xfffe
	s_cmp_lg_u32 s10, 0
	s_cbranch_scc1 .LBB52_45
; %bb.46:
	v_mbcnt_lo_u32_b32 v0, exec_lo, 0
	s_mov_b32 s10, exec_lo
	s_delay_alu instid0(VALU_DEP_1)
	v_cmpx_eq_u32_e32 0, v0
	s_wait_alu 0xfffe
	s_xor_b32 s10, exec_lo, s10
; %bb.47:
	v_dual_mov_b32 v0, 0 :: v_dual_mov_b32 v1, s7
	ds_or_b32 v0, v1
.LBB52_48:
	s_wait_alu 0xfffe
	s_or_b32 exec_lo, exec_lo, s6
	v_mov_b32_e32 v0, 0
	; wave barrier
	s_wait_loadcnt_dscnt 0x0
	global_inv scope:SCOPE_SE
	ds_load_b32 v2, v0
	; wave barrier
	s_wait_loadcnt_dscnt 0x0
	global_inv scope:SCOPE_SE
.LBB52_49:
	s_clause 0x1
	s_load_b128 s[20:23], s[0:1], 0x0
	s_load_b64 s[6:7], s[0:1], 0x18
	s_mul_u64 s[0:1], s[34:35], s[36:37]
	s_ashr_i32 s0, s19, 31
	s_mov_b32 s31, 0
	s_mov_b32 s10, exec_lo
	v_cmpx_ne_u32_e32 0, v2
	s_cbranch_execz .LBB52_88
; %bb.50:
	v_lshlrev_b32_e32 v60, 5, v55
	v_and_b32_e32 v16, 15, v48
	s_mov_b32 s10, exec_lo
                                        ; implicit-def: $vgpr63
	s_delay_alu instid0(VALU_DEP_2) | instskip(NEXT) | instid1(VALU_DEP_1)
	v_add_nc_u32_e32 v62, v60, v48
	v_cmpx_le_i32_e64 s8, v62
	s_wait_alu 0xfffe
	s_xor_b32 s10, exec_lo, s10
; %bb.51:
	v_mul_u32_u24_e32 v63, 0x90, v16
                                        ; implicit-def: $vgpr62
                                        ; implicit-def: $vgpr16
; %bb.52:
	s_wait_alu 0xfffe
	s_or_saveexec_b32 s27, s10
	v_mov_b32_e32 v15, 0
	v_lshlrev_b32_e32 v61, 1, v48
	s_lshl_b32 s19, ttmp9, 5
	s_delay_alu instid0(VALU_DEP_2)
	v_dual_mov_b32 v14, v15 :: v_dual_mov_b32 v13, v15
	v_dual_mov_b32 v12, v15 :: v_dual_mov_b32 v11, v15
	;; [unrolled: 1-line block ×7, first 2 shown]
	v_mov_b32_e32 v0, v15
	s_wait_alu 0xfffe
	s_xor_b32 exec_lo, exec_lo, s27
	s_cbranch_execz .LBB52_72
; %bb.53:
	s_mul_i32 s10, s1, s33
	s_add_co_i32 s15, s1, 1
	s_wait_alu 0xfffe
	s_sub_co_i32 s10, s34, s10
	s_mov_b32 s14, s24
	s_wait_alu 0xfffe
	s_sub_co_i32 s35, s10, s33
	s_cmp_ge_u32 s10, s33
	s_mul_i32 s34, s38, s16
	s_cselect_b32 s1, s15, s1
	s_cselect_b32 s10, s35, s10
	s_add_co_i32 s15, s1, 1
	s_wait_alu 0xfffe
	s_cmp_ge_u32 s10, s33
	s_mul_i32 s36, s11, s19
	s_cselect_b32 s1, s15, s1
	s_ashr_i32 s15, s24, 31
	s_xor_b32 s1, s1, s0
	s_ashr_i32 s35, s34, 31
	s_sub_co_i32 s0, s1, s0
	s_mov_b32 s38, s25
	s_ashr_i32 s1, s0, 31
	s_mov_b32 s40, s12
	s_wait_alu 0xfffe
	s_mul_u64 s[0:1], s[0:1], s[14:15]
	s_ashr_i32 s37, s36, 31
	s_lshl_b64 s[66:67], s[0:1], 2
	s_ashr_i32 s39, s25, 31
	s_ashr_i32 s41, s12, 31
	s_lshl_b64 s[64:65], s[34:35], 2
	s_wait_kmcnt 0x0
	s_add_nc_u64 s[0:1], s[20:21], s[66:67]
	s_lshl_b64 s[68:69], s[36:37], 2
	s_mul_u64 s[24:25], s[40:41], s[28:29]
	s_add_nc_u64 s[0:1], s[0:1], s[64:65]
	s_wait_alu 0xfffe
	s_mul_u64 s[34:35], s[38:39], s[30:31]
	s_add_nc_u64 s[14:15], s[0:1], s[68:69]
	s_lshl_b64 s[24:25], s[24:25], 3
	s_lshl_b64 s[0:1], s[34:35], 2
	s_movk_i32 s10, 0x900
	s_cmp_lt_i32 s28, s9
	s_wait_alu 0xfffe
	v_mad_u32_u24 v0, v55, s10, 0x100
	s_add_nc_u64 s[22:23], s[22:23], s[0:1]
	s_cselect_b32 s1, -1, 0
	s_or_b32 s0, s28, 1
	v_mul_u32_u24_e32 v63, 0x90, v16
	v_dual_mov_b32 v66, 0 :: v_dual_and_b32 v1, 0x3f0, v48
	s_cmp_lt_i32 s0, s9
	s_add_nc_u64 s[66:67], s[66:67], s[68:69]
	s_cselect_b32 s16, -1, 0
	s_or_b32 s0, s28, 2
	v_lshl_add_u32 v64, v48, 2, v0
	v_add3_u32 v65, v0, v63, v1
	v_dual_mov_b32 v67, 0x100 :: v_dual_lshlrev_b32 v0, 2, v62
	s_cmp_lt_i32 s0, s9
	s_add_nc_u64 s[64:65], s[66:67], s[64:65]
	s_add_nc_u64 s[22:23], s[22:23], s[24:25]
	s_cselect_b32 s24, -1, 0
	s_or_b32 s0, s28, 3
	s_add_nc_u64 s[20:21], s[20:21], s[64:65]
	s_lshl_b32 s25, s12, 2
	s_cmp_lt_i32 s0, s9
	s_wait_alu 0xfffe
	v_add_co_u32 v50, s0, s20, v0
	v_lshl_add_u32 v49, v55, 6, v61
	v_add_co_ci_u32_e64 v51, null, s21, 0, s0
	v_dual_mov_b32 v0, 0 :: v_dual_mov_b32 v1, v66
	v_dual_mov_b32 v2, v66 :: v_dual_mov_b32 v3, v66
	;; [unrolled: 1-line block ×8, first 2 shown]
	s_cselect_b32 s9, -1, 0
	s_ashr_i32 s71, s11, 31
	s_mov_b32 s70, s11
	s_add_co_i32 s33, s11, s11
	s_mul_i32 s34, s11, 3
	s_lshl_b32 s35, s11, 2
	s_mul_i32 s36, s11, 5
	s_mul_i32 s37, s11, 6
	;; [unrolled: 1-line block ×3, first 2 shown]
	s_lshl_b32 s39, s11, 3
	s_mul_i32 s40, s11, 9
	s_mul_i32 s41, s11, 10
	;; [unrolled: 1-line block ×7, first 2 shown]
	s_lshl_b32 s47, s11, 4
	s_mul_i32 s48, s11, 17
	s_mul_i32 s49, s11, 18
	;; [unrolled: 1-line block ×15, first 2 shown]
	s_lshl_b64 s[10:11], s[70:71], 2
	s_mul_i32 s20, s12, 6
	s_lshl_b32 s21, s12, 1
	s_mov_b32 s12, 0
	s_branch .LBB52_56
.LBB52_54:                              ;   in Loop: Header=BB52_56 Depth=1
	v_mul_lo_u32 v52, v52, s17
	s_delay_alu instid0(VALU_DEP_1) | instskip(NEXT) | instid1(VALU_DEP_1)
	v_add3_u32 v52, v52, s20, v49
	v_ashrrev_i32_e32 v53, 31, v52
	s_delay_alu instid0(VALU_DEP_1) | instskip(NEXT) | instid1(VALU_DEP_1)
	v_lshlrev_b64_e32 v[52:53], 2, v[52:53]
	v_add_co_u32 v52, vcc_lo, s22, v52
	s_wait_alu 0xfffd
	s_delay_alu instid0(VALU_DEP_2)
	v_add_co_ci_u32_e64 v53, null, s23, v53, vcc_lo
	global_load_b64 v[52:53], v[52:53], off
.LBB52_55:                              ;   in Loop: Header=BB52_56 Depth=1
	s_wait_loadcnt 0x0
	s_delay_alu instid0(VALU_DEP_1) | instskip(NEXT) | instid1(VALU_DEP_2)
	v_bfe_u32 v54, v52, 16, 1
	v_bfe_u32 v68, v53, 16, 1
	v_or_b32_e32 v69, 0x400000, v52
	v_cmp_u_f32_e32 vcc_lo, v52, v52
	v_or_b32_e32 v70, 0x400000, v53
	v_add3_u32 v54, v54, v52, 0x7fff
	v_add3_u32 v68, v68, v53, 0x7fff
	ds_store_2addr_b32 v64, v66, v66 offset0:196 offset1:232
	ds_store_b32 v64, v66 offset:2224
	v_add_nc_u32_e32 v62, 32, v62
	s_wait_alu 0xfffd
	v_cndmask_b32_e32 v52, v54, v69, vcc_lo
	v_cmp_u_f32_e32 vcc_lo, v53, v53
	v_add_nc_u32_e32 v54, 0x400, v64
	v_add_co_u32 v50, s0, 0x80, v50
	v_add_nc_u32_e32 v49, 64, v49
	s_wait_alu 0xfffd
	v_dual_cndmask_b32 v53, v68, v70 :: v_dual_add_nc_u32 v68, 0x600, v64
	v_cmp_le_i32_e32 vcc_lo, s8, v62
	s_wait_alu 0xf1ff
	v_add_co_ci_u32_e64 v51, null, 0, v51, s0
	s_delay_alu instid0(VALU_DEP_3)
	v_perm_b32 v52, v53, v52, 0x7060302
	ds_store_2addr_b32 v54, v66, v66 offset0:12 offset1:48
	ds_store_2addr_b32 v54, v66, v66 offset0:84 offset1:120
	;; [unrolled: 1-line block ×5, first 2 shown]
	ds_load_b128 v[68:71], v65 offset:64
	ds_load_b128 v[72:75], v65 offset:96
	;; [unrolled: 1-line block ×4, first 2 shown]
	s_or_b32 s12, vcc_lo, s12
	s_wait_dscnt 0x3
	v_wmma_f32_16x16x16_bf16 v[8:15], v[32:35], v[68:71], v[8:15]
	v_wmma_f32_16x16x16_bf16 v[0:7], v[44:47], v[68:71], v[0:7]
	s_wait_dscnt 0x2
	s_delay_alu instid0(VALU_DEP_2) | instskip(NEXT) | instid1(VALU_DEP_2)
	v_wmma_f32_16x16x16_bf16 v[8:15], v[28:31], v[72:75], v[8:15]
	v_wmma_f32_16x16x16_bf16 v[0:7], v[40:43], v[72:75], v[0:7]
	s_wait_dscnt 0x1
	s_delay_alu instid0(VALU_DEP_2) | instskip(NEXT) | instid1(VALU_DEP_2)
	;; [unrolled: 4-line block ×3, first 2 shown]
	v_wmma_f32_16x16x16_bf16 v[8:15], v[16:19], v[80:83], v[8:15]
	v_wmma_f32_16x16x16_bf16 v[0:7], v[20:23], v[80:83], v[0:7]
	s_and_not1_b32 exec_lo, exec_lo, s12
	s_cbranch_execz .LBB52_71
.LBB52_56:                              ; =>This Inner Loop Header: Depth=1
	v_add_nc_u32_e32 v22, s35, v62
	v_add_nc_u32_e32 v16, s33, v62
	s_wait_alu 0xfffe
	v_add_co_u32 v20, vcc_lo, v50, s10
	v_add_nc_u32_e32 v18, s34, v62
	s_wait_alu 0xfffd
	v_add_co_ci_u32_e64 v21, null, s11, v51, vcc_lo
	v_ashrrev_i32_e32 v23, 31, v22
	v_ashrrev_i32_e32 v17, 31, v16
	v_add_nc_u32_e32 v24, s36, v62
	v_ashrrev_i32_e32 v19, 31, v18
	s_clause 0x1
	global_load_b32 v38, v[50:51], off
	global_load_b32 v39, v[20:21], off
	v_lshlrev_b64_e32 v[20:21], 2, v[22:23]
	v_add_nc_u32_e32 v22, s37, v62
	v_lshlrev_b64_e32 v[16:17], 2, v[16:17]
	v_add_nc_u32_e32 v26, s38, v62
	v_ashrrev_i32_e32 v25, 31, v24
	v_lshlrev_b64_e32 v[18:19], 2, v[18:19]
	v_add_nc_u32_e32 v28, s39, v62
	v_ashrrev_i32_e32 v23, 31, v22
	v_add_nc_u32_e32 v30, s40, v62
	v_ashrrev_i32_e32 v27, 31, v26
	v_add_co_u32 v16, vcc_lo, s14, v16
	v_lshlrev_b64_e32 v[24:25], 2, v[24:25]
	v_ashrrev_i32_e32 v29, 31, v28
	s_wait_alu 0xfffd
	v_add_co_ci_u32_e64 v17, null, s15, v17, vcc_lo
	v_add_co_u32 v18, vcc_lo, s14, v18
	v_lshlrev_b64_e32 v[22:23], 2, v[22:23]
	v_ashrrev_i32_e32 v31, 31, v30
	s_wait_alu 0xfffd
	v_add_co_ci_u32_e64 v19, null, s15, v19, vcc_lo
	v_add_co_u32 v20, vcc_lo, s14, v20
	v_lshlrev_b64_e32 v[26:27], 2, v[26:27]
	s_wait_alu 0xfffd
	v_add_co_ci_u32_e64 v21, null, s15, v21, vcc_lo
	v_add_co_u32 v24, vcc_lo, s14, v24
	v_lshlrev_b64_e32 v[28:29], 2, v[28:29]
	;; [unrolled: 4-line block ×3, first 2 shown]
	s_wait_alu 0xfffd
	v_add_co_ci_u32_e64 v23, null, s15, v23, vcc_lo
	v_add_co_u32 v26, vcc_lo, s14, v26
	v_add_nc_u32_e32 v32, s41, v62
	s_wait_alu 0xfffd
	v_add_co_ci_u32_e64 v27, null, s15, v27, vcc_lo
	v_add_co_u32 v28, vcc_lo, s14, v28
	v_add_nc_u32_e32 v34, s42, v62
	;; [unrolled: 4-line block ×3, first 2 shown]
	v_ashrrev_i32_e32 v33, 31, v32
	s_wait_alu 0xfffd
	v_add_co_ci_u32_e64 v31, null, s15, v31, vcc_lo
	s_clause 0x7
	global_load_b32 v40, v[16:17], off
	global_load_b32 v41, v[18:19], off
	;; [unrolled: 1-line block ×8, first 2 shown]
	v_add_nc_u32_e32 v18, s44, v62
	v_ashrrev_i32_e32 v35, 31, v34
	v_add_nc_u32_e32 v24, s45, v62
	v_ashrrev_i32_e32 v37, 31, v36
	v_lshlrev_b64_e32 v[32:33], 2, v[32:33]
	v_add_nc_u32_e32 v26, s46, v62
	v_ashrrev_i32_e32 v19, 31, v18
	v_lshlrev_b64_e32 v[16:17], 2, v[34:35]
	;; [unrolled: 3-line block ×3, first 2 shown]
	v_add_nc_u32_e32 v30, s48, v62
	v_ashrrev_i32_e32 v27, 31, v26
	v_add_co_u32 v20, vcc_lo, s14, v32
	v_lshlrev_b64_e32 v[18:19], 2, v[18:19]
	v_ashrrev_i32_e32 v29, 31, v28
	s_wait_alu 0xfffd
	v_add_co_ci_u32_e64 v21, null, s15, v33, vcc_lo
	v_add_co_u32 v16, vcc_lo, s14, v16
	v_lshlrev_b64_e32 v[24:25], 2, v[24:25]
	v_ashrrev_i32_e32 v31, 31, v30
	s_wait_alu 0xfffd
	v_add_co_ci_u32_e64 v17, null, s15, v17, vcc_lo
	v_add_co_u32 v22, vcc_lo, s14, v22
	v_lshlrev_b64_e32 v[26:27], 2, v[26:27]
	s_wait_alu 0xfffd
	v_add_co_ci_u32_e64 v23, null, s15, v23, vcc_lo
	v_add_co_u32 v18, vcc_lo, s14, v18
	v_lshlrev_b64_e32 v[28:29], 2, v[28:29]
	;; [unrolled: 4-line block ×3, first 2 shown]
	s_wait_alu 0xfffd
	v_add_co_ci_u32_e64 v25, null, s15, v25, vcc_lo
	v_add_co_u32 v26, vcc_lo, s14, v26
	v_add_nc_u32_e32 v32, s49, v62
	s_wait_alu 0xfffd
	v_add_co_ci_u32_e64 v27, null, s15, v27, vcc_lo
	v_add_co_u32 v28, vcc_lo, s14, v28
	v_add_nc_u32_e32 v34, s50, v62
	;; [unrolled: 4-line block ×3, first 2 shown]
	v_ashrrev_i32_e32 v33, 31, v32
	s_wait_alu 0xfffd
	v_add_co_ci_u32_e64 v31, null, s15, v31, vcc_lo
	s_clause 0x7
	global_load_b32 v52, v[20:21], off
	global_load_b32 v53, v[16:17], off
	;; [unrolled: 1-line block ×8, first 2 shown]
	v_add_nc_u32_e32 v18, s52, v62
	v_ashrrev_i32_e32 v35, 31, v34
	v_add_nc_u32_e32 v24, s53, v62
	v_ashrrev_i32_e32 v37, 31, v36
	v_lshlrev_b64_e32 v[32:33], 2, v[32:33]
	v_add_nc_u32_e32 v26, s54, v62
	v_ashrrev_i32_e32 v19, 31, v18
	v_lshlrev_b64_e32 v[16:17], 2, v[34:35]
	;; [unrolled: 3-line block ×3, first 2 shown]
	v_add_nc_u32_e32 v30, s56, v62
	v_ashrrev_i32_e32 v27, 31, v26
	v_add_co_u32 v20, vcc_lo, s14, v32
	v_lshlrev_b64_e32 v[18:19], 2, v[18:19]
	v_ashrrev_i32_e32 v29, 31, v28
	s_wait_alu 0xfffd
	v_add_co_ci_u32_e64 v21, null, s15, v33, vcc_lo
	v_add_co_u32 v16, vcc_lo, s14, v16
	v_lshlrev_b64_e32 v[24:25], 2, v[24:25]
	v_ashrrev_i32_e32 v31, 31, v30
	s_wait_alu 0xfffd
	v_add_co_ci_u32_e64 v17, null, s15, v17, vcc_lo
	v_add_co_u32 v22, vcc_lo, s14, v22
	v_lshlrev_b64_e32 v[26:27], 2, v[26:27]
	s_wait_alu 0xfffd
	v_add_co_ci_u32_e64 v23, null, s15, v23, vcc_lo
	v_add_co_u32 v18, vcc_lo, s14, v18
	v_lshlrev_b64_e32 v[28:29], 2, v[28:29]
	;; [unrolled: 4-line block ×3, first 2 shown]
	s_wait_alu 0xfffd
	v_add_co_ci_u32_e64 v25, null, s15, v25, vcc_lo
	v_add_co_u32 v26, vcc_lo, s14, v26
	v_add_nc_u32_e32 v32, s57, v62
	s_wait_alu 0xfffd
	v_add_co_ci_u32_e64 v27, null, s15, v27, vcc_lo
	v_add_co_u32 v28, vcc_lo, s14, v28
	v_add_nc_u32_e32 v34, s58, v62
	;; [unrolled: 4-line block ×3, first 2 shown]
	v_ashrrev_i32_e32 v33, 31, v32
	s_wait_alu 0xfffd
	v_add_co_ci_u32_e64 v31, null, s15, v31, vcc_lo
	s_clause 0x7
	global_load_b32 v73, v[20:21], off
	global_load_b32 v74, v[16:17], off
	;; [unrolled: 1-line block ×8, first 2 shown]
	v_add_nc_u32_e32 v18, s60, v62
	v_ashrrev_i32_e32 v35, 31, v34
	v_add_nc_u32_e32 v24, s61, v62
	v_ashrrev_i32_e32 v37, 31, v36
	v_lshlrev_b64_e32 v[32:33], 2, v[32:33]
	v_add_nc_u32_e32 v26, s62, v62
	v_ashrrev_i32_e32 v19, 31, v18
	v_lshlrev_b64_e32 v[16:17], 2, v[34:35]
	v_ashrrev_i32_e32 v25, 31, v24
	v_lshlrev_b64_e32 v[22:23], 2, v[36:37]
	v_ashrrev_i32_e32 v27, 31, v26
	v_add_co_u32 v20, vcc_lo, s14, v32
	v_lshlrev_b64_e32 v[18:19], 2, v[18:19]
	s_wait_alu 0xfffd
	v_add_co_ci_u32_e64 v21, null, s15, v33, vcc_lo
	v_add_co_u32 v16, vcc_lo, s14, v16
	v_lshlrev_b64_e32 v[24:25], 2, v[24:25]
	s_wait_alu 0xfffd
	v_add_co_ci_u32_e64 v17, null, s15, v17, vcc_lo
	v_add_co_u32 v22, vcc_lo, s14, v22
	v_lshlrev_b64_e32 v[26:27], 2, v[26:27]
	s_wait_alu 0xfffd
	v_add_co_ci_u32_e64 v23, null, s15, v23, vcc_lo
	v_add_co_u32 v18, vcc_lo, s14, v18
	s_wait_alu 0xfffd
	v_add_co_ci_u32_e64 v19, null, s15, v19, vcc_lo
	v_add_co_u32 v24, vcc_lo, s14, v24
	s_wait_alu 0xfffd
	v_add_co_ci_u32_e64 v25, null, s15, v25, vcc_lo
	;; [unrolled: 3-line block ×3, first 2 shown]
	s_clause 0x5
	global_load_b32 v20, v[20:21], off
	global_load_b32 v21, v[16:17], off
	;; [unrolled: 1-line block ×6, first 2 shown]
	s_and_not1_b32 vcc_lo, exec_lo, s1
	s_wait_loadcnt 0x1f
	ds_store_b32 v64, v38 offset:64
	s_wait_loadcnt 0x1e
	ds_store_b32 v64, v39 offset:208
	;; [unrolled: 2-line block ×16, first 2 shown]
	ds_load_b128 v[32:35], v65 offset:64
	ds_load_b128 v[28:31], v65 offset:96
	;; [unrolled: 1-line block ×4, first 2 shown]
	s_wait_loadcnt 0xf
	ds_store_b32 v64, v71 offset:64
	s_wait_loadcnt 0xe
	ds_store_b32 v64, v72 offset:208
	;; [unrolled: 2-line block ×16, first 2 shown]
	ds_load_b128 v[44:47], v65 offset:64
	ds_load_b128 v[40:43], v65 offset:96
	;; [unrolled: 1-line block ×4, first 2 shown]
	v_dual_mov_b32 v52, 0 :: v_dual_mov_b32 v53, 0
	s_wait_alu 0xfffe
	s_cbranch_vccnz .LBB52_60
; %bb.57:                               ;   in Loop: Header=BB52_56 Depth=1
	ds_load_b32 v52, v67
	s_wait_dscnt 0x0
	v_cmp_gt_i32_e32 vcc_lo, 0, v52
	s_cbranch_vccnz .LBB52_59
; %bb.58:                               ;   in Loop: Header=BB52_56 Depth=1
	v_mad_co_u64_u32 v[52:53], null, v52, s17, v[49:50]
	s_delay_alu instid0(VALU_DEP_1) | instskip(NEXT) | instid1(VALU_DEP_1)
	v_ashrrev_i32_e32 v53, 31, v52
	v_lshlrev_b64_e32 v[52:53], 2, v[52:53]
	s_delay_alu instid0(VALU_DEP_1) | instskip(SKIP_1) | instid1(VALU_DEP_2)
	v_add_co_u32 v52, vcc_lo, s22, v52
	s_wait_alu 0xfffd
	v_add_co_ci_u32_e64 v53, null, s23, v53, vcc_lo
	global_load_b64 v[52:53], v[52:53], off
	s_branch .LBB52_60
.LBB52_59:                              ;   in Loop: Header=BB52_56 Depth=1
	v_dual_mov_b32 v52, 0 :: v_dual_mov_b32 v53, 0
.LBB52_60:                              ;   in Loop: Header=BB52_56 Depth=1
	s_wait_loadcnt 0x0
	s_delay_alu instid0(VALU_DEP_1) | instskip(NEXT) | instid1(VALU_DEP_2)
	v_bfe_u32 v54, v52, 16, 1
	v_bfe_u32 v68, v53, 16, 1
	v_or_b32_e32 v69, 0x400000, v52
	v_cmp_u_f32_e32 vcc_lo, v52, v52
	v_or_b32_e32 v70, 0x400000, v53
	v_add3_u32 v54, v54, v52, 0x7fff
	v_add3_u32 v68, v68, v53, 0x7fff
	v_mov_b32_e32 v52, 0
	s_wait_alu 0xfffd
	s_delay_alu instid0(VALU_DEP_3) | instskip(SKIP_4) | instid1(VALU_DEP_1)
	v_cndmask_b32_e32 v54, v54, v69, vcc_lo
	v_cmp_u_f32_e32 vcc_lo, v53, v53
	s_wait_alu 0xfffd
	v_cndmask_b32_e32 v53, v68, v70, vcc_lo
	s_and_not1_b32 vcc_lo, exec_lo, s16
	v_perm_b32 v68, v53, v54, 0x7060302
	v_dual_mov_b32 v53, 0 :: v_dual_mov_b32 v54, 0
	ds_store_b32 v64, v68 offset:64
	s_wait_alu 0xfffe
	s_cbranch_vccnz .LBB52_64
; %bb.61:                               ;   in Loop: Header=BB52_56 Depth=1
	ds_load_b32 v53, v67 offset:4
	s_wait_dscnt 0x0
	v_cmp_gt_i32_e32 vcc_lo, 0, v53
	s_cbranch_vccnz .LBB52_63
; %bb.62:                               ;   in Loop: Header=BB52_56 Depth=1
	v_mul_lo_u32 v53, v53, s17
	s_delay_alu instid0(VALU_DEP_1) | instskip(NEXT) | instid1(VALU_DEP_1)
	v_add3_u32 v53, v53, s21, v49
	v_ashrrev_i32_e32 v54, 31, v53
	s_delay_alu instid0(VALU_DEP_1) | instskip(NEXT) | instid1(VALU_DEP_1)
	v_lshlrev_b64_e32 v[53:54], 2, v[53:54]
	v_add_co_u32 v53, vcc_lo, s22, v53
	s_wait_alu 0xfffd
	s_delay_alu instid0(VALU_DEP_2)
	v_add_co_ci_u32_e64 v54, null, s23, v54, vcc_lo
	global_load_b64 v[53:54], v[53:54], off
	s_branch .LBB52_64
.LBB52_63:                              ;   in Loop: Header=BB52_56 Depth=1
	v_dual_mov_b32 v53, 0 :: v_dual_mov_b32 v54, 0
.LBB52_64:                              ;   in Loop: Header=BB52_56 Depth=1
	s_wait_loadcnt 0x0
	s_delay_alu instid0(VALU_DEP_1) | instskip(NEXT) | instid1(VALU_DEP_2)
	v_bfe_u32 v68, v53, 16, 1
	v_bfe_u32 v69, v54, 16, 1
	v_or_b32_e32 v70, 0x400000, v53
	v_cmp_u_f32_e32 vcc_lo, v53, v53
	v_or_b32_e32 v71, 0x400000, v54
	v_add3_u32 v68, v68, v53, 0x7fff
	v_add3_u32 v69, v69, v54, 0x7fff
	s_wait_alu 0xfffd
	s_delay_alu instid0(VALU_DEP_2) | instskip(SKIP_4) | instid1(VALU_DEP_1)
	v_cndmask_b32_e32 v53, v68, v70, vcc_lo
	v_cmp_u_f32_e32 vcc_lo, v54, v54
	s_wait_alu 0xfffd
	v_cndmask_b32_e32 v54, v69, v71, vcc_lo
	s_and_not1_b32 vcc_lo, exec_lo, s24
	v_perm_b32 v54, v54, v53, 0x7060302
	v_mov_b32_e32 v53, 0
	ds_store_b32 v64, v54 offset:208
	s_wait_alu 0xfffe
	s_cbranch_vccnz .LBB52_68
; %bb.65:                               ;   in Loop: Header=BB52_56 Depth=1
	ds_load_b32 v52, v67 offset:8
	s_wait_dscnt 0x0
	v_cmp_gt_i32_e32 vcc_lo, 0, v52
	s_cbranch_vccnz .LBB52_67
; %bb.66:                               ;   in Loop: Header=BB52_56 Depth=1
	v_mul_lo_u32 v52, v52, s17
	s_delay_alu instid0(VALU_DEP_1) | instskip(NEXT) | instid1(VALU_DEP_1)
	v_add3_u32 v52, v52, s25, v49
	v_ashrrev_i32_e32 v53, 31, v52
	s_delay_alu instid0(VALU_DEP_1) | instskip(NEXT) | instid1(VALU_DEP_1)
	v_lshlrev_b64_e32 v[52:53], 2, v[52:53]
	v_add_co_u32 v52, vcc_lo, s22, v52
	s_wait_alu 0xfffd
	s_delay_alu instid0(VALU_DEP_2)
	v_add_co_ci_u32_e64 v53, null, s23, v53, vcc_lo
	global_load_b64 v[52:53], v[52:53], off
	s_branch .LBB52_68
.LBB52_67:                              ;   in Loop: Header=BB52_56 Depth=1
	v_dual_mov_b32 v52, 0 :: v_dual_mov_b32 v53, 0
.LBB52_68:                              ;   in Loop: Header=BB52_56 Depth=1
	s_wait_loadcnt 0x0
	s_delay_alu instid0(VALU_DEP_1) | instskip(NEXT) | instid1(VALU_DEP_2)
	v_bfe_u32 v54, v52, 16, 1
	v_bfe_u32 v68, v53, 16, 1
	v_or_b32_e32 v69, 0x400000, v52
	v_cmp_u_f32_e32 vcc_lo, v52, v52
	v_or_b32_e32 v70, 0x400000, v53
	v_add3_u32 v54, v54, v52, 0x7fff
	v_add3_u32 v68, v68, v53, 0x7fff
	s_wait_alu 0xfffd
	s_delay_alu instid0(VALU_DEP_2) | instskip(SKIP_4) | instid1(VALU_DEP_1)
	v_cndmask_b32_e32 v52, v54, v69, vcc_lo
	v_cmp_u_f32_e32 vcc_lo, v53, v53
	s_wait_alu 0xfffd
	v_cndmask_b32_e32 v53, v68, v70, vcc_lo
	s_and_not1_b32 vcc_lo, exec_lo, s9
	v_perm_b32 v54, v53, v52, 0x7060302
	v_dual_mov_b32 v52, 0 :: v_dual_mov_b32 v53, 0
	ds_store_b32 v64, v54 offset:352
	s_wait_alu 0xfffe
	s_cbranch_vccnz .LBB52_55
; %bb.69:                               ;   in Loop: Header=BB52_56 Depth=1
	ds_load_b32 v52, v67 offset:12
	s_wait_dscnt 0x0
	v_cmp_gt_i32_e32 vcc_lo, 0, v52
	s_cbranch_vccz .LBB52_54
; %bb.70:                               ;   in Loop: Header=BB52_56 Depth=1
	v_dual_mov_b32 v52, 0 :: v_dual_mov_b32 v53, 0
	s_branch .LBB52_55
.LBB52_71:
	s_or_b32 exec_lo, exec_lo, s12
.LBB52_72:
	s_delay_alu instid0(SALU_CYCLE_1) | instskip(SKIP_4) | instid1(VALU_DEP_2)
	s_or_b32 exec_lo, exec_lo, s27
	v_lshl_add_u32 v17, v60, 2, 0x100
	v_and_b32_e32 v18, 0x7e0, v61
	v_lshl_add_u32 v16, v48, 2, 0x100
	s_mov_b32 s0, exec_lo
	v_add3_u32 v18, v17, v63, v18
	s_delay_alu instid0(VALU_DEP_2)
	v_mad_u32_u24 v19, 0x90, v55, v16
	ds_store_2addr_b32 v18, v8, v9 offset0:16 offset1:17
	ds_store_2addr_b32 v18, v10, v11 offset0:18 offset1:19
	;; [unrolled: 1-line block ×8, first 2 shown]
	ds_load_b32 v1, v19 offset:64
	v_mov_b32_e32 v2, -1
	v_cmpx_gt_u32_e32 4, v55
; %bb.73:
	v_mad_i32_i24 v0, 0xffffff84, v55, v17
	ds_load_b32 v2, v0
; %bb.74:
	s_wait_alu 0xfffe
	s_or_b32 exec_lo, exec_lo, s0
	s_ashr_i32 s1, s26, 31
	s_mov_b32 s0, s26
	s_ashr_i32 s9, s13, 31
	s_wait_alu 0xfffe
	s_mul_u64 s[0:1], s[0:1], s[30:31]
	s_mov_b32 s8, s13
	s_wait_dscnt 0x0
	v_cmp_lt_i32_e32 vcc_lo, -1, v2
	s_wait_alu 0xfffe
	s_mul_u64 s[8:9], s[28:29], s[8:9]
	s_lshl_b64 s[0:1], s[0:1], 2
	v_mul_u32_u24_e32 v3, 0x90, v55
	v_add_nc_u32_e32 v0, s19, v48
	s_wait_kmcnt 0x0
	s_wait_alu 0xfffe
	s_add_nc_u64 s[0:1], s[6:7], s[0:1]
	s_lshl_b64 s[6:7], s[8:9], 2
	s_wait_alu 0xfffe
	s_add_nc_u64 s[0:1], s[0:1], s[6:7]
	s_and_b32 s6, vcc_lo, s2
	s_wait_alu 0xfffe
	s_and_saveexec_b32 s2, s6
	s_cbranch_execz .LBB52_76
; %bb.75:
	v_mul_lo_u32 v2, v2, s18
	v_mul_lo_u32 v4, v55, s13
	v_dual_mov_b32 v5, 0 :: v_dual_add_f32 v6, 0, v1
	s_delay_alu instid0(VALU_DEP_2) | instskip(NEXT) | instid1(VALU_DEP_1)
	v_add3_u32 v4, v0, v4, v2
	v_lshlrev_b64_e32 v[4:5], 2, v[4:5]
	s_delay_alu instid0(VALU_DEP_1) | instskip(SKIP_1) | instid1(VALU_DEP_2)
	v_add_co_u32 v1, vcc_lo, s0, v4
	s_wait_alu 0xfffd
	v_add_co_ci_u32_e64 v2, null, s1, v5, vcc_lo
	global_store_b32 v[1:2], v6, off
.LBB52_76:
	s_wait_alu 0xfffe
	s_or_b32 exec_lo, exec_lo, s2
	v_add_nc_u32_e32 v1, v3, v16
	v_mov_b32_e32 v3, -1
	s_mov_b32 s2, exec_lo
	ds_load_b32 v2, v1 offset:208
	v_cmpx_gt_u32_e32 3, v55
; %bb.77:
	ds_load_b32 v3, v56 offset:4
; %bb.78:
	s_wait_alu 0xfffe
	s_or_b32 exec_lo, exec_lo, s2
	s_wait_dscnt 0x0
	v_cmp_lt_i32_e32 vcc_lo, -1, v3
	s_and_b32 s3, vcc_lo, s3
	s_wait_alu 0xfffe
	s_and_saveexec_b32 s2, s3
	s_cbranch_execz .LBB52_80
; %bb.79:
	v_mul_lo_u32 v3, v3, s18
	v_mul_lo_u32 v5, v57, s13
	v_mov_b32_e32 v4, 0
	s_delay_alu instid0(VALU_DEP_2) | instskip(SKIP_1) | instid1(VALU_DEP_2)
	v_add3_u32 v3, v0, v5, v3
	v_add_f32_e32 v5, 0, v2
	v_lshlrev_b64_e32 v[3:4], 2, v[3:4]
	s_delay_alu instid0(VALU_DEP_1) | instskip(SKIP_1) | instid1(VALU_DEP_2)
	v_add_co_u32 v2, vcc_lo, s0, v3
	s_wait_alu 0xfffd
	v_add_co_ci_u32_e64 v3, null, s1, v4, vcc_lo
	global_store_b32 v[2:3], v5, off
.LBB52_80:
	s_wait_alu 0xfffe
	s_or_b32 exec_lo, exec_lo, s2
	ds_load_b32 v2, v1 offset:352
	v_mov_b32_e32 v3, -1
	s_mov_b32 s2, exec_lo
	v_cmpx_gt_u32_e32 2, v55
; %bb.81:
	ds_load_b32 v3, v56 offset:8
; %bb.82:
	s_wait_alu 0xfffe
	s_or_b32 exec_lo, exec_lo, s2
	s_wait_dscnt 0x0
	v_cmp_lt_i32_e32 vcc_lo, -1, v3
	s_and_b32 s3, vcc_lo, s4
	s_wait_alu 0xfffe
	s_and_saveexec_b32 s2, s3
	s_cbranch_execz .LBB52_84
; %bb.83:
	v_mul_lo_u32 v3, v3, s18
	v_mul_lo_u32 v5, v58, s13
	v_mov_b32_e32 v4, 0
	s_delay_alu instid0(VALU_DEP_2) | instskip(SKIP_1) | instid1(VALU_DEP_2)
	v_add3_u32 v3, v0, v5, v3
	v_add_f32_e32 v5, 0, v2
	v_lshlrev_b64_e32 v[3:4], 2, v[3:4]
	s_delay_alu instid0(VALU_DEP_1) | instskip(SKIP_1) | instid1(VALU_DEP_2)
	v_add_co_u32 v2, vcc_lo, s0, v3
	s_wait_alu 0xfffd
	v_add_co_ci_u32_e64 v3, null, s1, v4, vcc_lo
	global_store_b32 v[2:3], v5, off
.LBB52_84:
	s_wait_alu 0xfffe
	s_or_b32 exec_lo, exec_lo, s2
	ds_load_b32 v1, v1 offset:496
	v_mov_b32_e32 v2, -1
	s_mov_b32 s2, exec_lo
	v_cmpx_eq_u32_e32 0, v55
; %bb.85:
	v_mov_b32_e32 v2, 0x100
	ds_load_b32 v2, v2 offset:12
; %bb.86:
	s_wait_alu 0xfffe
	s_or_b32 exec_lo, exec_lo, s2
	s_wait_dscnt 0x0
	v_cmp_lt_i32_e32 vcc_lo, -1, v2
	s_and_b32 s2, vcc_lo, s5
	s_wait_alu 0xfffe
	s_and_b32 exec_lo, exec_lo, s2
	s_cbranch_execz .LBB52_88
; %bb.87:
	v_mul_lo_u32 v2, v2, s18
	v_mul_lo_u32 v4, v59, s13
	v_mov_b32_e32 v3, 0
	s_delay_alu instid0(VALU_DEP_2) | instskip(SKIP_1) | instid1(VALU_DEP_2)
	v_add3_u32 v2, v0, v4, v2
	v_add_f32_e32 v4, 0, v1
	v_lshlrev_b64_e32 v[2:3], 2, v[2:3]
	s_delay_alu instid0(VALU_DEP_1) | instskip(SKIP_1) | instid1(VALU_DEP_2)
	v_add_co_u32 v0, vcc_lo, s0, v2
	s_wait_alu 0xfffd
	v_add_co_ci_u32_e64 v1, null, s1, v3, vcc_lo
	global_store_b32 v[0:1], v4, off
.LBB52_88:
	s_endpgm
	.section	.rodata,"a",@progbits
	.p2align	6, 0x0
	.amdhsa_kernel _ZL9mul_mat_fI15__hip_bfloat162Li32ELi4ELi1ELb1EEvPKT_PKfPKiPfiiiiiiiiiiiiiiii
		.amdhsa_group_segment_fixed_size 256
		.amdhsa_private_segment_fixed_size 0
		.amdhsa_kernarg_size 352
		.amdhsa_user_sgpr_count 2
		.amdhsa_user_sgpr_dispatch_ptr 0
		.amdhsa_user_sgpr_queue_ptr 0
		.amdhsa_user_sgpr_kernarg_segment_ptr 1
		.amdhsa_user_sgpr_dispatch_id 0
		.amdhsa_user_sgpr_private_segment_size 0
		.amdhsa_wavefront_size32 1
		.amdhsa_uses_dynamic_stack 0
		.amdhsa_enable_private_segment 0
		.amdhsa_system_sgpr_workgroup_id_x 1
		.amdhsa_system_sgpr_workgroup_id_y 1
		.amdhsa_system_sgpr_workgroup_id_z 1
		.amdhsa_system_sgpr_workgroup_info 0
		.amdhsa_system_vgpr_workitem_id 2
		.amdhsa_next_free_vgpr 84
		.amdhsa_next_free_sgpr 72
		.amdhsa_reserve_vcc 1
		.amdhsa_float_round_mode_32 0
		.amdhsa_float_round_mode_16_64 0
		.amdhsa_float_denorm_mode_32 3
		.amdhsa_float_denorm_mode_16_64 3
		.amdhsa_fp16_overflow 0
		.amdhsa_workgroup_processor_mode 1
		.amdhsa_memory_ordered 1
		.amdhsa_forward_progress 1
		.amdhsa_inst_pref_size 52
		.amdhsa_round_robin_scheduling 0
		.amdhsa_exception_fp_ieee_invalid_op 0
		.amdhsa_exception_fp_denorm_src 0
		.amdhsa_exception_fp_ieee_div_zero 0
		.amdhsa_exception_fp_ieee_overflow 0
		.amdhsa_exception_fp_ieee_underflow 0
		.amdhsa_exception_fp_ieee_inexact 0
		.amdhsa_exception_int_div_zero 0
	.end_amdhsa_kernel
	.section	.text._ZL9mul_mat_fI15__hip_bfloat162Li32ELi4ELi1ELb1EEvPKT_PKfPKiPfiiiiiiiiiiiiiiii,"axG",@progbits,_ZL9mul_mat_fI15__hip_bfloat162Li32ELi4ELi1ELb1EEvPKT_PKfPKiPfiiiiiiiiiiiiiiii,comdat
.Lfunc_end52:
	.size	_ZL9mul_mat_fI15__hip_bfloat162Li32ELi4ELi1ELb1EEvPKT_PKfPKiPfiiiiiiiiiiiiiiii, .Lfunc_end52-_ZL9mul_mat_fI15__hip_bfloat162Li32ELi4ELi1ELb1EEvPKT_PKfPKiPfiiiiiiiiiiiiiiii
                                        ; -- End function
	.set _ZL9mul_mat_fI15__hip_bfloat162Li32ELi4ELi1ELb1EEvPKT_PKfPKiPfiiiiiiiiiiiiiiii.num_vgpr, 84
	.set _ZL9mul_mat_fI15__hip_bfloat162Li32ELi4ELi1ELb1EEvPKT_PKfPKiPfiiiiiiiiiiiiiiii.num_agpr, 0
	.set _ZL9mul_mat_fI15__hip_bfloat162Li32ELi4ELi1ELb1EEvPKT_PKfPKiPfiiiiiiiiiiiiiiii.numbered_sgpr, 72
	.set _ZL9mul_mat_fI15__hip_bfloat162Li32ELi4ELi1ELb1EEvPKT_PKfPKiPfiiiiiiiiiiiiiiii.num_named_barrier, 0
	.set _ZL9mul_mat_fI15__hip_bfloat162Li32ELi4ELi1ELb1EEvPKT_PKfPKiPfiiiiiiiiiiiiiiii.private_seg_size, 0
	.set _ZL9mul_mat_fI15__hip_bfloat162Li32ELi4ELi1ELb1EEvPKT_PKfPKiPfiiiiiiiiiiiiiiii.uses_vcc, 1
	.set _ZL9mul_mat_fI15__hip_bfloat162Li32ELi4ELi1ELb1EEvPKT_PKfPKiPfiiiiiiiiiiiiiiii.uses_flat_scratch, 0
	.set _ZL9mul_mat_fI15__hip_bfloat162Li32ELi4ELi1ELb1EEvPKT_PKfPKiPfiiiiiiiiiiiiiiii.has_dyn_sized_stack, 0
	.set _ZL9mul_mat_fI15__hip_bfloat162Li32ELi4ELi1ELb1EEvPKT_PKfPKiPfiiiiiiiiiiiiiiii.has_recursion, 0
	.set _ZL9mul_mat_fI15__hip_bfloat162Li32ELi4ELi1ELb1EEvPKT_PKfPKiPfiiiiiiiiiiiiiiii.has_indirect_call, 0
	.section	.AMDGPU.csdata,"",@progbits
; Kernel info:
; codeLenInByte = 6624
; TotalNumSgprs: 74
; NumVgprs: 84
; ScratchSize: 0
; MemoryBound: 0
; FloatMode: 240
; IeeeMode: 1
; LDSByteSize: 256 bytes/workgroup (compile time only)
; SGPRBlocks: 0
; VGPRBlocks: 10
; NumSGPRsForWavesPerEU: 74
; NumVGPRsForWavesPerEU: 84
; Occupancy: 16
; WaveLimiterHint : 0
; COMPUTE_PGM_RSRC2:SCRATCH_EN: 0
; COMPUTE_PGM_RSRC2:USER_SGPR: 2
; COMPUTE_PGM_RSRC2:TRAP_HANDLER: 0
; COMPUTE_PGM_RSRC2:TGID_X_EN: 1
; COMPUTE_PGM_RSRC2:TGID_Y_EN: 1
; COMPUTE_PGM_RSRC2:TGID_Z_EN: 1
; COMPUTE_PGM_RSRC2:TIDIG_COMP_CNT: 2
	.section	.text._ZL9mul_mat_fI15__hip_bfloat162Li32ELi4ELi1ELb0EEvPKT_PKfPKiPfiiiiiiiiiiiiiiii,"axG",@progbits,_ZL9mul_mat_fI15__hip_bfloat162Li32ELi4ELi1ELb0EEvPKT_PKfPKiPfiiiiiiiiiiiiiiii,comdat
	.globl	_ZL9mul_mat_fI15__hip_bfloat162Li32ELi4ELi1ELb0EEvPKT_PKfPKiPfiiiiiiiiiiiiiiii ; -- Begin function _ZL9mul_mat_fI15__hip_bfloat162Li32ELi4ELi1ELb0EEvPKT_PKfPKiPfiiiiiiiiiiiiiiii
	.p2align	8
	.type	_ZL9mul_mat_fI15__hip_bfloat162Li32ELi4ELi1ELb0EEvPKT_PKfPKiPfiiiiiiiiiiiiiiii,@function
_ZL9mul_mat_fI15__hip_bfloat162Li32ELi4ELi1ELb0EEvPKT_PKfPKiPfiiiiiiiiiiiiiiii: ; @_ZL9mul_mat_fI15__hip_bfloat162Li32ELi4ELi1ELb0EEvPKT_PKfPKiPfiiiiiiiiiiiiiiii
; %bb.0:
	s_clause 0x1
	s_load_b256 s[4:11], s[0:1], 0x40
	s_load_b32 s21, s[0:1], 0x20
	v_bfe_u32 v37, v0, 10, 10
	v_and_b32_e32 v36, 0x3ff, v0
	s_mov_b32 s15, exec_lo
                                        ; implicit-def: $vgpr41
	s_delay_alu instid0(VALU_DEP_2) | instskip(NEXT) | instid1(VALU_DEP_2)
	v_lshlrev_b32_e32 v38, 5, v37
	v_and_b32_e32 v16, 15, v36
	s_delay_alu instid0(VALU_DEP_2)
	v_or_b32_e32 v40, v38, v36
	s_wait_kmcnt 0x0
	s_abs_i32 s12, s4
	s_abs_i32 s23, s8
	s_cvt_f32_u32 s2, s12
	s_cvt_f32_u32 s3, s23
	s_delay_alu instid0(SALU_CYCLE_2) | instskip(NEXT) | instid1(SALU_CYCLE_2)
	v_rcp_iflag_f32_e32 v0, s2
	v_rcp_iflag_f32_e32 v1, s3
	s_mov_b32 s3, 0
	s_lshr_b32 s2, ttmp7, 16
	s_delay_alu instid0(TRANS32_DEP_2) | instskip(NEXT) | instid1(TRANS32_DEP_1)
	v_readfirstlane_b32 s13, v0
	v_readfirstlane_b32 s14, v1
	v_cmpx_le_i32_e64 s21, v40
	s_xor_b32 s15, exec_lo, s15
; %bb.1:
	v_mul_u32_u24_e32 v41, 0x90, v16
                                        ; implicit-def: $vgpr40
                                        ; implicit-def: $vgpr16
; %bb.2:
	s_or_saveexec_b32 s22, s15
	s_load_b96 s[16:18], s[0:1], 0x2c
	v_mov_b32_e32 v15, 0
	v_lshlrev_b32_e32 v39, 2, v36
	s_and_b32 s19, ttmp7, 0xffff
	s_lshl_b32 s20, ttmp9, 5
	s_delay_alu instid0(VALU_DEP_2)
	v_dual_mov_b32 v14, v15 :: v_dual_mov_b32 v13, v15
	v_dual_mov_b32 v12, v15 :: v_dual_mov_b32 v11, v15
	;; [unrolled: 1-line block ×7, first 2 shown]
	v_mov_b32_e32 v0, v15
	s_xor_b32 exec_lo, exec_lo, s22
	s_cbranch_execz .LBB53_6
; %bb.3:
	s_mul_f32 s13, s13, 0x4f7ffffe
	s_mul_f32 s14, s14, 0x4f7ffffe
	s_sub_co_i32 s24, 0, s12
	s_sub_co_i32 s25, 0, s23
	s_cvt_u32_f32 s13, s13
	s_cvt_u32_f32 s27, s14
	s_abs_i32 s14, s19
	s_mov_b32 s15, s3
	s_mul_i32 s24, s24, s13
	s_mul_i32 s25, s25, s27
	s_mul_hi_u32 s24, s13, s24
	s_mul_hi_u32 s28, s27, s25
	s_add_co_i32 s24, s13, s24
	s_mov_b32 s25, s3
	s_abs_i32 s26, s2
	s_mul_u64 s[24:25], s[14:15], s[24:25]
	s_ashr_i32 s24, s8, 31
	s_mul_i32 s13, s25, s12
	s_add_co_i32 s28, s27, s28
	s_sub_co_i32 s8, s14, s13
	s_ashr_i32 s4, s4, 31
	s_add_co_i32 s13, s25, 1
	s_sub_co_i32 s14, s8, s12
	s_cmp_ge_u32 s8, s12
	s_mov_b32 s27, s3
	s_cselect_b32 s13, s13, s25
	s_mov_b32 s29, s3
	s_cselect_b32 s8, s14, s8
	s_add_co_i32 s14, s13, 1
	s_mul_u64 s[28:29], s[26:27], s[28:29]
	s_cmp_ge_u32 s8, s12
	s_mul_i32 s12, s29, s23
	s_cselect_b32 s8, s14, s13
	s_sub_co_i32 s25, s26, s12
	s_xor_b32 s8, s8, s4
	s_load_b128 s[12:15], s[0:1], 0x0
	s_sub_co_i32 s26, s8, s4
	s_add_co_i32 s4, s29, 1
	s_sub_co_i32 s8, s25, s23
	s_cmp_ge_u32 s25, s23
	v_mad_u32_u24 v0, 0x900, v37, 0
	s_cselect_b32 s4, s4, s29
	s_cselect_b32 s8, s8, s25
	s_add_co_i32 s25, s4, 1
	s_cmp_ge_u32 s8, s23
	s_mov_b32 s8, s9
	s_cselect_b32 s4, s25, s4
	s_ashr_i32 s9, s9, 31
	s_xor_b32 s4, s4, s24
	v_mul_u32_u24_e32 v41, 0x90, v16
	s_sub_co_i32 s24, s4, s24
	v_and_b32_e32 v1, 0x3f0, v36
	s_ashr_i32 s25, s24, 31
	v_mov_b32_e32 v44, 0
	s_mul_u64 s[8:9], s[24:25], s[8:9]
	s_mul_i32 s24, s26, s5
	s_lshl_b64 s[54:55], s[8:9], 2
	s_ashr_i32 s25, s24, 31
	s_wait_kmcnt 0x0
	s_add_nc_u64 s[8:9], s[12:13], s[54:55]
	s_lshl_b64 s[56:57], s[24:25], 2
	s_mul_i32 s24, s16, s20
	v_add3_u32 v43, v0, v41, v1
	s_ashr_i32 s25, s24, 31
	v_lshlrev_b32_e32 v1, 7, v37
	s_lshl_b64 s[60:61], s[24:25], 2
	s_add_nc_u64 s[8:9], s[8:9], s[56:57]
	s_add_nc_u64 s[56:57], s[56:57], s[60:61]
	s_mov_b32 s4, s10
	s_add_nc_u64 s[54:55], s[56:57], s[54:55]
	s_ashr_i32 s5, s10, 31
	v_add_co_u32 v1, s53, s54, v1
	v_add_nc_u32_e32 v42, v0, v39
	v_mov_b32_e32 v0, 0
	v_add_co_ci_u32_e64 v2, null, s55, 0, s53
	v_lshlrev_b32_e32 v3, 8, v37
	s_mul_u64 s[4:5], s[4:5], s[2:3]
	v_add_co_u32 v1, vcc_lo, v1, v39
	s_lshl_b64 s[58:59], s[4:5], 2
	v_add_co_ci_u32_e64 v2, null, 0, v2, vcc_lo
	v_add_co_u32 v3, s53, s58, v3
	v_lshlrev_b32_e32 v5, 3, v36
	s_mul_i32 s4, s6, s19
	s_wait_alu 0xf1ff
	v_add_co_ci_u32_e64 v4, null, s59, 0, s53
	v_add_co_u32 v32, vcc_lo, s12, v1
	s_ashr_i32 s5, s4, 31
	s_wait_alu 0xfffd
	v_add_co_ci_u32_e64 v33, null, s13, v2, vcc_lo
	v_add_co_u32 v1, vcc_lo, v3, v5
	s_lshl_b64 s[62:63], s[4:5], 2
	s_wait_alu 0xfffd
	v_add_co_ci_u32_e64 v2, null, 0, v4, vcc_lo
	s_add_nc_u64 s[12:13], s[14:15], s[62:63]
	v_dual_mov_b32 v3, v0 :: v_dual_mov_b32 v8, v0
	s_wait_alu 0xfffe
	v_add_co_u32 v34, vcc_lo, s12, v1
	s_wait_alu 0xfffd
	v_add_co_ci_u32_e64 v35, null, s13, v2, vcc_lo
	v_dual_mov_b32 v1, v0 :: v_dual_mov_b32 v6, v0
	v_mov_b32_e32 v2, v0
	v_dual_mov_b32 v4, v0 :: v_dual_mov_b32 v5, v0
	v_dual_mov_b32 v10, v0 :: v_dual_mov_b32 v7, v0
	;; [unrolled: 1-line block ×4, first 2 shown]
	v_mov_b32_e32 v13, v0
	v_mov_b32_e32 v15, v0
	s_add_nc_u64 s[26:27], s[14:15], s[58:59]
	s_ashr_i32 s65, s16, 31
	s_mov_b32 s64, s16
	s_ashr_i32 s67, s17, 31
	s_mov_b32 s66, s17
	s_add_nc_u64 s[4:5], s[8:9], s[60:61]
	s_add_nc_u64 s[8:9], s[26:27], s[62:63]
	s_mov_b32 s6, 0
	s_add_co_i32 s10, s16, s16
	s_add_co_i32 s23, s17, s17
	s_mul_i32 s17, s17, 3
	s_mul_i32 s24, s16, 3
	s_lshl_b32 s25, s16, 2
	s_mul_i32 s26, s16, 5
	s_mul_i32 s27, s16, 6
	;; [unrolled: 1-line block ×3, first 2 shown]
	s_lshl_b32 s29, s16, 3
	s_mul_i32 s30, s16, 9
	s_mul_i32 s31, s16, 10
	;; [unrolled: 1-line block ×7, first 2 shown]
	s_lshl_b32 s38, s16, 4
	s_mul_i32 s39, s16, 17
	s_mul_i32 s40, s16, 18
	;; [unrolled: 1-line block ×15, first 2 shown]
	s_lshl_b64 s[12:13], s[64:65], 2
	s_lshl_b64 s[14:15], s[66:67], 3
.LBB53_4:                               ; =>This Inner Loop Header: Depth=1
	global_load_b32 v16, v[32:33], off
	v_add_nc_u32_e32 v45, s38, v40
	s_delay_alu instid0(VALU_DEP_1) | instskip(NEXT) | instid1(VALU_DEP_1)
	v_ashrrev_i32_e32 v46, 31, v45
	v_lshlrev_b64_e32 v[45:46], 2, v[45:46]
	s_wait_loadcnt 0x0
	ds_store_b32 v42, v16
	s_wait_alu 0xfffe
	v_add_co_u32 v16, vcc_lo, v32, s12
	s_wait_alu 0xfffd
	v_add_co_ci_u32_e64 v17, null, s13, v33, vcc_lo
	global_load_b32 v16, v[16:17], off
	s_wait_loadcnt 0x0
	ds_store_b32 v42, v16 offset:144
	v_add_nc_u32_e32 v16, s10, v40
	s_delay_alu instid0(VALU_DEP_1) | instskip(NEXT) | instid1(VALU_DEP_1)
	v_ashrrev_i32_e32 v17, 31, v16
	v_lshlrev_b64_e32 v[16:17], 2, v[16:17]
	s_delay_alu instid0(VALU_DEP_1) | instskip(SKIP_1) | instid1(VALU_DEP_2)
	v_add_co_u32 v16, vcc_lo, s4, v16
	s_wait_alu 0xfffd
	v_add_co_ci_u32_e64 v17, null, s5, v17, vcc_lo
	global_load_b32 v16, v[16:17], off
	s_wait_loadcnt 0x0
	ds_store_b32 v42, v16 offset:288
	v_add_nc_u32_e32 v16, s24, v40
	s_delay_alu instid0(VALU_DEP_1) | instskip(NEXT) | instid1(VALU_DEP_1)
	v_ashrrev_i32_e32 v17, 31, v16
	v_lshlrev_b64_e32 v[16:17], 2, v[16:17]
	s_delay_alu instid0(VALU_DEP_1) | instskip(SKIP_1) | instid1(VALU_DEP_2)
	;; [unrolled: 11-line block ×14, first 2 shown]
	v_add_co_u32 v16, vcc_lo, s4, v16
	s_wait_alu 0xfffd
	v_add_co_ci_u32_e64 v17, null, s5, v17, vcc_lo
	v_add_co_u32 v45, vcc_lo, s4, v45
	s_wait_alu 0xfffd
	v_add_co_ci_u32_e64 v46, null, s5, v46, vcc_lo
	global_load_b32 v16, v[16:17], off
	s_wait_loadcnt 0x0
	ds_store_b32 v42, v16 offset:2160
	ds_load_b128 v[28:31], v43
	ds_load_b128 v[24:27], v43 offset:32
	ds_load_b128 v[20:23], v43 offset:64
	;; [unrolled: 1-line block ×3, first 2 shown]
	global_load_b32 v45, v[45:46], off
	s_wait_loadcnt 0x0
	ds_store_b32 v42, v45
	v_add_nc_u32_e32 v45, s39, v40
	s_delay_alu instid0(VALU_DEP_1) | instskip(NEXT) | instid1(VALU_DEP_1)
	v_ashrrev_i32_e32 v46, 31, v45
	v_lshlrev_b64_e32 v[45:46], 2, v[45:46]
	s_delay_alu instid0(VALU_DEP_1) | instskip(SKIP_1) | instid1(VALU_DEP_2)
	v_add_co_u32 v45, vcc_lo, s4, v45
	s_wait_alu 0xfffd
	v_add_co_ci_u32_e64 v46, null, s5, v46, vcc_lo
	global_load_b32 v45, v[45:46], off
	s_wait_loadcnt 0x0
	ds_store_b32 v42, v45 offset:144
	v_add_nc_u32_e32 v45, s40, v40
	s_delay_alu instid0(VALU_DEP_1) | instskip(NEXT) | instid1(VALU_DEP_1)
	v_ashrrev_i32_e32 v46, 31, v45
	v_lshlrev_b64_e32 v[45:46], 2, v[45:46]
	s_delay_alu instid0(VALU_DEP_1) | instskip(SKIP_1) | instid1(VALU_DEP_2)
	v_add_co_u32 v45, vcc_lo, s4, v45
	s_wait_alu 0xfffd
	v_add_co_ci_u32_e64 v46, null, s5, v46, vcc_lo
	global_load_b32 v45, v[45:46], off
	s_wait_loadcnt 0x0
	ds_store_b32 v42, v45 offset:288
	;; [unrolled: 11-line block ×15, first 2 shown]
	ds_load_b128 v[45:48], v43
	ds_load_b128 v[49:52], v43 offset:32
	ds_load_b128 v[53:56], v43 offset:64
	;; [unrolled: 1-line block ×3, first 2 shown]
	global_load_b64 v[61:62], v[34:35], off
	s_wait_loadcnt 0x0
	v_bfe_u32 v63, v61, 16, 1
	v_or_b32_e32 v64, 0x400000, v61
	v_cmp_u_f32_e32 vcc_lo, v61, v61
	s_delay_alu instid0(VALU_DEP_3) | instskip(SKIP_1) | instid1(VALU_DEP_1)
	v_add3_u32 v63, v63, v61, 0x7fff
	s_wait_alu 0xfffd
	v_cndmask_b32_e32 v61, v63, v64, vcc_lo
	v_bfe_u32 v63, v62, 16, 1
	v_or_b32_e32 v64, 0x400000, v62
	v_cmp_u_f32_e32 vcc_lo, v62, v62
	s_delay_alu instid0(VALU_DEP_3) | instskip(SKIP_1) | instid1(VALU_DEP_1)
	v_add3_u32 v63, v63, v62, 0x7fff
	s_wait_alu 0xfffd
	v_cndmask_b32_e32 v62, v63, v64, vcc_lo
	s_delay_alu instid0(VALU_DEP_1)
	v_perm_b32 v61, v62, v61, 0x7060302
	ds_store_b32 v42, v61
	v_add_co_u32 v61, vcc_lo, v34, s14
	s_wait_alu 0xfffd
	v_add_co_ci_u32_e64 v62, null, s15, v35, vcc_lo
	global_load_b64 v[61:62], v[61:62], off
	s_wait_loadcnt 0x0
	v_bfe_u32 v63, v61, 16, 1
	v_or_b32_e32 v64, 0x400000, v61
	v_cmp_u_f32_e32 vcc_lo, v61, v61
	s_delay_alu instid0(VALU_DEP_3) | instskip(SKIP_1) | instid1(VALU_DEP_1)
	v_add3_u32 v63, v63, v61, 0x7fff
	s_wait_alu 0xfffd
	v_cndmask_b32_e32 v61, v63, v64, vcc_lo
	v_bfe_u32 v63, v62, 16, 1
	v_or_b32_e32 v64, 0x400000, v62
	v_cmp_u_f32_e32 vcc_lo, v62, v62
	s_delay_alu instid0(VALU_DEP_3) | instskip(SKIP_1) | instid1(VALU_DEP_1)
	v_add3_u32 v63, v63, v62, 0x7fff
	s_wait_alu 0xfffd
	v_cndmask_b32_e32 v62, v63, v64, vcc_lo
	s_delay_alu instid0(VALU_DEP_1) | instskip(SKIP_2) | instid1(VALU_DEP_1)
	v_perm_b32 v61, v62, v61, 0x7060302
	ds_store_b32 v42, v61 offset:144
	v_add_nc_u32_e32 v61, s23, v40
	v_ashrrev_i32_e32 v62, 31, v61
	s_delay_alu instid0(VALU_DEP_1) | instskip(NEXT) | instid1(VALU_DEP_1)
	v_lshlrev_b64_e32 v[61:62], 3, v[61:62]
	v_add_co_u32 v61, vcc_lo, s8, v61
	s_wait_alu 0xfffd
	s_delay_alu instid0(VALU_DEP_2)
	v_add_co_ci_u32_e64 v62, null, s9, v62, vcc_lo
	global_load_b64 v[61:62], v[61:62], off
	s_wait_loadcnt 0x0
	v_bfe_u32 v63, v61, 16, 1
	v_or_b32_e32 v64, 0x400000, v61
	v_cmp_u_f32_e32 vcc_lo, v61, v61
	s_delay_alu instid0(VALU_DEP_3) | instskip(SKIP_1) | instid1(VALU_DEP_1)
	v_add3_u32 v63, v63, v61, 0x7fff
	s_wait_alu 0xfffd
	v_cndmask_b32_e32 v61, v63, v64, vcc_lo
	v_bfe_u32 v63, v62, 16, 1
	v_or_b32_e32 v64, 0x400000, v62
	v_cmp_u_f32_e32 vcc_lo, v62, v62
	s_delay_alu instid0(VALU_DEP_3) | instskip(SKIP_1) | instid1(VALU_DEP_1)
	v_add3_u32 v63, v63, v62, 0x7fff
	s_wait_alu 0xfffd
	v_cndmask_b32_e32 v62, v63, v64, vcc_lo
	s_delay_alu instid0(VALU_DEP_1) | instskip(SKIP_3) | instid1(VALU_DEP_2)
	v_perm_b32 v61, v62, v61, 0x7060302
	ds_store_b32 v42, v61 offset:288
	v_add_nc_u32_e32 v61, s17, v40
	v_add_nc_u32_e32 v40, 32, v40
	v_ashrrev_i32_e32 v62, 31, v61
	s_delay_alu instid0(VALU_DEP_1) | instskip(NEXT) | instid1(VALU_DEP_1)
	v_lshlrev_b64_e32 v[61:62], 3, v[61:62]
	v_add_co_u32 v61, vcc_lo, s8, v61
	s_wait_alu 0xfffd
	s_delay_alu instid0(VALU_DEP_2)
	v_add_co_ci_u32_e64 v62, null, s9, v62, vcc_lo
	global_load_b64 v[61:62], v[61:62], off
	s_wait_loadcnt 0x0
	v_bfe_u32 v63, v61, 16, 1
	v_or_b32_e32 v64, 0x400000, v61
	v_cmp_u_f32_e32 vcc_lo, v61, v61
	s_delay_alu instid0(VALU_DEP_3) | instskip(SKIP_1) | instid1(VALU_DEP_1)
	v_add3_u32 v63, v63, v61, 0x7fff
	s_wait_alu 0xfffd
	v_cndmask_b32_e32 v61, v63, v64, vcc_lo
	v_bfe_u32 v63, v62, 16, 1
	v_or_b32_e32 v64, 0x400000, v62
	v_cmp_u_f32_e32 vcc_lo, v62, v62
	s_delay_alu instid0(VALU_DEP_3) | instskip(SKIP_1) | instid1(VALU_DEP_1)
	v_add3_u32 v63, v63, v62, 0x7fff
	s_wait_alu 0xfffd
	v_cndmask_b32_e32 v62, v63, v64, vcc_lo
	v_add_co_u32 v32, vcc_lo, 0x80, v32
	s_wait_alu 0xfffd
	v_add_co_ci_u32_e64 v33, null, 0, v33, vcc_lo
	s_delay_alu instid0(VALU_DEP_3)
	v_perm_b32 v61, v62, v61, 0x7060302
	ds_store_b32 v42, v61 offset:432
	ds_store_b32 v42, v44 offset:576
	;; [unrolled: 1-line block ×13, first 2 shown]
	ds_load_b128 v[61:64], v43
	ds_load_b128 v[65:68], v43 offset:32
	v_add_co_u32 v34, vcc_lo, 0x100, v34
	s_wait_alu 0xfffd
	v_add_co_ci_u32_e64 v35, null, 0, v35, vcc_lo
	v_cmp_le_i32_e32 vcc_lo, s21, v40
	s_or_b32 s6, vcc_lo, s6
	s_wait_dscnt 0x1
	v_wmma_f32_16x16x16_bf16 v[8:15], v[28:31], v[61:64], v[8:15]
	v_wmma_f32_16x16x16_bf16 v[0:7], v[45:48], v[61:64], v[0:7]
	s_wait_dscnt 0x0
	s_delay_alu instid0(VALU_DEP_2)
	v_wmma_f32_16x16x16_bf16 v[8:15], v[24:27], v[65:68], v[8:15]
	ds_load_b128 v[24:27], v43 offset:64
	v_wmma_f32_16x16x16_bf16 v[0:7], v[49:52], v[65:68], v[0:7]
	s_wait_dscnt 0x0
	v_wmma_f32_16x16x16_bf16 v[8:15], v[20:23], v[24:27], v[8:15]
	ds_load_b128 v[20:23], v43 offset:96
	v_wmma_f32_16x16x16_bf16 v[0:7], v[53:56], v[24:27], v[0:7]
	s_wait_dscnt 0x0
	v_wmma_f32_16x16x16_bf16 v[8:15], v[16:19], v[20:23], v[8:15]
	s_delay_alu instid0(VALU_DEP_2)
	v_wmma_f32_16x16x16_bf16 v[0:7], v[57:60], v[20:23], v[0:7]
	s_and_not1_b32 exec_lo, exec_lo, s6
	s_cbranch_execnz .LBB53_4
; %bb.5:
	s_or_b32 exec_lo, exec_lo, s6
.LBB53_6:
	s_delay_alu instid0(SALU_CYCLE_1)
	s_or_b32 exec_lo, exec_lo, s22
	v_lshlrev_b32_e32 v16, 1, v36
	v_lshl_add_u32 v17, v38, 2, 0
	v_mul_u32_u24_e32 v18, 0x90, v37
	s_load_b64 s[0:1], s[0:1], 0x18
	s_ashr_i32 s5, s11, 31
	v_and_b32_e32 v16, 0x7e0, v16
	s_mov_b32 s4, s11
	v_add3_u32 v18, 0, v39, v18
	s_wait_alu 0xfffe
	s_mul_u64 s[2:3], s[4:5], s[2:3]
	s_mul_i32 s4, s7, s19
	v_add3_u32 v16, v17, v41, v16
	s_wait_kmcnt 0x0
	v_mul_lo_u32 v17, v37, s18
	s_wait_alu 0xfffe
	s_lshl_b64 s[2:3], s[2:3], 2
	s_ashr_i32 s5, s4, 31
	ds_store_2addr_b32 v16, v8, v9 offset1:1
	ds_store_2addr_b32 v16, v10, v11 offset0:2 offset1:3
	ds_store_2addr_b32 v16, v12, v13 offset0:4 offset1:5
	ds_store_2addr_b32 v16, v14, v15 offset0:6 offset1:7
	ds_store_2addr_b32 v16, v0, v1 offset0:16 offset1:17
	ds_store_2addr_b32 v16, v2, v3 offset0:18 offset1:19
	ds_store_2addr_b32 v16, v4, v5 offset0:20 offset1:21
	ds_store_2addr_b32 v16, v6, v7 offset0:22 offset1:23
	ds_load_2addr_b32 v[6:7], v18 offset0:72 offset1:108
	ds_load_2addr_b32 v[0:1], v18 offset1:36
	v_mov_b32_e32 v3, 0
	v_add3_u32 v2, s20, v36, v17
	s_wait_alu 0xfffe
	s_lshl_b64 s[4:5], s[4:5], 2
	s_add_nc_u64 s[0:1], s[0:1], s[2:3]
	s_delay_alu instid0(VALU_DEP_1)
	v_lshlrev_b64_e32 v[4:5], 2, v[2:3]
	v_add_nc_u32_e32 v2, s18, v2
	s_wait_alu 0xfffe
	s_add_nc_u64 s[0:1], s[0:1], s[4:5]
	s_delay_alu instid0(VALU_DEP_2) | instid1(SALU_CYCLE_1)
	v_add_co_u32 v4, vcc_lo, s0, v4
	s_wait_alu 0xfffd
	v_add_co_ci_u32_e64 v5, null, s1, v5, vcc_lo
	s_wait_dscnt 0x1
	v_add_f32_e32 v7, 0, v7
	v_lshlrev_b64_e32 v[8:9], 2, v[2:3]
	v_add_nc_u32_e32 v2, s18, v2
	s_wait_dscnt 0x0
	v_dual_add_f32 v10, 0, v0 :: v_dual_add_f32 v11, 0, v1
	v_add_f32_e32 v6, 0, v6
	s_delay_alu instid0(VALU_DEP_3) | instskip(SKIP_4) | instid1(VALU_DEP_3)
	v_lshlrev_b64_e32 v[0:1], 2, v[2:3]
	v_add_nc_u32_e32 v2, s18, v2
	v_add_co_u32 v8, vcc_lo, s0, v8
	s_wait_alu 0xfffd
	v_add_co_ci_u32_e64 v9, null, s1, v9, vcc_lo
	v_lshlrev_b64_e32 v[2:3], 2, v[2:3]
	v_add_co_u32 v0, vcc_lo, s0, v0
	s_wait_alu 0xfffd
	v_add_co_ci_u32_e64 v1, null, s1, v1, vcc_lo
	s_delay_alu instid0(VALU_DEP_3)
	v_add_co_u32 v2, vcc_lo, s0, v2
	s_wait_alu 0xfffd
	v_add_co_ci_u32_e64 v3, null, s1, v3, vcc_lo
	s_clause 0x3
	global_store_b32 v[4:5], v10, off
	global_store_b32 v[8:9], v11, off
	;; [unrolled: 1-line block ×4, first 2 shown]
	s_endpgm
	.section	.rodata,"a",@progbits
	.p2align	6, 0x0
	.amdhsa_kernel _ZL9mul_mat_fI15__hip_bfloat162Li32ELi4ELi1ELb0EEvPKT_PKfPKiPfiiiiiiiiiiiiiiii
		.amdhsa_group_segment_fixed_size 0
		.amdhsa_private_segment_fixed_size 0
		.amdhsa_kernarg_size 96
		.amdhsa_user_sgpr_count 2
		.amdhsa_user_sgpr_dispatch_ptr 0
		.amdhsa_user_sgpr_queue_ptr 0
		.amdhsa_user_sgpr_kernarg_segment_ptr 1
		.amdhsa_user_sgpr_dispatch_id 0
		.amdhsa_user_sgpr_private_segment_size 0
		.amdhsa_wavefront_size32 1
		.amdhsa_uses_dynamic_stack 0
		.amdhsa_enable_private_segment 0
		.amdhsa_system_sgpr_workgroup_id_x 1
		.amdhsa_system_sgpr_workgroup_id_y 1
		.amdhsa_system_sgpr_workgroup_id_z 1
		.amdhsa_system_sgpr_workgroup_info 0
		.amdhsa_system_vgpr_workitem_id 1
		.amdhsa_next_free_vgpr 69
		.amdhsa_next_free_sgpr 68
		.amdhsa_reserve_vcc 1
		.amdhsa_float_round_mode_32 0
		.amdhsa_float_round_mode_16_64 0
		.amdhsa_float_denorm_mode_32 3
		.amdhsa_float_denorm_mode_16_64 3
		.amdhsa_fp16_overflow 0
		.amdhsa_workgroup_processor_mode 1
		.amdhsa_memory_ordered 1
		.amdhsa_forward_progress 1
		.amdhsa_inst_pref_size 34
		.amdhsa_round_robin_scheduling 0
		.amdhsa_exception_fp_ieee_invalid_op 0
		.amdhsa_exception_fp_denorm_src 0
		.amdhsa_exception_fp_ieee_div_zero 0
		.amdhsa_exception_fp_ieee_overflow 0
		.amdhsa_exception_fp_ieee_underflow 0
		.amdhsa_exception_fp_ieee_inexact 0
		.amdhsa_exception_int_div_zero 0
	.end_amdhsa_kernel
	.section	.text._ZL9mul_mat_fI15__hip_bfloat162Li32ELi4ELi1ELb0EEvPKT_PKfPKiPfiiiiiiiiiiiiiiii,"axG",@progbits,_ZL9mul_mat_fI15__hip_bfloat162Li32ELi4ELi1ELb0EEvPKT_PKfPKiPfiiiiiiiiiiiiiiii,comdat
.Lfunc_end53:
	.size	_ZL9mul_mat_fI15__hip_bfloat162Li32ELi4ELi1ELb0EEvPKT_PKfPKiPfiiiiiiiiiiiiiiii, .Lfunc_end53-_ZL9mul_mat_fI15__hip_bfloat162Li32ELi4ELi1ELb0EEvPKT_PKfPKiPfiiiiiiiiiiiiiiii
                                        ; -- End function
	.set _ZL9mul_mat_fI15__hip_bfloat162Li32ELi4ELi1ELb0EEvPKT_PKfPKiPfiiiiiiiiiiiiiiii.num_vgpr, 69
	.set _ZL9mul_mat_fI15__hip_bfloat162Li32ELi4ELi1ELb0EEvPKT_PKfPKiPfiiiiiiiiiiiiiiii.num_agpr, 0
	.set _ZL9mul_mat_fI15__hip_bfloat162Li32ELi4ELi1ELb0EEvPKT_PKfPKiPfiiiiiiiiiiiiiiii.numbered_sgpr, 68
	.set _ZL9mul_mat_fI15__hip_bfloat162Li32ELi4ELi1ELb0EEvPKT_PKfPKiPfiiiiiiiiiiiiiiii.num_named_barrier, 0
	.set _ZL9mul_mat_fI15__hip_bfloat162Li32ELi4ELi1ELb0EEvPKT_PKfPKiPfiiiiiiiiiiiiiiii.private_seg_size, 0
	.set _ZL9mul_mat_fI15__hip_bfloat162Li32ELi4ELi1ELb0EEvPKT_PKfPKiPfiiiiiiiiiiiiiiii.uses_vcc, 1
	.set _ZL9mul_mat_fI15__hip_bfloat162Li32ELi4ELi1ELb0EEvPKT_PKfPKiPfiiiiiiiiiiiiiiii.uses_flat_scratch, 0
	.set _ZL9mul_mat_fI15__hip_bfloat162Li32ELi4ELi1ELb0EEvPKT_PKfPKiPfiiiiiiiiiiiiiiii.has_dyn_sized_stack, 0
	.set _ZL9mul_mat_fI15__hip_bfloat162Li32ELi4ELi1ELb0EEvPKT_PKfPKiPfiiiiiiiiiiiiiiii.has_recursion, 0
	.set _ZL9mul_mat_fI15__hip_bfloat162Li32ELi4ELi1ELb0EEvPKT_PKfPKiPfiiiiiiiiiiiiiiii.has_indirect_call, 0
	.section	.AMDGPU.csdata,"",@progbits
; Kernel info:
; codeLenInByte = 4308
; TotalNumSgprs: 70
; NumVgprs: 69
; ScratchSize: 0
; MemoryBound: 0
; FloatMode: 240
; IeeeMode: 1
; LDSByteSize: 0 bytes/workgroup (compile time only)
; SGPRBlocks: 0
; VGPRBlocks: 8
; NumSGPRsForWavesPerEU: 70
; NumVGPRsForWavesPerEU: 69
; Occupancy: 16
; WaveLimiterHint : 0
; COMPUTE_PGM_RSRC2:SCRATCH_EN: 0
; COMPUTE_PGM_RSRC2:USER_SGPR: 2
; COMPUTE_PGM_RSRC2:TRAP_HANDLER: 0
; COMPUTE_PGM_RSRC2:TGID_X_EN: 1
; COMPUTE_PGM_RSRC2:TGID_Y_EN: 1
; COMPUTE_PGM_RSRC2:TGID_Z_EN: 1
; COMPUTE_PGM_RSRC2:TIDIG_COMP_CNT: 1
	.section	.text._ZL13mul_mat_f_idsI15__hip_bfloat162Li32ELi4ELi2EEvPKT_PKfPKiS7_S7_Pfiiiiiiiiiiiiii15HIP_vector_typeIjLj3EESA_,"axG",@progbits,_ZL13mul_mat_f_idsI15__hip_bfloat162Li32ELi4ELi2EEvPKT_PKfPKiS7_S7_Pfiiiiiiiiiiiiii15HIP_vector_typeIjLj3EESA_,comdat
	.globl	_ZL13mul_mat_f_idsI15__hip_bfloat162Li32ELi4ELi2EEvPKT_PKfPKiS7_S7_Pfiiiiiiiiiiiiii15HIP_vector_typeIjLj3EESA_ ; -- Begin function _ZL13mul_mat_f_idsI15__hip_bfloat162Li32ELi4ELi2EEvPKT_PKfPKiS7_S7_Pfiiiiiiiiiiiiii15HIP_vector_typeIjLj3EESA_
	.p2align	8
	.type	_ZL13mul_mat_f_idsI15__hip_bfloat162Li32ELi4ELi2EEvPKT_PKfPKiS7_S7_Pfiiiiiiiiiiiiii15HIP_vector_typeIjLj3EESA_,@function
_ZL13mul_mat_f_idsI15__hip_bfloat162Li32ELi4ELi2EEvPKT_PKfPKiS7_S7_Pfiiiiiiiiiiiiii15HIP_vector_typeIjLj3EESA_: ; @_ZL13mul_mat_f_idsI15__hip_bfloat162Li32ELi4ELi2EEvPKT_PKfPKiS7_S7_Pfiiiiiiiiiiiiii15HIP_vector_typeIjLj3EESA_
; %bb.0:
	s_load_b64 s[4:5], s[0:1], 0x20
	s_and_b32 s2, ttmp7, 0xffff
	s_delay_alu instid0(SALU_CYCLE_1) | instskip(SKIP_4) | instid1(SALU_CYCLE_1)
	s_lshl_b32 s3, s2, 2
	s_wait_kmcnt 0x0
	s_load_b64 s[26:27], s[4:5], s3 offset:0x0
	s_wait_kmcnt 0x0
	s_sub_co_i32 s19, s27, s26
	s_add_co_i32 s3, s19, 3
	s_delay_alu instid0(SALU_CYCLE_1) | instskip(NEXT) | instid1(SALU_CYCLE_1)
	s_ashr_i32 s4, s3, 31
	s_lshr_b32 s4, s4, 30
	s_delay_alu instid0(SALU_CYCLE_1) | instskip(NEXT) | instid1(SALU_CYCLE_1)
	s_add_co_i32 s3, s3, s4
	s_ashr_i32 s4, s3, 2
	s_lshr_b32 s3, ttmp7, 16
	s_delay_alu instid0(SALU_CYCLE_1)
	s_cmp_ge_i32 s3, s4
	s_cbranch_scc1 .LBB54_25
; %bb.1:
	s_clause 0x3
	s_load_b128 s[4:7], s[0:1], 0x30
	s_load_b64 s[20:21], s[0:1], 0x40
	s_load_b128 s[8:11], s[0:1], 0x68
	s_load_b64 s[22:23], s[0:1], 0x78
	v_bfe_u32 v51, v0, 10, 10
	v_and_b32_e32 v52, 0x3ff, v0
	s_ashr_i32 s27, s26, 31
	s_mov_b32 s12, exec_lo
	s_delay_alu instid0(VALU_DEP_2) | instskip(NEXT) | instid1(VALU_DEP_2)
	v_lshlrev_b32_e32 v53, 5, v51
	v_and_b32_e32 v54, 15, v52
	s_delay_alu instid0(VALU_DEP_2) | instskip(SKIP_1) | instid1(VALU_DEP_1)
	v_add_nc_u32_e32 v48, v53, v52
	s_wait_kmcnt 0x0
	v_cmpx_le_i32_e64 s4, v48
	s_xor_b32 s12, exec_lo, s12
; %bb.2:
	v_and_b32_e32 v54, 15, v52
                                        ; implicit-def: $vgpr48
; %bb.3:
	s_or_saveexec_b32 s37, s12
	s_clause 0x1
	s_load_b64 s[24:25], s[0:1], 0x28
	s_load_b96 s[16:18], s[0:1], 0x4c
	v_mov_b32_e32 v7, 0
	s_lshl_b32 s36, ttmp9, 5
	s_lshl_b32 s33, s3, 2
	s_delay_alu instid0(VALU_DEP_1)
	v_dual_mov_b32 v6, v7 :: v_dual_mov_b32 v5, v7
	v_dual_mov_b32 v4, v7 :: v_dual_mov_b32 v3, v7
	;; [unrolled: 1-line block ×7, first 2 shown]
	v_mov_b32_e32 v8, v7
	s_xor_b32 exec_lo, exec_lo, s37
	s_cbranch_execz .LBB54_19
; %bb.4:
	s_clause 0x1
	s_load_b128 s[12:15], s[0:1], 0x0
	s_load_b64 s[28:29], s[0:1], 0x10
	s_wait_kmcnt 0x0
	s_mul_i32 s30, s16, s2
	s_mul_i32 s34, s7, s36
	s_ashr_i32 s31, s30, 31
	s_ashr_i32 s35, s34, 31
	s_lshl_b64 s[38:39], s[26:27], 2
	s_lshl_b64 s[68:69], s[30:31], 2
	;; [unrolled: 1-line block ×3, first 2 shown]
	s_cmp_lt_i32 s33, s19
	v_mad_u32_u24 v0, 0x900, v51, 0
	v_dual_mov_b32 v8, 0 :: v_dual_lshlrev_b32 v1, 2, v52
	v_mul_u32_u24_e32 v2, 0x90, v54
	s_cselect_b32 s16, -1, 0
	s_or_b32 s30, s33, 1
	v_mov_b32_e32 v57, 0
	v_and_b32_e32 v3, 0x3f0, v52
	s_lshl_b32 s2, s33, 2
	s_cmp_lt_i32 s30, s19
	s_add_nc_u64 s[30:31], s[12:13], s[68:69]
	s_add_nc_u64 s[34:35], s[28:29], s[38:39]
	;; [unrolled: 1-line block ×3, first 2 shown]
	s_cselect_b32 s38, -1, 0
	s_or_b32 s30, s33, 2
	v_dual_mov_b32 v10, v57 :: v_dual_add_nc_u32 v55, v0, v1
	v_add3_u32 v56, v0, v2, v3
	v_dual_mov_b32 v9, v57 :: v_dual_lshlrev_b32 v0, 7, v51
	s_mov_b32 s3, 0
	s_cmp_lt_i32 s30, s19
	s_add_nc_u64 s[30:31], s[34:35], s[2:3]
	s_cselect_b32 s39, -1, 0
	s_or_b32 s2, s33, 3
	s_add_nc_u64 s[68:69], s[68:69], s[70:71]
	s_cmp_lt_i32 s2, s19
	v_add_co_u32 v0, s2, s68, v0
	s_delay_alu instid0(VALU_DEP_1) | instskip(SKIP_2) | instid1(VALU_DEP_1)
	v_add_co_ci_u32_e64 v2, null, s69, 0, s2
	s_mov_b32 s34, s8
	v_add_co_u32 v0, vcc_lo, v0, v1
	v_add_co_ci_u32_e64 v1, null, 0, v2, vcc_lo
	s_cselect_b32 s8, -1, 0
	v_add_co_u32 v49, vcc_lo, s12, v0
	s_wait_alu 0xfffd
	v_add_co_ci_u32_e64 v50, null, s13, v1, vcc_lo
	v_dual_mov_b32 v0, 0 :: v_dual_mov_b32 v11, v57
	v_mov_b32_e32 v14, v57
	v_dual_mov_b32 v12, v57 :: v_dual_mov_b32 v13, v57
	v_dual_mov_b32 v2, v57 :: v_dual_mov_b32 v15, v57
	;; [unrolled: 1-line block ×4, first 2 shown]
	v_mov_b32_e32 v5, v57
	v_mov_b32_e32 v7, v57
	s_ashr_i32 s73, s7, 31
	s_mov_b32 s72, s7
	s_mov_b32 s35, s3
	s_add_co_i32 s40, s7, s7
	s_mul_i32 s41, s7, 3
	s_lshl_b32 s42, s7, 2
	s_mul_i32 s43, s7, 5
	s_mul_i32 s44, s7, 6
	;; [unrolled: 1-line block ×3, first 2 shown]
	s_lshl_b32 s46, s7, 3
	s_mul_i32 s47, s7, 9
	s_mul_i32 s48, s7, 10
	;; [unrolled: 1-line block ×7, first 2 shown]
	s_lshl_b32 s54, s7, 4
	s_mul_i32 s55, s7, 17
	s_mul_i32 s56, s7, 18
	s_mul_i32 s57, s7, 19
	s_mul_i32 s58, s7, 20
	s_mul_i32 s59, s7, 21
	s_mul_i32 s60, s7, 22
	s_mul_i32 s61, s7, 23
	s_mul_i32 s62, s7, 24
	s_mul_i32 s63, s7, 25
	s_mul_i32 s64, s7, 26
	s_mul_i32 s65, s7, 27
	s_mul_i32 s66, s7, 28
	s_mul_i32 s67, s7, 29
	s_mul_i32 s68, s7, 30
	s_mul_i32 s7, s7, 31
	s_lshl_b64 s[12:13], s[72:73], 2
	s_mov_b32 s69, 0
	s_branch .LBB54_6
.LBB54_5:                               ;   in Loop: Header=BB54_6 Depth=1
	v_perm_b32 v58, v58, v59, 0x5040100
	v_perm_b32 v59, v61, v62, 0x5040100
	;; [unrolled: 1-line block ×4, first 2 shown]
	v_add_nc_u32_e32 v62, 0x400, v55
	ds_store_2addr_b32 v55, v58, v59 offset1:36
	ds_store_2addr_b32 v55, v60, v61 offset0:72 offset1:108
	ds_store_2addr_b32 v55, v57, v57 offset0:144 offset1:180
	v_add_nc_u32_e32 v58, 0x600, v55
	ds_store_2addr_b32 v55, v57, v57 offset0:216 offset1:252
	ds_store_2addr_b32 v62, v57, v57 offset0:32 offset1:68
	;; [unrolled: 1-line block ×5, first 2 shown]
	ds_load_b128 v[58:61], v56
	ds_load_b128 v[62:65], v56 offset:32
	ds_load_b128 v[66:69], v56 offset:64
	ds_load_b128 v[70:73], v56 offset:96
	v_add_nc_u32_e32 v48, 64, v48
	v_add_co_u32 v49, s2, 0x100, v49
	s_wait_alu 0xf1ff
	v_add_co_ci_u32_e64 v50, null, 0, v50, s2
	s_delay_alu instid0(VALU_DEP_3)
	v_cmp_le_i32_e32 vcc_lo, s4, v48
	s_or_b32 s69, vcc_lo, s69
	s_wait_dscnt 0x3
	v_wmma_f32_16x16x16_bf16 v[8:15], v[32:35], v[58:61], v[8:15]
	v_wmma_f32_16x16x16_bf16 v[0:7], v[44:47], v[58:61], v[0:7]
	s_wait_dscnt 0x2
	s_delay_alu instid0(VALU_DEP_2) | instskip(NEXT) | instid1(VALU_DEP_2)
	v_wmma_f32_16x16x16_bf16 v[8:15], v[28:31], v[62:65], v[8:15]
	v_wmma_f32_16x16x16_bf16 v[0:7], v[40:43], v[62:65], v[0:7]
	s_wait_dscnt 0x1
	s_delay_alu instid0(VALU_DEP_2) | instskip(NEXT) | instid1(VALU_DEP_2)
	;; [unrolled: 4-line block ×3, first 2 shown]
	v_wmma_f32_16x16x16_bf16 v[8:15], v[16:19], v[70:73], v[8:15]
	v_wmma_f32_16x16x16_bf16 v[0:7], v[20:23], v[70:73], v[0:7]
	s_wait_alu 0xfffe
	s_and_not1_b32 exec_lo, exec_lo, s69
	s_cbranch_execz .LBB54_18
.LBB54_6:                               ; =>This Inner Loop Header: Depth=1
	v_add_nc_u32_e32 v22, s42, v48
	v_add_nc_u32_e32 v16, s40, v48
	s_wait_alu 0xfffe
	v_add_co_u32 v20, vcc_lo, v49, s12
	v_add_nc_u32_e32 v18, s41, v48
	s_wait_alu 0xfffd
	v_add_co_ci_u32_e64 v21, null, s13, v50, vcc_lo
	v_ashrrev_i32_e32 v23, 31, v22
	v_ashrrev_i32_e32 v17, 31, v16
	v_add_nc_u32_e32 v24, s43, v48
	v_ashrrev_i32_e32 v19, 31, v18
	s_clause 0x1
	global_load_b32 v38, v[49:50], off
	global_load_b32 v39, v[20:21], off
	v_lshlrev_b64_e32 v[20:21], 2, v[22:23]
	v_add_nc_u32_e32 v22, s44, v48
	v_lshlrev_b64_e32 v[16:17], 2, v[16:17]
	v_add_nc_u32_e32 v26, s45, v48
	v_ashrrev_i32_e32 v25, 31, v24
	v_lshlrev_b64_e32 v[18:19], 2, v[18:19]
	v_add_nc_u32_e32 v28, s46, v48
	v_ashrrev_i32_e32 v23, 31, v22
	v_add_nc_u32_e32 v30, s47, v48
	v_ashrrev_i32_e32 v27, 31, v26
	v_add_co_u32 v16, vcc_lo, s28, v16
	v_lshlrev_b64_e32 v[24:25], 2, v[24:25]
	v_ashrrev_i32_e32 v29, 31, v28
	s_wait_alu 0xfffd
	v_add_co_ci_u32_e64 v17, null, s29, v17, vcc_lo
	v_add_co_u32 v18, vcc_lo, s28, v18
	v_lshlrev_b64_e32 v[22:23], 2, v[22:23]
	v_ashrrev_i32_e32 v31, 31, v30
	s_wait_alu 0xfffd
	v_add_co_ci_u32_e64 v19, null, s29, v19, vcc_lo
	v_add_co_u32 v20, vcc_lo, s28, v20
	v_lshlrev_b64_e32 v[26:27], 2, v[26:27]
	s_wait_alu 0xfffd
	v_add_co_ci_u32_e64 v21, null, s29, v21, vcc_lo
	v_add_co_u32 v24, vcc_lo, s28, v24
	v_lshlrev_b64_e32 v[28:29], 2, v[28:29]
	;; [unrolled: 4-line block ×3, first 2 shown]
	s_wait_alu 0xfffd
	v_add_co_ci_u32_e64 v23, null, s29, v23, vcc_lo
	v_add_co_u32 v26, vcc_lo, s28, v26
	v_add_nc_u32_e32 v32, s48, v48
	s_wait_alu 0xfffd
	v_add_co_ci_u32_e64 v27, null, s29, v27, vcc_lo
	v_add_co_u32 v28, vcc_lo, s28, v28
	v_add_nc_u32_e32 v34, s49, v48
	;; [unrolled: 4-line block ×3, first 2 shown]
	v_ashrrev_i32_e32 v33, 31, v32
	s_wait_alu 0xfffd
	v_add_co_ci_u32_e64 v31, null, s29, v31, vcc_lo
	s_clause 0x7
	global_load_b32 v40, v[16:17], off
	global_load_b32 v41, v[18:19], off
	;; [unrolled: 1-line block ×8, first 2 shown]
	v_add_nc_u32_e32 v18, s51, v48
	v_ashrrev_i32_e32 v35, 31, v34
	v_add_nc_u32_e32 v24, s52, v48
	v_ashrrev_i32_e32 v37, 31, v36
	v_lshlrev_b64_e32 v[32:33], 2, v[32:33]
	v_add_nc_u32_e32 v26, s53, v48
	v_ashrrev_i32_e32 v19, 31, v18
	v_lshlrev_b64_e32 v[16:17], 2, v[34:35]
	;; [unrolled: 3-line block ×3, first 2 shown]
	v_add_nc_u32_e32 v30, s55, v48
	v_ashrrev_i32_e32 v27, 31, v26
	v_add_co_u32 v20, vcc_lo, s28, v32
	v_lshlrev_b64_e32 v[18:19], 2, v[18:19]
	v_ashrrev_i32_e32 v29, 31, v28
	s_wait_alu 0xfffd
	v_add_co_ci_u32_e64 v21, null, s29, v33, vcc_lo
	v_add_co_u32 v16, vcc_lo, s28, v16
	v_lshlrev_b64_e32 v[24:25], 2, v[24:25]
	v_ashrrev_i32_e32 v31, 31, v30
	s_wait_alu 0xfffd
	v_add_co_ci_u32_e64 v17, null, s29, v17, vcc_lo
	v_add_co_u32 v22, vcc_lo, s28, v22
	v_lshlrev_b64_e32 v[26:27], 2, v[26:27]
	s_wait_alu 0xfffd
	v_add_co_ci_u32_e64 v23, null, s29, v23, vcc_lo
	v_add_co_u32 v18, vcc_lo, s28, v18
	v_lshlrev_b64_e32 v[28:29], 2, v[28:29]
	;; [unrolled: 4-line block ×3, first 2 shown]
	s_wait_alu 0xfffd
	v_add_co_ci_u32_e64 v25, null, s29, v25, vcc_lo
	v_add_co_u32 v26, vcc_lo, s28, v26
	v_add_nc_u32_e32 v32, s56, v48
	s_wait_alu 0xfffd
	v_add_co_ci_u32_e64 v27, null, s29, v27, vcc_lo
	v_add_co_u32 v28, vcc_lo, s28, v28
	v_add_nc_u32_e32 v34, s57, v48
	;; [unrolled: 4-line block ×3, first 2 shown]
	v_ashrrev_i32_e32 v33, 31, v32
	s_wait_alu 0xfffd
	v_add_co_ci_u32_e64 v31, null, s29, v31, vcc_lo
	s_clause 0x7
	global_load_b32 v58, v[20:21], off
	global_load_b32 v59, v[16:17], off
	;; [unrolled: 1-line block ×8, first 2 shown]
	v_add_nc_u32_e32 v18, s59, v48
	v_ashrrev_i32_e32 v35, 31, v34
	v_add_nc_u32_e32 v24, s60, v48
	v_ashrrev_i32_e32 v37, 31, v36
	v_lshlrev_b64_e32 v[32:33], 2, v[32:33]
	v_add_nc_u32_e32 v26, s61, v48
	v_ashrrev_i32_e32 v19, 31, v18
	v_lshlrev_b64_e32 v[16:17], 2, v[34:35]
	;; [unrolled: 3-line block ×3, first 2 shown]
	v_add_nc_u32_e32 v30, s63, v48
	v_ashrrev_i32_e32 v27, 31, v26
	v_add_co_u32 v20, vcc_lo, s28, v32
	v_lshlrev_b64_e32 v[18:19], 2, v[18:19]
	v_ashrrev_i32_e32 v29, 31, v28
	s_wait_alu 0xfffd
	v_add_co_ci_u32_e64 v21, null, s29, v33, vcc_lo
	v_add_co_u32 v16, vcc_lo, s28, v16
	v_lshlrev_b64_e32 v[24:25], 2, v[24:25]
	v_ashrrev_i32_e32 v31, 31, v30
	s_wait_alu 0xfffd
	v_add_co_ci_u32_e64 v17, null, s29, v17, vcc_lo
	v_add_co_u32 v22, vcc_lo, s28, v22
	v_lshlrev_b64_e32 v[26:27], 2, v[26:27]
	s_wait_alu 0xfffd
	v_add_co_ci_u32_e64 v23, null, s29, v23, vcc_lo
	v_add_co_u32 v18, vcc_lo, s28, v18
	v_lshlrev_b64_e32 v[28:29], 2, v[28:29]
	s_wait_alu 0xfffd
	v_add_co_ci_u32_e64 v19, null, s29, v19, vcc_lo
	v_add_co_u32 v24, vcc_lo, s28, v24
	v_lshlrev_b64_e32 v[30:31], 2, v[30:31]
	s_wait_alu 0xfffd
	v_add_co_ci_u32_e64 v25, null, s29, v25, vcc_lo
	v_add_co_u32 v26, vcc_lo, s28, v26
	v_add_nc_u32_e32 v32, s64, v48
	s_wait_alu 0xfffd
	v_add_co_ci_u32_e64 v27, null, s29, v27, vcc_lo
	v_add_co_u32 v28, vcc_lo, s28, v28
	v_add_nc_u32_e32 v34, s65, v48
	s_wait_alu 0xfffd
	v_add_co_ci_u32_e64 v29, null, s29, v29, vcc_lo
	v_add_co_u32 v30, vcc_lo, s28, v30
	v_add_nc_u32_e32 v36, s66, v48
	v_ashrrev_i32_e32 v33, 31, v32
	s_wait_alu 0xfffd
	v_add_co_ci_u32_e64 v31, null, s29, v31, vcc_lo
	s_clause 0x7
	global_load_b32 v66, v[20:21], off
	global_load_b32 v67, v[16:17], off
	;; [unrolled: 1-line block ×8, first 2 shown]
	v_add_nc_u32_e32 v18, s67, v48
	v_ashrrev_i32_e32 v35, 31, v34
	v_add_nc_u32_e32 v24, s68, v48
	v_ashrrev_i32_e32 v37, 31, v36
	v_lshlrev_b64_e32 v[32:33], 2, v[32:33]
	v_add_nc_u32_e32 v26, s7, v48
	v_ashrrev_i32_e32 v19, 31, v18
	v_lshlrev_b64_e32 v[16:17], 2, v[34:35]
	v_ashrrev_i32_e32 v25, 31, v24
	v_lshlrev_b64_e32 v[22:23], 2, v[36:37]
	v_ashrrev_i32_e32 v27, 31, v26
	v_add_co_u32 v20, vcc_lo, s28, v32
	v_lshlrev_b64_e32 v[18:19], 2, v[18:19]
	s_wait_alu 0xfffd
	v_add_co_ci_u32_e64 v21, null, s29, v33, vcc_lo
	v_add_co_u32 v16, vcc_lo, s28, v16
	v_lshlrev_b64_e32 v[24:25], 2, v[24:25]
	s_wait_alu 0xfffd
	v_add_co_ci_u32_e64 v17, null, s29, v17, vcc_lo
	;; [unrolled: 4-line block ×3, first 2 shown]
	v_add_co_u32 v18, vcc_lo, s28, v18
	s_wait_alu 0xfffd
	v_add_co_ci_u32_e64 v19, null, s29, v19, vcc_lo
	v_add_co_u32 v24, vcc_lo, s28, v24
	s_wait_alu 0xfffd
	v_add_co_ci_u32_e64 v25, null, s29, v25, vcc_lo
	;; [unrolled: 3-line block ×3, first 2 shown]
	s_clause 0x5
	global_load_b32 v20, v[20:21], off
	global_load_b32 v21, v[16:17], off
	;; [unrolled: 1-line block ×6, first 2 shown]
	s_and_not1_b32 vcc_lo, exec_lo, s16
	s_wait_loadcnt 0x1f
	ds_store_b32 v55, v38
	s_wait_loadcnt 0x1e
	ds_store_b32 v55, v39 offset:144
	s_wait_loadcnt 0x1d
	ds_store_b32 v55, v40 offset:288
	;; [unrolled: 2-line block ×15, first 2 shown]
	ds_load_b128 v[32:35], v56
	ds_load_b128 v[28:31], v56 offset:32
	ds_load_b128 v[24:27], v56 offset:64
	;; [unrolled: 1-line block ×3, first 2 shown]
	s_wait_loadcnt 0xf
	ds_store_b32 v55, v64
	s_wait_loadcnt 0xe
	ds_store_b32 v55, v65 offset:144
	s_wait_loadcnt 0xd
	ds_store_b32 v55, v66 offset:288
	;; [unrolled: 2-line block ×15, first 2 shown]
	ds_load_b128 v[44:47], v56
	ds_load_b128 v[40:43], v56 offset:32
	ds_load_b128 v[36:39], v56 offset:64
	;; [unrolled: 1-line block ×3, first 2 shown]
	v_dual_mov_b32 v59, 0 :: v_dual_mov_b32 v58, 0
	s_wait_alu 0xfffe
	s_cbranch_vccnz .LBB54_9
; %bb.7:                                ;   in Loop: Header=BB54_6 Depth=1
	s_load_b32 s2, s[30:31], 0x0
	v_dual_mov_b32 v58, 0 :: v_dual_mov_b32 v59, 0
	s_wait_kmcnt 0x0
	s_mul_u64 s[70:71], s[2:3], s[34:35]
	s_wait_alu 0xfffe
	s_add_co_i32 s70, s2, s71
	s_wait_alu 0xfffe
	s_lshr_b32 s70, s70, s9
	s_wait_alu 0xfffe
	s_cmp_ge_i32 s70, s5
	s_cbranch_scc1 .LBB54_9
; %bb.8:                                ;   in Loop: Header=BB54_6 Depth=1
	v_mad_co_u64_u32 v[58:59], null, s70, s20, v[48:49]
	s_mul_i32 s70, s70, s10
	s_wait_alu 0xfffe
	s_sub_co_i32 s2, s2, s70
	s_wait_alu 0xfffe
	s_mul_i32 s2, s2, s17
	s_wait_alu 0xfffe
	v_lshl_add_u32 v58, v58, 1, s2
	s_delay_alu instid0(VALU_DEP_1) | instskip(NEXT) | instid1(VALU_DEP_1)
	v_ashrrev_i32_e32 v59, 31, v58
	v_lshlrev_b64_e32 v[58:59], 2, v[58:59]
	s_delay_alu instid0(VALU_DEP_1) | instskip(SKIP_1) | instid1(VALU_DEP_2)
	v_add_co_u32 v58, vcc_lo, s14, v58
	s_wait_alu 0xfffd
	v_add_co_ci_u32_e64 v59, null, s15, v59, vcc_lo
	global_load_b64 v[58:59], v[58:59], off
	s_wait_loadcnt 0x0
	v_bfe_u32 v60, v58, 16, 1
	v_bfe_u32 v61, v59, 16, 1
	v_or_b32_e32 v62, 0x400000, v58
	v_cmp_u_f32_e32 vcc_lo, v58, v58
	v_or_b32_e32 v63, 0x400000, v59
	v_add3_u32 v60, v60, v58, 0x7fff
	v_add3_u32 v61, v61, v59, 0x7fff
	s_wait_alu 0xfffd
	s_delay_alu instid0(VALU_DEP_2) | instskip(SKIP_1) | instid1(VALU_DEP_2)
	v_cndmask_b32_e32 v58, v60, v62, vcc_lo
	v_cmp_u_f32_e32 vcc_lo, v59, v59
	v_lshrrev_b32_e32 v59, 16, v58
	s_wait_alu 0xfffd
	v_cndmask_b32_e32 v60, v61, v63, vcc_lo
	s_delay_alu instid0(VALU_DEP_1)
	v_lshrrev_b32_e32 v58, 16, v60
.LBB54_9:                               ;   in Loop: Header=BB54_6 Depth=1
	v_dual_mov_b32 v60, 0 :: v_dual_mov_b32 v61, 0
	v_mov_b32_e32 v62, 0
	s_and_not1_b32 vcc_lo, exec_lo, s38
	s_wait_alu 0xfffe
	s_cbranch_vccnz .LBB54_12
; %bb.10:                               ;   in Loop: Header=BB54_6 Depth=1
	s_load_b32 s2, s[30:31], 0x4
	v_dual_mov_b32 v61, 0 :: v_dual_mov_b32 v62, 0
	s_wait_kmcnt 0x0
	s_mul_u64 s[70:71], s[2:3], s[34:35]
	s_wait_alu 0xfffe
	s_add_co_i32 s70, s2, s71
	s_wait_alu 0xfffe
	s_lshr_b32 s70, s70, s9
	s_wait_alu 0xfffe
	s_cmp_ge_i32 s70, s5
	s_cbranch_scc1 .LBB54_12
; %bb.11:                               ;   in Loop: Header=BB54_6 Depth=1
	v_mad_co_u64_u32 v[61:62], null, s70, s20, v[48:49]
	s_mul_i32 s70, s70, s10
	s_wait_alu 0xfffe
	s_sub_co_i32 s2, s2, s70
	s_wait_alu 0xfffe
	s_mul_i32 s2, s2, s17
	s_wait_alu 0xfffe
	v_lshl_add_u32 v61, v61, 1, s2
	s_delay_alu instid0(VALU_DEP_1) | instskip(NEXT) | instid1(VALU_DEP_1)
	v_ashrrev_i32_e32 v62, 31, v61
	v_lshlrev_b64_e32 v[61:62], 2, v[61:62]
	s_delay_alu instid0(VALU_DEP_1) | instskip(SKIP_1) | instid1(VALU_DEP_2)
	v_add_co_u32 v61, vcc_lo, s14, v61
	s_wait_alu 0xfffd
	v_add_co_ci_u32_e64 v62, null, s15, v62, vcc_lo
	global_load_b64 v[61:62], v[61:62], off
	s_wait_loadcnt 0x0
	v_bfe_u32 v63, v61, 16, 1
	v_bfe_u32 v64, v62, 16, 1
	v_or_b32_e32 v65, 0x400000, v61
	v_cmp_u_f32_e32 vcc_lo, v61, v61
	v_or_b32_e32 v66, 0x400000, v62
	v_add3_u32 v63, v63, v61, 0x7fff
	v_add3_u32 v64, v64, v62, 0x7fff
	s_wait_alu 0xfffd
	s_delay_alu instid0(VALU_DEP_2) | instskip(SKIP_1) | instid1(VALU_DEP_2)
	v_cndmask_b32_e32 v61, v63, v65, vcc_lo
	v_cmp_u_f32_e32 vcc_lo, v62, v62
	v_lshrrev_b32_e32 v62, 16, v61
	s_wait_alu 0xfffd
	v_cndmask_b32_e32 v63, v64, v66, vcc_lo
	s_delay_alu instid0(VALU_DEP_1)
	v_lshrrev_b32_e32 v61, 16, v63
.LBB54_12:                              ;   in Loop: Header=BB54_6 Depth=1
	v_mov_b32_e32 v63, 0
	s_and_not1_b32 vcc_lo, exec_lo, s39
	s_wait_alu 0xfffe
	s_cbranch_vccnz .LBB54_15
; %bb.13:                               ;   in Loop: Header=BB54_6 Depth=1
	s_load_b32 s2, s[30:31], 0x8
	v_dual_mov_b32 v63, 0 :: v_dual_mov_b32 v60, 0
	s_wait_kmcnt 0x0
	s_mul_u64 s[70:71], s[2:3], s[34:35]
	s_wait_alu 0xfffe
	s_add_co_i32 s70, s2, s71
	s_wait_alu 0xfffe
	s_lshr_b32 s70, s70, s9
	s_wait_alu 0xfffe
	s_cmp_ge_i32 s70, s5
	s_cbranch_scc1 .LBB54_15
; %bb.14:                               ;   in Loop: Header=BB54_6 Depth=1
	v_mad_co_u64_u32 v[63:64], null, s70, s20, v[48:49]
	s_mul_i32 s70, s70, s10
	s_wait_alu 0xfffe
	s_sub_co_i32 s2, s2, s70
	s_wait_alu 0xfffe
	s_mul_i32 s2, s2, s17
	s_wait_alu 0xfffe
	v_lshl_add_u32 v63, v63, 1, s2
	s_delay_alu instid0(VALU_DEP_1) | instskip(NEXT) | instid1(VALU_DEP_1)
	v_ashrrev_i32_e32 v64, 31, v63
	v_lshlrev_b64_e32 v[63:64], 2, v[63:64]
	s_delay_alu instid0(VALU_DEP_1) | instskip(SKIP_1) | instid1(VALU_DEP_2)
	v_add_co_u32 v63, vcc_lo, s14, v63
	s_wait_alu 0xfffd
	v_add_co_ci_u32_e64 v64, null, s15, v64, vcc_lo
	global_load_b64 v[63:64], v[63:64], off
	s_wait_loadcnt 0x0
	v_bfe_u32 v60, v63, 16, 1
	v_bfe_u32 v65, v64, 16, 1
	v_or_b32_e32 v66, 0x400000, v63
	v_cmp_u_f32_e32 vcc_lo, v63, v63
	v_or_b32_e32 v67, 0x400000, v64
	v_add3_u32 v60, v60, v63, 0x7fff
	v_add3_u32 v65, v65, v64, 0x7fff
	s_wait_alu 0xfffd
	s_delay_alu instid0(VALU_DEP_2) | instskip(SKIP_3) | instid1(VALU_DEP_3)
	v_cndmask_b32_e32 v60, v60, v66, vcc_lo
	v_cmp_u_f32_e32 vcc_lo, v64, v64
	s_wait_alu 0xfffd
	v_cndmask_b32_e32 v63, v65, v67, vcc_lo
	v_lshrrev_b32_e32 v60, 16, v60
	s_delay_alu instid0(VALU_DEP_2)
	v_lshrrev_b32_e32 v63, 16, v63
.LBB54_15:                              ;   in Loop: Header=BB54_6 Depth=1
	v_dual_mov_b32 v64, 0 :: v_dual_mov_b32 v65, 0
	s_and_not1_b32 vcc_lo, exec_lo, s8
	s_wait_alu 0xfffe
	s_cbranch_vccnz .LBB54_5
; %bb.16:                               ;   in Loop: Header=BB54_6 Depth=1
	s_load_b32 s2, s[30:31], 0xc
	v_dual_mov_b32 v65, 0 :: v_dual_mov_b32 v64, 0
	s_wait_kmcnt 0x0
	s_mul_u64 s[70:71], s[2:3], s[34:35]
	s_wait_alu 0xfffe
	s_add_co_i32 s70, s2, s71
	s_wait_alu 0xfffe
	s_lshr_b32 s70, s70, s9
	s_wait_alu 0xfffe
	s_cmp_ge_i32 s70, s5
	s_cbranch_scc1 .LBB54_5
; %bb.17:                               ;   in Loop: Header=BB54_6 Depth=1
	v_mad_co_u64_u32 v[64:65], null, s70, s20, v[48:49]
	s_mul_i32 s70, s70, s10
	s_wait_alu 0xfffe
	s_sub_co_i32 s2, s2, s70
	s_wait_alu 0xfffe
	s_mul_i32 s2, s2, s17
	s_wait_alu 0xfffe
	v_lshl_add_u32 v64, v64, 1, s2
	s_delay_alu instid0(VALU_DEP_1) | instskip(NEXT) | instid1(VALU_DEP_1)
	v_ashrrev_i32_e32 v65, 31, v64
	v_lshlrev_b64_e32 v[64:65], 2, v[64:65]
	s_delay_alu instid0(VALU_DEP_1) | instskip(SKIP_1) | instid1(VALU_DEP_2)
	v_add_co_u32 v64, vcc_lo, s14, v64
	s_wait_alu 0xfffd
	v_add_co_ci_u32_e64 v65, null, s15, v65, vcc_lo
	global_load_b64 v[64:65], v[64:65], off
	s_wait_loadcnt 0x0
	v_bfe_u32 v66, v64, 16, 1
	v_bfe_u32 v67, v65, 16, 1
	v_or_b32_e32 v68, 0x400000, v64
	v_cmp_u_f32_e32 vcc_lo, v64, v64
	v_or_b32_e32 v69, 0x400000, v65
	v_add3_u32 v66, v66, v64, 0x7fff
	v_add3_u32 v67, v67, v65, 0x7fff
	s_wait_alu 0xfffd
	s_delay_alu instid0(VALU_DEP_2) | instskip(SKIP_3) | instid1(VALU_DEP_3)
	v_cndmask_b32_e32 v64, v66, v68, vcc_lo
	v_cmp_u_f32_e32 vcc_lo, v65, v65
	s_wait_alu 0xfffd
	v_cndmask_b32_e32 v65, v67, v69, vcc_lo
	v_lshrrev_b32_e32 v64, 16, v64
	s_delay_alu instid0(VALU_DEP_2)
	v_lshrrev_b32_e32 v65, 16, v65
	s_branch .LBB54_5
.LBB54_18:
	s_or_b32 exec_lo, exec_lo, s69
.LBB54_19:
	s_delay_alu instid0(SALU_CYCLE_1) | instskip(SKIP_4) | instid1(VALU_DEP_3)
	s_or_b32 exec_lo, exec_lo, s37
	v_lshlrev_b32_e32 v16, 1, v52
	s_load_b64 s[0:1], s[0:1], 0x18
	v_lshl_add_u32 v17, v53, 2, 0
	v_mul_u32_u24_e32 v18, 0x110, v54
	v_and_b32_e32 v16, 0x7e0, v16
	s_barrier_signal -1
	s_barrier_wait -1
	global_inv scope:SCOPE_SE
	s_lshl_b64 s[2:3], s[26:27], 2
	v_add3_u32 v16, v17, v18, v16
	s_cmp_gt_i32 s6, 0
	ds_store_2addr_b32 v16, v8, v9 offset1:1
	ds_store_2addr_b32 v16, v10, v11 offset0:2 offset1:3
	ds_store_2addr_b32 v16, v12, v13 offset0:4 offset1:5
	;; [unrolled: 1-line block ×7, first 2 shown]
	v_add_nc_u32_e32 v0, s33, v51
	v_lshl_add_u32 v3, v52, 2, 0
	v_add_nc_u32_e32 v2, s36, v52
	v_mul_u32_u24_e32 v4, 0x110, v51
	s_wait_loadcnt_dscnt 0x0
	v_cmp_gt_i32_e32 vcc_lo, s19, v0
	s_wait_kmcnt 0x0
	s_wait_alu 0xfffe
	s_add_nc_u64 s[2:3], s[0:1], s[2:3]
	v_cmp_gt_u32_e64 s0, 4, v51
	s_cselect_b32 s1, -1, 0
	s_barrier_signal -1
	s_and_b32 s4, s1, vcc_lo
	s_barrier_wait -1
	s_wait_alu 0xfffe
	s_and_b32 s4, s0, s4
	global_inv scope:SCOPE_SE
	s_wait_alu 0xfffe
	s_and_saveexec_b32 s0, s4
	s_cbranch_execz .LBB54_22
; %bb.20:
	v_ashrrev_i32_e32 v1, 31, v0
	s_delay_alu instid0(VALU_DEP_1) | instskip(NEXT) | instid1(VALU_DEP_1)
	v_lshlrev_b64_e32 v[5:6], 2, v[0:1]
	v_add_co_u32 v5, vcc_lo, s2, v5
	s_wait_alu 0xfffd
	s_delay_alu instid0(VALU_DEP_2) | instskip(SKIP_3) | instid1(VALU_DEP_1)
	v_add_co_ci_u32_e64 v6, null, s3, v6, vcc_lo
	global_load_b32 v1, v[5:6], off
	s_wait_loadcnt 0x0
	v_mul_hi_u32 v5, v1, s11
	v_add_nc_u32_e32 v5, v1, v5
	s_delay_alu instid0(VALU_DEP_1) | instskip(NEXT) | instid1(VALU_DEP_1)
	v_lshrrev_b32_e32 v5, s22, v5
	v_cmp_gt_i32_e32 vcc_lo, s5, v5
	s_and_b32 exec_lo, exec_lo, vcc_lo
	s_cbranch_execz .LBB54_22
; %bb.21:
	v_mul_lo_u32 v8, v5, s23
	v_dual_mov_b32 v9, 0 :: v_dual_add_nc_u32 v6, v3, v4
	v_mul_lo_u32 v5, v5, s21
	ds_load_2addr_b32 v[6:7], v6 offset1:32
	v_sub_nc_u32_e32 v1, v1, v8
	s_delay_alu instid0(VALU_DEP_1) | instskip(NEXT) | instid1(VALU_DEP_1)
	v_mul_lo_u32 v1, v1, s18
	v_add3_u32 v8, v2, v5, v1
	s_wait_dscnt 0x0
	v_add_f32_e32 v1, 0, v6
	s_delay_alu instid0(VALU_DEP_2) | instskip(NEXT) | instid1(VALU_DEP_2)
	v_lshlrev_b64_e32 v[5:6], 2, v[8:9]
	v_add_f32_e32 v1, v1, v7
	s_delay_alu instid0(VALU_DEP_2) | instskip(SKIP_1) | instid1(VALU_DEP_3)
	v_add_co_u32 v5, vcc_lo, s24, v5
	s_wait_alu 0xfffd
	v_add_co_ci_u32_e64 v6, null, s25, v6, vcc_lo
	global_store_b32 v[5:6], v1, off
.LBB54_22:
	s_or_b32 exec_lo, exec_lo, s0
	v_add_nc_u32_e32 v0, 2, v0
	v_cmp_gt_u32_e64 s0, 2, v51
	s_delay_alu instid0(VALU_DEP_2) | instskip(SKIP_1) | instid1(SALU_CYCLE_1)
	v_cmp_gt_i32_e32 vcc_lo, s19, v0
	s_and_b32 s1, s1, vcc_lo
	s_and_b32 s0, s0, s1
	s_delay_alu instid0(SALU_CYCLE_1)
	s_and_saveexec_b32 s1, s0
	s_cbranch_execz .LBB54_25
; %bb.23:
	v_add_lshl_u32 v0, v51, s33, 2
	global_load_b32 v0, v0, s[2:3] offset:8
	s_wait_loadcnt 0x0
	v_mul_hi_u32 v1, v0, s11
	s_delay_alu instid0(VALU_DEP_1) | instskip(NEXT) | instid1(VALU_DEP_1)
	v_add_nc_u32_e32 v1, v0, v1
	v_lshrrev_b32_e32 v1, s22, v1
	s_delay_alu instid0(VALU_DEP_1)
	v_cmp_gt_i32_e32 vcc_lo, s5, v1
	s_and_b32 exec_lo, exec_lo, vcc_lo
	s_cbranch_execz .LBB54_25
; %bb.24:
	v_mul_lo_u32 v5, v1, s23
	v_add_nc_u32_e32 v3, v4, v3
	ds_load_2addr_b32 v[3:4], v3 offset0:136 offset1:168
	v_sub_nc_u32_e32 v0, v0, v5
	v_mul_lo_u32 v5, v1, s21
	v_mov_b32_e32 v1, 0
	s_delay_alu instid0(VALU_DEP_3) | instskip(NEXT) | instid1(VALU_DEP_1)
	v_mul_lo_u32 v0, v0, s18
	v_add3_u32 v0, v2, v5, v0
	s_wait_dscnt 0x0
	v_add_f32_e32 v2, 0, v3
	s_delay_alu instid0(VALU_DEP_2) | instskip(NEXT) | instid1(VALU_DEP_2)
	v_lshlrev_b64_e32 v[0:1], 2, v[0:1]
	v_add_f32_e32 v2, v2, v4
	s_delay_alu instid0(VALU_DEP_2) | instskip(SKIP_1) | instid1(VALU_DEP_3)
	v_add_co_u32 v0, vcc_lo, s24, v0
	s_wait_alu 0xfffd
	v_add_co_ci_u32_e64 v1, null, s25, v1, vcc_lo
	global_store_b32 v[0:1], v2, off
.LBB54_25:
	s_endpgm
	.section	.rodata,"a",@progbits
	.p2align	6, 0x0
	.amdhsa_kernel _ZL13mul_mat_f_idsI15__hip_bfloat162Li32ELi4ELi2EEvPKT_PKfPKiS7_S7_Pfiiiiiiiiiiiiii15HIP_vector_typeIjLj3EESA_
		.amdhsa_group_segment_fixed_size 0
		.amdhsa_private_segment_fixed_size 0
		.amdhsa_kernarg_size 128
		.amdhsa_user_sgpr_count 2
		.amdhsa_user_sgpr_dispatch_ptr 0
		.amdhsa_user_sgpr_queue_ptr 0
		.amdhsa_user_sgpr_kernarg_segment_ptr 1
		.amdhsa_user_sgpr_dispatch_id 0
		.amdhsa_user_sgpr_private_segment_size 0
		.amdhsa_wavefront_size32 1
		.amdhsa_uses_dynamic_stack 0
		.amdhsa_enable_private_segment 0
		.amdhsa_system_sgpr_workgroup_id_x 1
		.amdhsa_system_sgpr_workgroup_id_y 1
		.amdhsa_system_sgpr_workgroup_id_z 1
		.amdhsa_system_sgpr_workgroup_info 0
		.amdhsa_system_vgpr_workitem_id 1
		.amdhsa_next_free_vgpr 74
		.amdhsa_next_free_sgpr 74
		.amdhsa_reserve_vcc 1
		.amdhsa_float_round_mode_32 0
		.amdhsa_float_round_mode_16_64 0
		.amdhsa_float_denorm_mode_32 3
		.amdhsa_float_denorm_mode_16_64 3
		.amdhsa_fp16_overflow 0
		.amdhsa_workgroup_processor_mode 1
		.amdhsa_memory_ordered 1
		.amdhsa_forward_progress 1
		.amdhsa_inst_pref_size 36
		.amdhsa_round_robin_scheduling 0
		.amdhsa_exception_fp_ieee_invalid_op 0
		.amdhsa_exception_fp_denorm_src 0
		.amdhsa_exception_fp_ieee_div_zero 0
		.amdhsa_exception_fp_ieee_overflow 0
		.amdhsa_exception_fp_ieee_underflow 0
		.amdhsa_exception_fp_ieee_inexact 0
		.amdhsa_exception_int_div_zero 0
	.end_amdhsa_kernel
	.section	.text._ZL13mul_mat_f_idsI15__hip_bfloat162Li32ELi4ELi2EEvPKT_PKfPKiS7_S7_Pfiiiiiiiiiiiiii15HIP_vector_typeIjLj3EESA_,"axG",@progbits,_ZL13mul_mat_f_idsI15__hip_bfloat162Li32ELi4ELi2EEvPKT_PKfPKiS7_S7_Pfiiiiiiiiiiiiii15HIP_vector_typeIjLj3EESA_,comdat
.Lfunc_end54:
	.size	_ZL13mul_mat_f_idsI15__hip_bfloat162Li32ELi4ELi2EEvPKT_PKfPKiS7_S7_Pfiiiiiiiiiiiiii15HIP_vector_typeIjLj3EESA_, .Lfunc_end54-_ZL13mul_mat_f_idsI15__hip_bfloat162Li32ELi4ELi2EEvPKT_PKfPKiS7_S7_Pfiiiiiiiiiiiiii15HIP_vector_typeIjLj3EESA_
                                        ; -- End function
	.set _ZL13mul_mat_f_idsI15__hip_bfloat162Li32ELi4ELi2EEvPKT_PKfPKiS7_S7_Pfiiiiiiiiiiiiii15HIP_vector_typeIjLj3EESA_.num_vgpr, 74
	.set _ZL13mul_mat_f_idsI15__hip_bfloat162Li32ELi4ELi2EEvPKT_PKfPKiS7_S7_Pfiiiiiiiiiiiiii15HIP_vector_typeIjLj3EESA_.num_agpr, 0
	.set _ZL13mul_mat_f_idsI15__hip_bfloat162Li32ELi4ELi2EEvPKT_PKfPKiS7_S7_Pfiiiiiiiiiiiiii15HIP_vector_typeIjLj3EESA_.numbered_sgpr, 74
	.set _ZL13mul_mat_f_idsI15__hip_bfloat162Li32ELi4ELi2EEvPKT_PKfPKiS7_S7_Pfiiiiiiiiiiiiii15HIP_vector_typeIjLj3EESA_.num_named_barrier, 0
	.set _ZL13mul_mat_f_idsI15__hip_bfloat162Li32ELi4ELi2EEvPKT_PKfPKiS7_S7_Pfiiiiiiiiiiiiii15HIP_vector_typeIjLj3EESA_.private_seg_size, 0
	.set _ZL13mul_mat_f_idsI15__hip_bfloat162Li32ELi4ELi2EEvPKT_PKfPKiS7_S7_Pfiiiiiiiiiiiiii15HIP_vector_typeIjLj3EESA_.uses_vcc, 1
	.set _ZL13mul_mat_f_idsI15__hip_bfloat162Li32ELi4ELi2EEvPKT_PKfPKiS7_S7_Pfiiiiiiiiiiiiii15HIP_vector_typeIjLj3EESA_.uses_flat_scratch, 0
	.set _ZL13mul_mat_f_idsI15__hip_bfloat162Li32ELi4ELi2EEvPKT_PKfPKiS7_S7_Pfiiiiiiiiiiiiii15HIP_vector_typeIjLj3EESA_.has_dyn_sized_stack, 0
	.set _ZL13mul_mat_f_idsI15__hip_bfloat162Li32ELi4ELi2EEvPKT_PKfPKiS7_S7_Pfiiiiiiiiiiiiii15HIP_vector_typeIjLj3EESA_.has_recursion, 0
	.set _ZL13mul_mat_f_idsI15__hip_bfloat162Li32ELi4ELi2EEvPKT_PKfPKiS7_S7_Pfiiiiiiiiiiiiii15HIP_vector_typeIjLj3EESA_.has_indirect_call, 0
	.section	.AMDGPU.csdata,"",@progbits
; Kernel info:
; codeLenInByte = 4588
; TotalNumSgprs: 76
; NumVgprs: 74
; ScratchSize: 0
; MemoryBound: 0
; FloatMode: 240
; IeeeMode: 1
; LDSByteSize: 0 bytes/workgroup (compile time only)
; SGPRBlocks: 0
; VGPRBlocks: 9
; NumSGPRsForWavesPerEU: 76
; NumVGPRsForWavesPerEU: 74
; Occupancy: 16
; WaveLimiterHint : 1
; COMPUTE_PGM_RSRC2:SCRATCH_EN: 0
; COMPUTE_PGM_RSRC2:USER_SGPR: 2
; COMPUTE_PGM_RSRC2:TRAP_HANDLER: 0
; COMPUTE_PGM_RSRC2:TGID_X_EN: 1
; COMPUTE_PGM_RSRC2:TGID_Y_EN: 1
; COMPUTE_PGM_RSRC2:TGID_Z_EN: 1
; COMPUTE_PGM_RSRC2:TIDIG_COMP_CNT: 1
	.section	.text._ZL9mul_mat_fI15__hip_bfloat162Li32ELi4ELi2ELb1EEvPKT_PKfPKiPfiiiiiiiiiiiiiiii,"axG",@progbits,_ZL9mul_mat_fI15__hip_bfloat162Li32ELi4ELi2ELb1EEvPKT_PKfPKiPfiiiiiiiiiiiiiiii,comdat
	.globl	_ZL9mul_mat_fI15__hip_bfloat162Li32ELi4ELi2ELb1EEvPKT_PKfPKiPfiiiiiiiiiiiiiiii ; -- Begin function _ZL9mul_mat_fI15__hip_bfloat162Li32ELi4ELi2ELb1EEvPKT_PKfPKiPfiiiiiiiiiiiiiiii
	.p2align	8
	.type	_ZL9mul_mat_fI15__hip_bfloat162Li32ELi4ELi2ELb1EEvPKT_PKfPKiPfiiiiiiiiiiiiiiii,@function
_ZL9mul_mat_fI15__hip_bfloat162Li32ELi4ELi2ELb1EEvPKT_PKfPKiPfiiiiiiiiiiiiiiii: ; @_ZL9mul_mat_fI15__hip_bfloat162Li32ELi4ELi2ELb1EEvPKT_PKfPKiPfiiiiiiiiiiiiiiii
; %bb.0:
	s_clause 0x1
	s_load_b256 s[8:15], s[0:1], 0x20
	s_load_b128 s[16:19], s[0:1], 0x44
	v_and_b32_e32 v48, 0x3ff, v0
	s_mov_b32 s29, 0
	v_bfe_u32 v55, v0, 10, 10
	s_delay_alu instid0(VALU_DEP_2) | instskip(SKIP_2) | instid1(SALU_CYCLE_1)
	v_cmp_eq_u32_e32 vcc_lo, 0, v48
	s_wait_kmcnt 0x0
	s_add_co_i32 s2, s9, 3
	s_ashr_i32 s3, s2, 31
	s_delay_alu instid0(SALU_CYCLE_1) | instskip(NEXT) | instid1(SALU_CYCLE_1)
	s_lshr_b32 s3, s3, 30
	s_add_co_i32 s2, s2, s3
	s_delay_alu instid0(SALU_CYCLE_1) | instskip(NEXT) | instid1(SALU_CYCLE_1)
	s_ashr_i32 s2, s2, 2
	s_cvt_f32_u32 s3, s2
	s_sub_co_i32 s5, 0, s2
	s_delay_alu instid0(SALU_CYCLE_2) | instskip(SKIP_1) | instid1(TRANS32_DEP_1)
	v_rcp_iflag_f32_e32 v1, s3
	s_load_b32 s3, s[0:1], 0x64
	v_readfirstlane_b32 s4, v1
	s_mul_f32 s4, s4, 0x4f7ffffe
	s_delay_alu instid0(SALU_CYCLE_3) | instskip(NEXT) | instid1(SALU_CYCLE_3)
	s_cvt_u32_f32 s4, s4
	s_mul_i32 s5, s5, s4
	s_delay_alu instid0(SALU_CYCLE_1) | instskip(NEXT) | instid1(SALU_CYCLE_1)
	s_mul_hi_u32 s5, s4, s5
	s_add_co_i32 s4, s4, s5
	s_wait_kmcnt 0x0
	s_mul_hi_u32 s4, s3, s4
	s_delay_alu instid0(SALU_CYCLE_1) | instskip(NEXT) | instid1(SALU_CYCLE_1)
	s_mul_i32 s5, s4, s2
	s_sub_co_i32 s3, s3, s5
	s_add_co_i32 s5, s4, 1
	s_wait_alu 0xfffe
	s_sub_co_i32 s6, s3, s2
	s_cmp_ge_u32 s3, s2
	s_cselect_b32 s4, s5, s4
	s_cselect_b32 s3, s6, s3
	s_add_co_i32 s5, s4, 1
	s_wait_alu 0xfffe
	s_cmp_ge_u32 s3, s2
	s_load_b64 s[6:7], s[0:1], 0x10
	s_cselect_b32 s4, s5, s4
	s_abs_i32 s33, s19
	s_cvt_f32_u32 s2, s4
	s_sub_co_i32 s5, 0, s4
	s_and_b32 s28, ttmp7, 0xffff
	s_wait_alu 0xfffe
	v_rcp_iflag_f32_e32 v1, s2
	s_cvt_f32_u32 s2, s33
	s_delay_alu instid0(TRANS32_DEP_1) | instskip(SKIP_1) | instid1(SALU_CYCLE_1)
	v_readfirstlane_b32 s3, v1
	s_wait_alu 0xfffe
	v_rcp_iflag_f32_e32 v1, s2
	s_mul_f32 s2, s3, 0x4f7ffffe
	s_mov_b32 s3, s29
	s_wait_alu 0xfffe
	s_delay_alu instid0(SALU_CYCLE_1) | instskip(NEXT) | instid1(TRANS32_DEP_1)
	s_cvt_u32_f32 s2, s2
	v_readfirstlane_b32 s20, v1
	s_wait_alu 0xfffe
	s_delay_alu instid0(SALU_CYCLE_1) | instskip(NEXT) | instid1(SALU_CYCLE_1)
	s_mul_i32 s5, s5, s2
	s_mul_hi_u32 s5, s2, s5
	s_mul_f32 s20, s20, 0x4f7ffffe
	s_add_co_i32 s2, s2, s5
	s_wait_alu 0xfffe
	s_mul_u64 s[2:3], s[28:29], s[2:3]
	s_cvt_u32_f32 s23, s20
	s_sub_co_i32 s20, 0, s33
	s_and_saveexec_b32 s2, vcc_lo
; %bb.1:
	v_lshl_add_u32 v1, v55, 2, 0x100
	v_mov_b32_e32 v2, -1
	ds_store_b32 v1, v2
; %bb.2:
	s_wait_alu 0xfffe
	s_or_b32 exec_lo, exec_lo, s2
	s_mul_i32 s2, s3, s4
	s_add_co_i32 s5, s3, 1
	s_wait_alu 0xfffe
	s_sub_co_i32 s2, s28, s2
	v_mov_b32_e32 v3, 0
	s_wait_alu 0xfffe
	s_sub_co_i32 s21, s2, s4
	s_cmp_ge_u32 s2, s4
	s_mul_i32 s20, s20, s23
	s_cselect_b32 s3, s5, s3
	s_cselect_b32 s2, s21, s2
	s_wait_alu 0xfffe
	s_add_co_i32 s5, s3, 1
	s_cmp_ge_u32 s2, s4
	s_mov_b32 s2, s15
	s_cselect_b32 s5, s5, s3
	s_ashr_i32 s3, s15, 31
	s_lshl_b32 s24, s5, 2
	s_mul_i32 s5, s5, s4
	v_add_nc_u32_e32 v1, s24, v55
	s_ashr_i32 s25, s24, 31
	v_cmp_gt_i32_e64 s4, s10, v48
	s_wait_alu 0xfffe
	s_mul_u64 s[26:27], s[24:25], s[2:3]
	s_sub_co_i32 s36, s28, s5
	v_cmp_gt_i32_e64 s2, s9, v1
	s_lshl_b64 s[26:27], s[26:27], 2
	s_wait_kmcnt 0x0
	s_add_nc_u64 s[6:7], s[6:7], s[26:27]
	s_and_saveexec_b32 s21, s2
	s_cbranch_execz .LBB55_10
; %bb.3:
	v_mov_b32_e32 v3, 0
	s_and_saveexec_b32 s22, s4
	s_cbranch_execz .LBB55_9
; %bb.4:
	v_mul_lo_u32 v1, v55, s15
	v_lshl_add_u32 v4, v55, 2, 0x100
	v_mov_b32_e32 v3, 0
	v_mov_b32_e32 v7, v48
	s_lshl_b32 s27, s14, 5
	s_mov_b32 s26, 0
	s_delay_alu instid0(VALU_DEP_4) | instskip(NEXT) | instid1(VALU_DEP_1)
	v_ashrrev_i32_e32 v2, 31, v1
	v_lshlrev_b64_e32 v[5:6], 2, v[1:2]
	v_mul_lo_u32 v1, v48, s14
	s_delay_alu instid0(VALU_DEP_2) | instskip(SKIP_1) | instid1(VALU_DEP_3)
	v_add_co_u32 v5, s3, s6, v5
	s_wait_alu 0xf1ff
	v_add_co_ci_u32_e64 v6, null, s7, v6, s3
	s_branch .LBB55_6
.LBB55_5:                               ;   in Loop: Header=BB55_6 Depth=1
	s_or_b32 exec_lo, exec_lo, s28
	v_add_nc_u32_e32 v7, 32, v7
	s_xor_b32 s3, s3, -1
	v_add_nc_u32_e32 v1, s27, v1
	s_delay_alu instid0(VALU_DEP_2)
	v_cmp_le_i32_e64 s5, s10, v7
	s_wait_alu 0xfffe
	s_or_b32 s3, s3, s5
	s_wait_alu 0xfffe
	s_and_b32 s3, exec_lo, s3
	s_wait_alu 0xfffe
	s_or_b32 s26, s3, s26
	s_wait_alu 0xfffe
	s_and_not1_b32 exec_lo, exec_lo, s26
	s_cbranch_execz .LBB55_8
.LBB55_6:                               ; =>This Inner Loop Header: Depth=1
	s_delay_alu instid0(VALU_DEP_3) | instskip(SKIP_1) | instid1(VALU_DEP_1)
	v_ashrrev_i32_e32 v2, 31, v1
	s_mov_b32 s28, exec_lo
	v_lshlrev_b64_e32 v[8:9], 2, v[1:2]
	s_delay_alu instid0(VALU_DEP_1) | instskip(SKIP_1) | instid1(VALU_DEP_2)
	v_add_co_u32 v8, s3, v5, v8
	s_wait_alu 0xf1ff
	v_add_co_ci_u32_e64 v9, null, v6, v9, s3
	global_load_b32 v2, v[8:9], off
	s_wait_loadcnt 0x0
	v_cmp_ne_u32_e64 s3, s36, v2
	v_cmpx_eq_u32_e64 s36, v2
	s_cbranch_execz .LBB55_5
; %bb.7:                                ;   in Loop: Header=BB55_6 Depth=1
	v_mov_b32_e32 v3, 1
	ds_store_b32 v4, v7
	s_branch .LBB55_5
.LBB55_8:
	s_or_b32 exec_lo, exec_lo, s26
.LBB55_9:
	s_delay_alu instid0(SALU_CYCLE_1)
	s_or_b32 exec_lo, exec_lo, s22
.LBB55_10:
	s_delay_alu instid0(SALU_CYCLE_1)
	s_or_b32 exec_lo, exec_lo, s21
	s_lshr_b32 s26, ttmp7, 16
	s_mul_hi_u32 s5, s23, s20
	s_and_saveexec_b32 s3, vcc_lo
; %bb.11:
	v_lshl_add_u32 v1, v55, 2, 0x100
	v_mov_b32_e32 v2, -1
	ds_store_b32 v1, v2 offset:8
; %bb.12:
	s_wait_alu 0xfffe
	s_or_b32 exec_lo, exec_lo, s3
	s_load_b96 s[20:22], s[0:1], 0x54
	v_add_nc_u32_e32 v56, 2, v55
	s_abs_i32 s28, s26
	s_add_co_i32 s30, s23, s5
	s_add_nc_u64 s[34:35], s[0:1], 0x60
	s_delay_alu instid0(VALU_DEP_1) | instskip(NEXT) | instid1(VALU_DEP_1)
	v_add_nc_u32_e32 v1, s24, v56
	v_cmp_gt_i32_e64 s3, s9, v1
	s_and_saveexec_b32 s5, s3
	s_cbranch_execz .LBB55_20
; %bb.13:
	s_and_saveexec_b32 s23, s4
	s_cbranch_execz .LBB55_19
; %bb.14:
	v_mul_lo_u32 v1, v56, s15
	v_lshl_add_u32 v4, v55, 2, 0x100
	v_mov_b32_e32 v7, v48
	s_delay_alu instid0(VALU_DEP_3) | instskip(NEXT) | instid1(VALU_DEP_1)
	v_ashrrev_i32_e32 v2, 31, v1
	v_lshlrev_b64_e32 v[5:6], 2, v[1:2]
	v_mul_lo_u32 v1, v48, s14
	s_delay_alu instid0(VALU_DEP_2) | instskip(NEXT) | instid1(VALU_DEP_1)
	v_add_co_u32 v5, vcc_lo, s6, v5
	v_add_co_ci_u32_e64 v6, null, s7, v6, vcc_lo
	s_lshl_b32 s7, s14, 5
	s_mov_b32 s6, 0
	s_branch .LBB55_16
.LBB55_15:                              ;   in Loop: Header=BB55_16 Depth=1
	s_wait_alu 0xfffe
	s_or_b32 exec_lo, exec_lo, s14
	v_add_nc_u32_e32 v7, 32, v7
	s_xor_b32 s14, vcc_lo, -1
	v_add_nc_u32_e32 v1, s7, v1
	s_delay_alu instid0(VALU_DEP_2) | instskip(SKIP_2) | instid1(SALU_CYCLE_1)
	v_cmp_le_i32_e64 s4, s10, v7
	s_wait_alu 0xfffe
	s_or_b32 s4, s14, s4
	s_and_b32 s4, exec_lo, s4
	s_delay_alu instid0(SALU_CYCLE_1)
	s_or_b32 s6, s4, s6
	s_wait_alu 0xfffe
	s_and_not1_b32 exec_lo, exec_lo, s6
	s_cbranch_execz .LBB55_18
.LBB55_16:                              ; =>This Inner Loop Header: Depth=1
	v_ashrrev_i32_e32 v2, 31, v1
	s_mov_b32 s14, exec_lo
	s_delay_alu instid0(VALU_DEP_1) | instskip(NEXT) | instid1(VALU_DEP_1)
	v_lshlrev_b64_e32 v[8:9], 2, v[1:2]
	v_add_co_u32 v8, vcc_lo, v5, v8
	s_wait_alu 0xfffd
	s_delay_alu instid0(VALU_DEP_2)
	v_add_co_ci_u32_e64 v9, null, v6, v9, vcc_lo
	global_load_b32 v2, v[8:9], off
	s_wait_loadcnt 0x0
	v_cmp_ne_u32_e32 vcc_lo, s36, v2
	v_cmpx_eq_u32_e64 s36, v2
	s_cbranch_execz .LBB55_15
; %bb.17:                               ;   in Loop: Header=BB55_16 Depth=1
	v_mov_b32_e32 v3, 1
	ds_store_b32 v4, v7 offset:8
	s_branch .LBB55_15
.LBB55_18:
	s_or_b32 exec_lo, exec_lo, s6
.LBB55_19:
	s_delay_alu instid0(SALU_CYCLE_1)
	s_or_b32 exec_lo, exec_lo, s23
.LBB55_20:
	s_delay_alu instid0(SALU_CYCLE_1) | instskip(SKIP_3) | instid1(VALU_DEP_1)
	s_or_b32 exec_lo, exec_lo, s5
	v_or_b32_dpp v1, v3, v3 row_shl:1 row_mask:0xf bank_mask:0xf bound_ctrl:1
	s_load_b64 s[6:7], s[34:35], 0xc
	s_mov_b32 s31, s29
	v_or_b32_dpp v1, v1, v1 row_shl:2 row_mask:0xf bank_mask:0xf bound_ctrl:1
	s_delay_alu instid0(VALU_DEP_1) | instskip(NEXT) | instid1(VALU_DEP_1)
	v_or_b32_dpp v1, v1, v1 row_shl:4 row_mask:0xf bank_mask:0xf bound_ctrl:1
	v_or_b32_dpp v1, v1, v1 row_shl:8 row_mask:0xf bank_mask:0xf bound_ctrl:1
	s_delay_alu instid0(VALU_DEP_1)
	v_mov_b32_dpp v1, v1 row_share:0 row_mask:0xf bank_mask:0xf bound_ctrl:1
	s_wait_kmcnt 0x0
	s_lshr_b32 s5, s6, 16
	s_and_b32 s4, s6, 0xffff
	s_and_b32 s7, s7, 0xffff
	s_mul_i32 s6, s5, s4
	v_permlanex16_b32 v2, v1, 0, 0 op_sel:[0,1]
	s_wait_alu 0xfffe
	s_bfe_i32 s6, s6, 0x180000
	s_wait_alu 0xfffe
	s_mul_i32 s6, s6, s7
	s_wait_alu 0xfffe
	s_add_co_i32 s6, s6, 31
	v_or_b32_e32 v2, v2, v1
	s_wait_alu 0xfffe
	s_and_not1_b32 s6, s6, 31
	s_wait_alu 0xfffe
	s_cmp_lg_u32 s6, 32
	s_cbranch_scc0 .LBB55_29
; %bb.21:
	v_bfe_u32 v0, v0, 20, 10
	s_delay_alu instid0(VALU_DEP_1) | instskip(NEXT) | instid1(VALU_DEP_1)
	v_mad_u32_u24 v0, v0, s5, v55
	v_mad_co_u64_u32 v[0:1], null, v0, s4, v[48:49]
	v_mbcnt_lo_u32_b32 v1, -1, 0
	s_mov_b32 s4, exec_lo
	s_delay_alu instid0(VALU_DEP_2) | instskip(NEXT) | instid1(VALU_DEP_1)
	v_lshrrev_b32_e32 v3, 5, v0
	v_or_b32_e32 v3, v1, v3
	s_delay_alu instid0(VALU_DEP_1)
	v_cmpx_eq_u32_e32 0, v3
; %bb.22:
	v_mov_b32_e32 v3, 0
	ds_store_b32 v3, v2
; %bb.23:
	s_wait_alu 0xfffe
	s_or_b32 exec_lo, exec_lo, s4
	v_cmp_eq_u32_e32 vcc_lo, 0, v1
	v_cmp_lt_u32_e64 s4, 31, v0
	s_mov_b32 s5, 0
	s_wait_dscnt 0x0
	s_barrier_signal -1
	s_barrier_wait -1
	s_and_b32 s6, s4, vcc_lo
	global_inv scope:SCOPE_SE
	s_wait_alu 0xfffe
	s_and_saveexec_b32 s4, s6
	s_cbranch_execz .LBB55_28
; %bb.24:
	s_mov_b32 s6, exec_lo
.LBB55_25:                              ; =>This Inner Loop Header: Depth=1
	s_wait_alu 0xfffe
	s_ctz_i32_b32 s7, s6
	s_wait_alu 0xfffe
	v_readlane_b32 s10, v2, s7
	s_lshl_b32 s7, 1, s7
	s_wait_alu 0xfffe
	s_and_not1_b32 s6, s6, s7
	s_or_b32 s5, s5, s10
	s_wait_alu 0xfffe
	s_cmp_lg_u32 s6, 0
	s_cbranch_scc1 .LBB55_25
; %bb.26:
	v_mbcnt_lo_u32_b32 v0, exec_lo, 0
	s_mov_b32 s6, exec_lo
	s_delay_alu instid0(VALU_DEP_1)
	v_cmpx_eq_u32_e32 0, v0
	s_wait_alu 0xfffe
	s_xor_b32 s6, exec_lo, s6
; %bb.27:
	v_dual_mov_b32 v0, 0 :: v_dual_mov_b32 v1, s5
	ds_or_b32 v0, v1
.LBB55_28:
	s_wait_alu 0xfffe
	s_or_b32 exec_lo, exec_lo, s4
	v_mov_b32_e32 v0, 0
	s_wait_loadcnt_dscnt 0x0
	s_barrier_signal -1
	s_barrier_wait -1
	global_inv scope:SCOPE_SE
	ds_load_b32 v2, v0
	s_wait_loadcnt_dscnt 0x0
	s_barrier_signal -1
	s_barrier_wait -1
	global_inv scope:SCOPE_SE
.LBB55_29:
	s_clause 0x1
	s_load_b128 s[4:7], s[0:1], 0x0
	s_load_b64 s[14:15], s[0:1], 0x18
	s_mul_u64 s[0:1], s[28:29], s[30:31]
	s_ashr_i32 s0, s19, 31
	s_mov_b32 s27, 0
	s_mov_b32 s10, exec_lo
	v_cmpx_ne_u32_e32 0, v2
	s_cbranch_execz .LBB55_60
; %bb.30:
	v_lshlrev_b32_e32 v57, 5, v55
	v_and_b32_e32 v58, 15, v48
	s_mov_b32 s10, exec_lo
	s_delay_alu instid0(VALU_DEP_2) | instskip(NEXT) | instid1(VALU_DEP_1)
	v_add_nc_u32_e32 v60, v57, v48
	v_cmpx_le_i32_e64 s8, v60
	s_wait_alu 0xfffe
	s_xor_b32 s10, exec_lo, s10
; %bb.31:
	v_and_b32_e32 v58, 15, v48
                                        ; implicit-def: $vgpr60
; %bb.32:
	s_wait_alu 0xfffe
	s_or_saveexec_b32 s23, s10
	v_mov_b32_e32 v15, 0
	v_lshlrev_b32_e32 v59, 1, v48
	s_lshl_b32 s19, ttmp9, 5
	s_delay_alu instid0(VALU_DEP_2)
	v_dual_mov_b32 v14, v15 :: v_dual_mov_b32 v13, v15
	v_dual_mov_b32 v12, v15 :: v_dual_mov_b32 v11, v15
	;; [unrolled: 1-line block ×7, first 2 shown]
	v_mov_b32_e32 v0, v15
	s_xor_b32 exec_lo, exec_lo, s23
	s_cbranch_execz .LBB55_52
; %bb.33:
	s_mul_i32 s10, s1, s33
	s_add_co_i32 s29, s1, 1
	s_wait_alu 0xfffe
	s_sub_co_i32 s10, s28, s10
	s_mul_i32 s30, s36, s16
	s_wait_alu 0xfffe
	s_sub_co_i32 s31, s10, s33
	s_cmp_ge_u32 s10, s33
	s_mov_b32 s28, s20
	s_cselect_b32 s1, s29, s1
	s_cselect_b32 s10, s31, s10
	s_add_co_i32 s16, s1, 1
	s_wait_alu 0xfffe
	s_cmp_ge_u32 s10, s33
	s_mul_i32 s34, s11, s19
	s_cselect_b32 s1, s16, s1
	s_ashr_i32 s29, s20, 31
	s_xor_b32 s1, s1, s0
	s_ashr_i32 s31, s30, 31
	s_sub_co_i32 s0, s1, s0
	s_mov_b32 s36, s21
	s_ashr_i32 s1, s0, 31
	s_mov_b32 s38, s12
	s_mul_u64 s[0:1], s[0:1], s[28:29]
	s_ashr_i32 s35, s34, 31
	s_lshl_b64 s[64:65], s[0:1], 2
	s_ashr_i32 s37, s21, 31
	s_ashr_i32 s39, s12, 31
	s_lshl_b64 s[62:63], s[30:31], 2
	s_wait_kmcnt 0x0
	s_add_nc_u64 s[0:1], s[4:5], s[64:65]
	s_lshl_b64 s[66:67], s[34:35], 2
	s_mul_u64 s[28:29], s[38:39], s[24:25]
	s_add_nc_u64 s[0:1], s[0:1], s[62:63]
	s_wait_alu 0xfffe
	s_mul_u64 s[30:31], s[36:37], s[26:27]
	s_add_nc_u64 s[20:21], s[0:1], s[66:67]
	s_lshl_b64 s[28:29], s[28:29], 3
	s_lshl_b64 s[0:1], s[30:31], 2
	s_movk_i32 s10, 0x900
	s_cmp_lt_i32 s24, s9
	s_wait_alu 0xfffe
	v_mad_u32_u24 v0, v55, s10, 0x100
	s_add_nc_u64 s[6:7], s[6:7], s[0:1]
	s_cselect_b32 s1, -1, 0
	s_or_b32 s0, s24, 1
	v_mul_u32_u24_e32 v1, 0x90, v58
	v_dual_mov_b32 v63, 0 :: v_dual_and_b32 v2, 0x3f0, v48
	s_cmp_lt_i32 s0, s9
	s_add_nc_u64 s[64:65], s[64:65], s[66:67]
	s_cselect_b32 s16, -1, 0
	s_or_b32 s0, s24, 2
	v_lshl_add_u32 v61, v48, 2, v0
	v_add3_u32 v62, v0, v1, v2
	v_dual_mov_b32 v1, v63 :: v_dual_lshlrev_b32 v0, 2, v60
	s_cmp_lt_i32 s0, s9
	s_add_nc_u64 s[62:63], s[64:65], s[62:63]
	s_wait_alu 0xfffe
	s_add_nc_u64 s[6:7], s[6:7], s[28:29]
	s_cselect_b32 s28, -1, 0
	s_or_b32 s0, s24, 3
	s_add_nc_u64 s[4:5], s[4:5], s[62:63]
	s_lshl_b32 s29, s12, 2
	s_cmp_lt_i32 s0, s9
	s_wait_alu 0xfffe
	v_add_co_u32 v50, s0, s4, v0
	v_lshl_add_u32 v49, v55, 6, v59
	v_add_co_ci_u32_e64 v51, null, s5, 0, s0
	v_dual_mov_b32 v64, 0x100 :: v_dual_mov_b32 v3, v63
	v_dual_mov_b32 v0, 0 :: v_dual_mov_b32 v5, v63
	;; [unrolled: 1-line block ×7, first 2 shown]
	v_mov_b32_e32 v12, v63
	v_mov_b32_e32 v14, v63
	s_cselect_b32 s9, -1, 0
	s_ashr_i32 s69, s11, 31
	s_mov_b32 s68, s11
	s_add_co_i32 s30, s11, s11
	s_mul_i32 s31, s11, 3
	s_lshl_b32 s33, s11, 2
	s_mul_i32 s34, s11, 5
	s_mul_i32 s35, s11, 6
	;; [unrolled: 1-line block ×3, first 2 shown]
	s_lshl_b32 s37, s11, 3
	s_mul_i32 s38, s11, 9
	s_mul_i32 s39, s11, 10
	;; [unrolled: 1-line block ×7, first 2 shown]
	s_lshl_b32 s45, s11, 4
	s_mul_i32 s46, s11, 17
	s_mul_i32 s47, s11, 18
	;; [unrolled: 1-line block ×15, first 2 shown]
	s_lshl_b64 s[10:11], s[68:69], 2
	s_mul_i32 s4, s12, 6
	s_lshl_b32 s12, s12, 1
	s_mov_b32 s5, 0
	s_branch .LBB55_36
.LBB55_34:                              ;   in Loop: Header=BB55_36 Depth=1
	v_mul_lo_u32 v52, v52, s17
	s_delay_alu instid0(VALU_DEP_1) | instskip(NEXT) | instid1(VALU_DEP_1)
	v_add3_u32 v52, v52, s4, v49
	v_ashrrev_i32_e32 v53, 31, v52
	s_delay_alu instid0(VALU_DEP_1) | instskip(NEXT) | instid1(VALU_DEP_1)
	v_lshlrev_b64_e32 v[52:53], 2, v[52:53]
	v_add_co_u32 v52, vcc_lo, s6, v52
	s_wait_alu 0xfffd
	s_delay_alu instid0(VALU_DEP_2)
	v_add_co_ci_u32_e64 v53, null, s7, v53, vcc_lo
	global_load_b64 v[52:53], v[52:53], off
.LBB55_35:                              ;   in Loop: Header=BB55_36 Depth=1
	s_wait_loadcnt 0x0
	s_delay_alu instid0(VALU_DEP_1) | instskip(NEXT) | instid1(VALU_DEP_2)
	v_bfe_u32 v54, v52, 16, 1
	v_bfe_u32 v65, v53, 16, 1
	v_or_b32_e32 v66, 0x400000, v52
	v_cmp_u_f32_e32 vcc_lo, v52, v52
	v_or_b32_e32 v67, 0x400000, v53
	v_add3_u32 v54, v54, v52, 0x7fff
	v_add3_u32 v65, v65, v53, 0x7fff
	ds_store_2addr_b32 v61, v63, v63 offset0:196 offset1:232
	ds_store_b32 v61, v63 offset:2224
	v_add_nc_u32_e32 v60, 64, v60
	s_wait_alu 0xfffd
	v_cndmask_b32_e32 v52, v54, v66, vcc_lo
	v_cmp_u_f32_e32 vcc_lo, v53, v53
	v_add_nc_u32_e32 v54, 0x400, v61
	v_add_co_u32 v50, s0, 0x100, v50
	v_add_nc_u32_e32 v49, 0x80, v49
	s_wait_alu 0xfffd
	v_cndmask_b32_e32 v53, v65, v67, vcc_lo
	v_add_nc_u32_e32 v65, 0x600, v61
	v_cmp_le_i32_e32 vcc_lo, s8, v60
	s_wait_alu 0xf1ff
	v_add_co_ci_u32_e64 v51, null, 0, v51, s0
	v_perm_b32 v52, v53, v52, 0x7060302
	ds_store_2addr_b32 v54, v63, v63 offset0:12 offset1:48
	ds_store_2addr_b32 v54, v63, v63 offset0:84 offset1:120
	;; [unrolled: 1-line block ×5, first 2 shown]
	ds_load_b128 v[65:68], v62 offset:64
	ds_load_b128 v[69:72], v62 offset:96
	;; [unrolled: 1-line block ×4, first 2 shown]
	s_or_b32 s5, vcc_lo, s5
	s_wait_dscnt 0x3
	v_wmma_f32_16x16x16_bf16 v[8:15], v[32:35], v[65:68], v[8:15]
	v_wmma_f32_16x16x16_bf16 v[0:7], v[44:47], v[65:68], v[0:7]
	s_wait_dscnt 0x2
	s_delay_alu instid0(VALU_DEP_2) | instskip(NEXT) | instid1(VALU_DEP_2)
	v_wmma_f32_16x16x16_bf16 v[8:15], v[28:31], v[69:72], v[8:15]
	v_wmma_f32_16x16x16_bf16 v[0:7], v[40:43], v[69:72], v[0:7]
	s_wait_dscnt 0x1
	s_delay_alu instid0(VALU_DEP_2) | instskip(NEXT) | instid1(VALU_DEP_2)
	;; [unrolled: 4-line block ×3, first 2 shown]
	v_wmma_f32_16x16x16_bf16 v[8:15], v[16:19], v[77:80], v[8:15]
	v_wmma_f32_16x16x16_bf16 v[0:7], v[20:23], v[77:80], v[0:7]
	s_wait_alu 0xfffe
	s_and_not1_b32 exec_lo, exec_lo, s5
	s_cbranch_execz .LBB55_51
.LBB55_36:                              ; =>This Inner Loop Header: Depth=1
	v_add_nc_u32_e32 v22, s33, v60
	v_add_nc_u32_e32 v16, s30, v60
	s_wait_alu 0xfffe
	v_add_co_u32 v20, vcc_lo, v50, s10
	v_add_nc_u32_e32 v18, s31, v60
	s_wait_alu 0xfffd
	v_add_co_ci_u32_e64 v21, null, s11, v51, vcc_lo
	v_ashrrev_i32_e32 v23, 31, v22
	v_ashrrev_i32_e32 v17, 31, v16
	v_add_nc_u32_e32 v24, s34, v60
	v_ashrrev_i32_e32 v19, 31, v18
	s_clause 0x1
	global_load_b32 v38, v[50:51], off
	global_load_b32 v39, v[20:21], off
	v_lshlrev_b64_e32 v[20:21], 2, v[22:23]
	v_add_nc_u32_e32 v22, s35, v60
	v_lshlrev_b64_e32 v[16:17], 2, v[16:17]
	v_add_nc_u32_e32 v26, s36, v60
	v_ashrrev_i32_e32 v25, 31, v24
	v_lshlrev_b64_e32 v[18:19], 2, v[18:19]
	v_add_nc_u32_e32 v28, s37, v60
	v_ashrrev_i32_e32 v23, 31, v22
	v_add_nc_u32_e32 v30, s38, v60
	v_ashrrev_i32_e32 v27, 31, v26
	v_add_co_u32 v16, vcc_lo, s20, v16
	v_lshlrev_b64_e32 v[24:25], 2, v[24:25]
	v_ashrrev_i32_e32 v29, 31, v28
	s_wait_alu 0xfffd
	v_add_co_ci_u32_e64 v17, null, s21, v17, vcc_lo
	v_add_co_u32 v18, vcc_lo, s20, v18
	v_lshlrev_b64_e32 v[22:23], 2, v[22:23]
	v_ashrrev_i32_e32 v31, 31, v30
	s_wait_alu 0xfffd
	v_add_co_ci_u32_e64 v19, null, s21, v19, vcc_lo
	v_add_co_u32 v20, vcc_lo, s20, v20
	v_lshlrev_b64_e32 v[26:27], 2, v[26:27]
	s_wait_alu 0xfffd
	v_add_co_ci_u32_e64 v21, null, s21, v21, vcc_lo
	v_add_co_u32 v24, vcc_lo, s20, v24
	v_lshlrev_b64_e32 v[28:29], 2, v[28:29]
	;; [unrolled: 4-line block ×3, first 2 shown]
	s_wait_alu 0xfffd
	v_add_co_ci_u32_e64 v23, null, s21, v23, vcc_lo
	v_add_co_u32 v26, vcc_lo, s20, v26
	v_add_nc_u32_e32 v32, s39, v60
	s_wait_alu 0xfffd
	v_add_co_ci_u32_e64 v27, null, s21, v27, vcc_lo
	v_add_co_u32 v28, vcc_lo, s20, v28
	v_add_nc_u32_e32 v34, s40, v60
	;; [unrolled: 4-line block ×3, first 2 shown]
	v_ashrrev_i32_e32 v33, 31, v32
	s_wait_alu 0xfffd
	v_add_co_ci_u32_e64 v31, null, s21, v31, vcc_lo
	s_clause 0x7
	global_load_b32 v40, v[16:17], off
	global_load_b32 v41, v[18:19], off
	;; [unrolled: 1-line block ×8, first 2 shown]
	v_add_nc_u32_e32 v18, s42, v60
	v_ashrrev_i32_e32 v35, 31, v34
	v_add_nc_u32_e32 v24, s43, v60
	v_ashrrev_i32_e32 v37, 31, v36
	v_lshlrev_b64_e32 v[32:33], 2, v[32:33]
	v_add_nc_u32_e32 v26, s44, v60
	v_ashrrev_i32_e32 v19, 31, v18
	v_lshlrev_b64_e32 v[16:17], 2, v[34:35]
	;; [unrolled: 3-line block ×3, first 2 shown]
	v_add_nc_u32_e32 v30, s46, v60
	v_ashrrev_i32_e32 v27, 31, v26
	v_add_co_u32 v20, vcc_lo, s20, v32
	v_lshlrev_b64_e32 v[18:19], 2, v[18:19]
	v_ashrrev_i32_e32 v29, 31, v28
	s_wait_alu 0xfffd
	v_add_co_ci_u32_e64 v21, null, s21, v33, vcc_lo
	v_add_co_u32 v16, vcc_lo, s20, v16
	v_lshlrev_b64_e32 v[24:25], 2, v[24:25]
	v_ashrrev_i32_e32 v31, 31, v30
	s_wait_alu 0xfffd
	v_add_co_ci_u32_e64 v17, null, s21, v17, vcc_lo
	v_add_co_u32 v22, vcc_lo, s20, v22
	v_lshlrev_b64_e32 v[26:27], 2, v[26:27]
	s_wait_alu 0xfffd
	v_add_co_ci_u32_e64 v23, null, s21, v23, vcc_lo
	v_add_co_u32 v18, vcc_lo, s20, v18
	v_lshlrev_b64_e32 v[28:29], 2, v[28:29]
	;; [unrolled: 4-line block ×3, first 2 shown]
	s_wait_alu 0xfffd
	v_add_co_ci_u32_e64 v25, null, s21, v25, vcc_lo
	v_add_co_u32 v26, vcc_lo, s20, v26
	v_add_nc_u32_e32 v32, s47, v60
	s_wait_alu 0xfffd
	v_add_co_ci_u32_e64 v27, null, s21, v27, vcc_lo
	v_add_co_u32 v28, vcc_lo, s20, v28
	v_add_nc_u32_e32 v34, s48, v60
	;; [unrolled: 4-line block ×3, first 2 shown]
	v_ashrrev_i32_e32 v33, 31, v32
	s_wait_alu 0xfffd
	v_add_co_ci_u32_e64 v31, null, s21, v31, vcc_lo
	s_clause 0x7
	global_load_b32 v52, v[20:21], off
	global_load_b32 v53, v[16:17], off
	;; [unrolled: 1-line block ×8, first 2 shown]
	v_add_nc_u32_e32 v18, s50, v60
	v_ashrrev_i32_e32 v35, 31, v34
	v_add_nc_u32_e32 v24, s51, v60
	v_ashrrev_i32_e32 v37, 31, v36
	v_lshlrev_b64_e32 v[32:33], 2, v[32:33]
	v_add_nc_u32_e32 v26, s52, v60
	v_ashrrev_i32_e32 v19, 31, v18
	v_lshlrev_b64_e32 v[16:17], 2, v[34:35]
	;; [unrolled: 3-line block ×3, first 2 shown]
	v_add_nc_u32_e32 v30, s54, v60
	v_ashrrev_i32_e32 v27, 31, v26
	v_add_co_u32 v20, vcc_lo, s20, v32
	v_lshlrev_b64_e32 v[18:19], 2, v[18:19]
	v_ashrrev_i32_e32 v29, 31, v28
	s_wait_alu 0xfffd
	v_add_co_ci_u32_e64 v21, null, s21, v33, vcc_lo
	v_add_co_u32 v16, vcc_lo, s20, v16
	v_lshlrev_b64_e32 v[24:25], 2, v[24:25]
	v_ashrrev_i32_e32 v31, 31, v30
	s_wait_alu 0xfffd
	v_add_co_ci_u32_e64 v17, null, s21, v17, vcc_lo
	v_add_co_u32 v22, vcc_lo, s20, v22
	v_lshlrev_b64_e32 v[26:27], 2, v[26:27]
	s_wait_alu 0xfffd
	v_add_co_ci_u32_e64 v23, null, s21, v23, vcc_lo
	v_add_co_u32 v18, vcc_lo, s20, v18
	v_lshlrev_b64_e32 v[28:29], 2, v[28:29]
	;; [unrolled: 4-line block ×3, first 2 shown]
	s_wait_alu 0xfffd
	v_add_co_ci_u32_e64 v25, null, s21, v25, vcc_lo
	v_add_co_u32 v26, vcc_lo, s20, v26
	v_add_nc_u32_e32 v32, s55, v60
	s_wait_alu 0xfffd
	v_add_co_ci_u32_e64 v27, null, s21, v27, vcc_lo
	v_add_co_u32 v28, vcc_lo, s20, v28
	v_add_nc_u32_e32 v34, s56, v60
	;; [unrolled: 4-line block ×3, first 2 shown]
	v_ashrrev_i32_e32 v33, 31, v32
	s_wait_alu 0xfffd
	v_add_co_ci_u32_e64 v31, null, s21, v31, vcc_lo
	s_clause 0x7
	global_load_b32 v70, v[20:21], off
	global_load_b32 v71, v[16:17], off
	;; [unrolled: 1-line block ×8, first 2 shown]
	v_add_nc_u32_e32 v18, s58, v60
	v_ashrrev_i32_e32 v35, 31, v34
	v_add_nc_u32_e32 v24, s59, v60
	v_ashrrev_i32_e32 v37, 31, v36
	v_lshlrev_b64_e32 v[32:33], 2, v[32:33]
	v_add_nc_u32_e32 v26, s60, v60
	v_ashrrev_i32_e32 v19, 31, v18
	v_lshlrev_b64_e32 v[16:17], 2, v[34:35]
	v_ashrrev_i32_e32 v25, 31, v24
	v_lshlrev_b64_e32 v[22:23], 2, v[36:37]
	v_ashrrev_i32_e32 v27, 31, v26
	v_add_co_u32 v20, vcc_lo, s20, v32
	v_lshlrev_b64_e32 v[18:19], 2, v[18:19]
	s_wait_alu 0xfffd
	v_add_co_ci_u32_e64 v21, null, s21, v33, vcc_lo
	v_add_co_u32 v16, vcc_lo, s20, v16
	v_lshlrev_b64_e32 v[24:25], 2, v[24:25]
	s_wait_alu 0xfffd
	v_add_co_ci_u32_e64 v17, null, s21, v17, vcc_lo
	;; [unrolled: 4-line block ×3, first 2 shown]
	v_add_co_u32 v18, vcc_lo, s20, v18
	s_wait_alu 0xfffd
	v_add_co_ci_u32_e64 v19, null, s21, v19, vcc_lo
	v_add_co_u32 v24, vcc_lo, s20, v24
	s_wait_alu 0xfffd
	v_add_co_ci_u32_e64 v25, null, s21, v25, vcc_lo
	;; [unrolled: 3-line block ×3, first 2 shown]
	s_clause 0x5
	global_load_b32 v20, v[20:21], off
	global_load_b32 v21, v[16:17], off
	;; [unrolled: 1-line block ×6, first 2 shown]
	s_and_not1_b32 vcc_lo, exec_lo, s1
	s_wait_loadcnt 0x1f
	ds_store_b32 v61, v38 offset:64
	s_wait_loadcnt 0x1e
	ds_store_b32 v61, v39 offset:208
	;; [unrolled: 2-line block ×16, first 2 shown]
	ds_load_b128 v[32:35], v62 offset:64
	ds_load_b128 v[28:31], v62 offset:96
	;; [unrolled: 1-line block ×4, first 2 shown]
	s_wait_loadcnt 0xf
	ds_store_b32 v61, v68 offset:64
	s_wait_loadcnt 0xe
	ds_store_b32 v61, v69 offset:208
	;; [unrolled: 2-line block ×16, first 2 shown]
	ds_load_b128 v[44:47], v62 offset:64
	ds_load_b128 v[40:43], v62 offset:96
	ds_load_b128 v[36:39], v62 offset:128
	ds_load_b128 v[20:23], v62 offset:160
	v_dual_mov_b32 v52, 0 :: v_dual_mov_b32 v53, 0
	s_wait_alu 0xfffe
	s_cbranch_vccnz .LBB55_40
; %bb.37:                               ;   in Loop: Header=BB55_36 Depth=1
	ds_load_b32 v52, v64
	s_wait_dscnt 0x0
	v_cmp_gt_i32_e32 vcc_lo, 0, v52
	s_cbranch_vccnz .LBB55_39
; %bb.38:                               ;   in Loop: Header=BB55_36 Depth=1
	v_mad_co_u64_u32 v[52:53], null, v52, s17, v[49:50]
	s_delay_alu instid0(VALU_DEP_1) | instskip(NEXT) | instid1(VALU_DEP_1)
	v_ashrrev_i32_e32 v53, 31, v52
	v_lshlrev_b64_e32 v[52:53], 2, v[52:53]
	s_delay_alu instid0(VALU_DEP_1) | instskip(SKIP_1) | instid1(VALU_DEP_2)
	v_add_co_u32 v52, vcc_lo, s6, v52
	s_wait_alu 0xfffd
	v_add_co_ci_u32_e64 v53, null, s7, v53, vcc_lo
	global_load_b64 v[52:53], v[52:53], off
	s_branch .LBB55_40
.LBB55_39:                              ;   in Loop: Header=BB55_36 Depth=1
	v_dual_mov_b32 v52, 0 :: v_dual_mov_b32 v53, 0
.LBB55_40:                              ;   in Loop: Header=BB55_36 Depth=1
	s_wait_loadcnt 0x0
	s_delay_alu instid0(VALU_DEP_1) | instskip(NEXT) | instid1(VALU_DEP_2)
	v_bfe_u32 v54, v52, 16, 1
	v_bfe_u32 v65, v53, 16, 1
	v_or_b32_e32 v66, 0x400000, v52
	v_cmp_u_f32_e32 vcc_lo, v52, v52
	v_or_b32_e32 v67, 0x400000, v53
	v_add3_u32 v54, v54, v52, 0x7fff
	v_add3_u32 v65, v65, v53, 0x7fff
	v_mov_b32_e32 v52, 0
	s_wait_alu 0xfffd
	s_delay_alu instid0(VALU_DEP_3) | instskip(SKIP_4) | instid1(VALU_DEP_1)
	v_cndmask_b32_e32 v54, v54, v66, vcc_lo
	v_cmp_u_f32_e32 vcc_lo, v53, v53
	s_wait_alu 0xfffd
	v_cndmask_b32_e32 v53, v65, v67, vcc_lo
	s_and_not1_b32 vcc_lo, exec_lo, s16
	v_perm_b32 v65, v53, v54, 0x7060302
	v_dual_mov_b32 v53, 0 :: v_dual_mov_b32 v54, 0
	ds_store_b32 v61, v65 offset:64
	s_wait_alu 0xfffe
	s_cbranch_vccnz .LBB55_44
; %bb.41:                               ;   in Loop: Header=BB55_36 Depth=1
	ds_load_b32 v53, v64 offset:4
	s_wait_dscnt 0x0
	v_cmp_gt_i32_e32 vcc_lo, 0, v53
	s_cbranch_vccnz .LBB55_43
; %bb.42:                               ;   in Loop: Header=BB55_36 Depth=1
	v_mul_lo_u32 v53, v53, s17
	s_delay_alu instid0(VALU_DEP_1) | instskip(NEXT) | instid1(VALU_DEP_1)
	v_add3_u32 v53, v53, s12, v49
	v_ashrrev_i32_e32 v54, 31, v53
	s_delay_alu instid0(VALU_DEP_1) | instskip(NEXT) | instid1(VALU_DEP_1)
	v_lshlrev_b64_e32 v[53:54], 2, v[53:54]
	v_add_co_u32 v53, vcc_lo, s6, v53
	s_wait_alu 0xfffd
	s_delay_alu instid0(VALU_DEP_2)
	v_add_co_ci_u32_e64 v54, null, s7, v54, vcc_lo
	global_load_b64 v[53:54], v[53:54], off
	s_branch .LBB55_44
.LBB55_43:                              ;   in Loop: Header=BB55_36 Depth=1
	v_dual_mov_b32 v53, 0 :: v_dual_mov_b32 v54, 0
.LBB55_44:                              ;   in Loop: Header=BB55_36 Depth=1
	s_wait_loadcnt 0x0
	s_delay_alu instid0(VALU_DEP_1) | instskip(NEXT) | instid1(VALU_DEP_2)
	v_bfe_u32 v65, v53, 16, 1
	v_bfe_u32 v66, v54, 16, 1
	v_or_b32_e32 v67, 0x400000, v53
	v_cmp_u_f32_e32 vcc_lo, v53, v53
	v_or_b32_e32 v68, 0x400000, v54
	v_add3_u32 v65, v65, v53, 0x7fff
	v_add3_u32 v66, v66, v54, 0x7fff
	s_wait_alu 0xfffd
	s_delay_alu instid0(VALU_DEP_2) | instskip(SKIP_4) | instid1(VALU_DEP_1)
	v_cndmask_b32_e32 v53, v65, v67, vcc_lo
	v_cmp_u_f32_e32 vcc_lo, v54, v54
	s_wait_alu 0xfffd
	v_cndmask_b32_e32 v54, v66, v68, vcc_lo
	s_and_not1_b32 vcc_lo, exec_lo, s28
	v_perm_b32 v54, v54, v53, 0x7060302
	v_mov_b32_e32 v53, 0
	ds_store_b32 v61, v54 offset:208
	s_wait_alu 0xfffe
	s_cbranch_vccnz .LBB55_48
; %bb.45:                               ;   in Loop: Header=BB55_36 Depth=1
	ds_load_b32 v52, v64 offset:8
	s_wait_dscnt 0x0
	v_cmp_gt_i32_e32 vcc_lo, 0, v52
	s_cbranch_vccnz .LBB55_47
; %bb.46:                               ;   in Loop: Header=BB55_36 Depth=1
	v_mul_lo_u32 v52, v52, s17
	s_delay_alu instid0(VALU_DEP_1) | instskip(NEXT) | instid1(VALU_DEP_1)
	v_add3_u32 v52, v52, s29, v49
	v_ashrrev_i32_e32 v53, 31, v52
	s_delay_alu instid0(VALU_DEP_1) | instskip(NEXT) | instid1(VALU_DEP_1)
	v_lshlrev_b64_e32 v[52:53], 2, v[52:53]
	v_add_co_u32 v52, vcc_lo, s6, v52
	s_wait_alu 0xfffd
	s_delay_alu instid0(VALU_DEP_2)
	v_add_co_ci_u32_e64 v53, null, s7, v53, vcc_lo
	global_load_b64 v[52:53], v[52:53], off
	s_branch .LBB55_48
.LBB55_47:                              ;   in Loop: Header=BB55_36 Depth=1
	v_dual_mov_b32 v52, 0 :: v_dual_mov_b32 v53, 0
.LBB55_48:                              ;   in Loop: Header=BB55_36 Depth=1
	s_wait_loadcnt 0x0
	s_delay_alu instid0(VALU_DEP_1) | instskip(NEXT) | instid1(VALU_DEP_2)
	v_bfe_u32 v54, v52, 16, 1
	v_bfe_u32 v65, v53, 16, 1
	v_or_b32_e32 v66, 0x400000, v52
	v_cmp_u_f32_e32 vcc_lo, v52, v52
	v_or_b32_e32 v67, 0x400000, v53
	v_add3_u32 v54, v54, v52, 0x7fff
	v_add3_u32 v65, v65, v53, 0x7fff
	s_wait_alu 0xfffd
	s_delay_alu instid0(VALU_DEP_2) | instskip(SKIP_4) | instid1(VALU_DEP_1)
	v_cndmask_b32_e32 v52, v54, v66, vcc_lo
	v_cmp_u_f32_e32 vcc_lo, v53, v53
	s_wait_alu 0xfffd
	v_cndmask_b32_e32 v53, v65, v67, vcc_lo
	s_and_not1_b32 vcc_lo, exec_lo, s9
	v_perm_b32 v54, v53, v52, 0x7060302
	v_dual_mov_b32 v52, 0 :: v_dual_mov_b32 v53, 0
	ds_store_b32 v61, v54 offset:352
	s_wait_alu 0xfffe
	s_cbranch_vccnz .LBB55_35
; %bb.49:                               ;   in Loop: Header=BB55_36 Depth=1
	ds_load_b32 v52, v64 offset:12
	s_wait_dscnt 0x0
	v_cmp_gt_i32_e32 vcc_lo, 0, v52
	s_cbranch_vccz .LBB55_34
; %bb.50:                               ;   in Loop: Header=BB55_36 Depth=1
	v_dual_mov_b32 v52, 0 :: v_dual_mov_b32 v53, 0
	s_branch .LBB55_35
.LBB55_51:
	s_or_b32 exec_lo, exec_lo, s5
.LBB55_52:
	s_delay_alu instid0(SALU_CYCLE_1)
	s_or_b32 exec_lo, exec_lo, s23
	v_lshl_add_u32 v16, v57, 2, 0x100
	v_mul_u32_u24_e32 v17, 0x110, v58
	v_and_b32_e32 v18, 0x7e0, v59
	s_wait_loadcnt_dscnt 0x0
	s_barrier_signal -1
	s_barrier_wait -1
	global_inv scope:SCOPE_SE
	v_add3_u32 v17, v16, v17, v18
	s_mov_b32 s0, exec_lo
	ds_store_2addr_b32 v17, v8, v9 offset0:16 offset1:17
	ds_store_2addr_b32 v17, v10, v11 offset0:18 offset1:19
	;; [unrolled: 1-line block ×4, first 2 shown]
	v_lshl_add_u32 v8, v48, 2, 0x100
	ds_store_2addr_b32 v17, v0, v1 offset0:32 offset1:33
	ds_store_2addr_b32 v17, v2, v3 offset0:34 offset1:35
	;; [unrolled: 1-line block ×4, first 2 shown]
	s_wait_loadcnt_dscnt 0x0
	s_barrier_signal -1
	s_barrier_wait -1
	v_mad_u32_u24 v0, 0x110, v55, v8
	global_inv scope:SCOPE_SE
	v_mov_b32_e32 v3, -1
	ds_load_2addr_b32 v[0:1], v0 offset0:16 offset1:48
	v_cmpx_gt_u32_e32 4, v55
; %bb.53:
	v_mad_i32_i24 v2, 0xffffff84, v55, v16
	ds_load_b32 v3, v2
; %bb.54:
	s_wait_alu 0xfffe
	s_or_b32 exec_lo, exec_lo, s0
	s_ashr_i32 s1, s22, 31
	s_mov_b32 s0, s22
	s_wait_kmcnt 0x0
	s_ashr_i32 s5, s13, 31
	s_wait_alu 0xfffe
	s_mul_u64 s[0:1], s[0:1], s[26:27]
	s_mov_b32 s4, s13
	s_wait_dscnt 0x0
	v_cmp_lt_i32_e32 vcc_lo, -1, v3
	s_wait_alu 0xfffe
	s_mul_u64 s[4:5], s[24:25], s[4:5]
	s_lshl_b64 s[0:1], s[0:1], 2
	v_mul_u32_u24_e32 v4, 0x110, v55
	v_add_nc_u32_e32 v2, s19, v48
	s_wait_alu 0xfffe
	s_add_nc_u64 s[0:1], s[14:15], s[0:1]
	s_lshl_b64 s[4:5], s[4:5], 2
	s_wait_alu 0xfffe
	s_add_nc_u64 s[0:1], s[0:1], s[4:5]
	s_and_b32 s4, vcc_lo, s2
	s_wait_alu 0xfffe
	s_and_saveexec_b32 s2, s4
	s_cbranch_execz .LBB55_56
; %bb.55:
	v_mul_lo_u32 v3, v3, s18
	v_mul_lo_u32 v5, v55, s13
	v_add_f32_e32 v0, 0, v0
	v_mov_b32_e32 v6, 0
	s_delay_alu instid0(VALU_DEP_3) | instskip(NEXT) | instid1(VALU_DEP_3)
	v_add3_u32 v5, v2, v5, v3
	v_add_f32_e32 v3, v0, v1
	s_delay_alu instid0(VALU_DEP_2) | instskip(NEXT) | instid1(VALU_DEP_1)
	v_lshlrev_b64_e32 v[5:6], 2, v[5:6]
	v_add_co_u32 v0, vcc_lo, s0, v5
	s_wait_alu 0xfffd
	s_delay_alu instid0(VALU_DEP_2)
	v_add_co_ci_u32_e64 v1, null, s1, v6, vcc_lo
	global_store_b32 v[0:1], v3, off
.LBB55_56:
	s_wait_alu 0xfffe
	s_or_b32 exec_lo, exec_lo, s2
	v_dual_mov_b32 v3, -1 :: v_dual_add_nc_u32 v0, v4, v8
	s_mov_b32 s2, exec_lo
	ds_load_2addr_b32 v[0:1], v0 offset0:152 offset1:184
	v_cmpx_gt_u32_e32 2, v55
; %bb.57:
	v_lshl_add_u32 v3, v55, 2, 0x100
	ds_load_b32 v3, v3 offset:8
; %bb.58:
	s_wait_alu 0xfffe
	s_or_b32 exec_lo, exec_lo, s2
	s_wait_dscnt 0x0
	v_cmp_lt_i32_e32 vcc_lo, -1, v3
	s_and_b32 s2, vcc_lo, s3
	s_wait_alu 0xfffe
	s_and_b32 exec_lo, exec_lo, s2
	s_cbranch_execz .LBB55_60
; %bb.59:
	v_mul_lo_u32 v4, v3, s18
	v_mul_lo_u32 v5, v56, s13
	v_dual_mov_b32 v3, 0 :: v_dual_add_f32 v0, 0, v0
	s_delay_alu instid0(VALU_DEP_2) | instskip(NEXT) | instid1(VALU_DEP_2)
	v_add3_u32 v2, v2, v5, v4
	v_add_f32_e32 v4, v0, v1
	s_delay_alu instid0(VALU_DEP_2) | instskip(NEXT) | instid1(VALU_DEP_1)
	v_lshlrev_b64_e32 v[2:3], 2, v[2:3]
	v_add_co_u32 v0, vcc_lo, s0, v2
	s_wait_alu 0xfffd
	s_delay_alu instid0(VALU_DEP_2)
	v_add_co_ci_u32_e64 v1, null, s1, v3, vcc_lo
	global_store_b32 v[0:1], v4, off
.LBB55_60:
	s_endpgm
	.section	.rodata,"a",@progbits
	.p2align	6, 0x0
	.amdhsa_kernel _ZL9mul_mat_fI15__hip_bfloat162Li32ELi4ELi2ELb1EEvPKT_PKfPKiPfiiiiiiiiiiiiiiii
		.amdhsa_group_segment_fixed_size 256
		.amdhsa_private_segment_fixed_size 0
		.amdhsa_kernarg_size 352
		.amdhsa_user_sgpr_count 2
		.amdhsa_user_sgpr_dispatch_ptr 0
		.amdhsa_user_sgpr_queue_ptr 0
		.amdhsa_user_sgpr_kernarg_segment_ptr 1
		.amdhsa_user_sgpr_dispatch_id 0
		.amdhsa_user_sgpr_private_segment_size 0
		.amdhsa_wavefront_size32 1
		.amdhsa_uses_dynamic_stack 0
		.amdhsa_enable_private_segment 0
		.amdhsa_system_sgpr_workgroup_id_x 1
		.amdhsa_system_sgpr_workgroup_id_y 1
		.amdhsa_system_sgpr_workgroup_id_z 1
		.amdhsa_system_sgpr_workgroup_info 0
		.amdhsa_system_vgpr_workitem_id 2
		.amdhsa_next_free_vgpr 81
		.amdhsa_next_free_sgpr 70
		.amdhsa_reserve_vcc 1
		.amdhsa_float_round_mode_32 0
		.amdhsa_float_round_mode_16_64 0
		.amdhsa_float_denorm_mode_32 3
		.amdhsa_float_denorm_mode_16_64 3
		.amdhsa_fp16_overflow 0
		.amdhsa_workgroup_processor_mode 1
		.amdhsa_memory_ordered 1
		.amdhsa_forward_progress 1
		.amdhsa_inst_pref_size 46
		.amdhsa_round_robin_scheduling 0
		.amdhsa_exception_fp_ieee_invalid_op 0
		.amdhsa_exception_fp_denorm_src 0
		.amdhsa_exception_fp_ieee_div_zero 0
		.amdhsa_exception_fp_ieee_overflow 0
		.amdhsa_exception_fp_ieee_underflow 0
		.amdhsa_exception_fp_ieee_inexact 0
		.amdhsa_exception_int_div_zero 0
	.end_amdhsa_kernel
	.section	.text._ZL9mul_mat_fI15__hip_bfloat162Li32ELi4ELi2ELb1EEvPKT_PKfPKiPfiiiiiiiiiiiiiiii,"axG",@progbits,_ZL9mul_mat_fI15__hip_bfloat162Li32ELi4ELi2ELb1EEvPKT_PKfPKiPfiiiiiiiiiiiiiiii,comdat
.Lfunc_end55:
	.size	_ZL9mul_mat_fI15__hip_bfloat162Li32ELi4ELi2ELb1EEvPKT_PKfPKiPfiiiiiiiiiiiiiiii, .Lfunc_end55-_ZL9mul_mat_fI15__hip_bfloat162Li32ELi4ELi2ELb1EEvPKT_PKfPKiPfiiiiiiiiiiiiiiii
                                        ; -- End function
	.set _ZL9mul_mat_fI15__hip_bfloat162Li32ELi4ELi2ELb1EEvPKT_PKfPKiPfiiiiiiiiiiiiiiii.num_vgpr, 81
	.set _ZL9mul_mat_fI15__hip_bfloat162Li32ELi4ELi2ELb1EEvPKT_PKfPKiPfiiiiiiiiiiiiiiii.num_agpr, 0
	.set _ZL9mul_mat_fI15__hip_bfloat162Li32ELi4ELi2ELb1EEvPKT_PKfPKiPfiiiiiiiiiiiiiiii.numbered_sgpr, 70
	.set _ZL9mul_mat_fI15__hip_bfloat162Li32ELi4ELi2ELb1EEvPKT_PKfPKiPfiiiiiiiiiiiiiiii.num_named_barrier, 0
	.set _ZL9mul_mat_fI15__hip_bfloat162Li32ELi4ELi2ELb1EEvPKT_PKfPKiPfiiiiiiiiiiiiiiii.private_seg_size, 0
	.set _ZL9mul_mat_fI15__hip_bfloat162Li32ELi4ELi2ELb1EEvPKT_PKfPKiPfiiiiiiiiiiiiiiii.uses_vcc, 1
	.set _ZL9mul_mat_fI15__hip_bfloat162Li32ELi4ELi2ELb1EEvPKT_PKfPKiPfiiiiiiiiiiiiiiii.uses_flat_scratch, 0
	.set _ZL9mul_mat_fI15__hip_bfloat162Li32ELi4ELi2ELb1EEvPKT_PKfPKiPfiiiiiiiiiiiiiiii.has_dyn_sized_stack, 0
	.set _ZL9mul_mat_fI15__hip_bfloat162Li32ELi4ELi2ELb1EEvPKT_PKfPKiPfiiiiiiiiiiiiiiii.has_recursion, 0
	.set _ZL9mul_mat_fI15__hip_bfloat162Li32ELi4ELi2ELb1EEvPKT_PKfPKiPfiiiiiiiiiiiiiiii.has_indirect_call, 0
	.section	.AMDGPU.csdata,"",@progbits
; Kernel info:
; codeLenInByte = 5856
; TotalNumSgprs: 72
; NumVgprs: 81
; ScratchSize: 0
; MemoryBound: 0
; FloatMode: 240
; IeeeMode: 1
; LDSByteSize: 256 bytes/workgroup (compile time only)
; SGPRBlocks: 0
; VGPRBlocks: 10
; NumSGPRsForWavesPerEU: 72
; NumVGPRsForWavesPerEU: 81
; Occupancy: 16
; WaveLimiterHint : 0
; COMPUTE_PGM_RSRC2:SCRATCH_EN: 0
; COMPUTE_PGM_RSRC2:USER_SGPR: 2
; COMPUTE_PGM_RSRC2:TRAP_HANDLER: 0
; COMPUTE_PGM_RSRC2:TGID_X_EN: 1
; COMPUTE_PGM_RSRC2:TGID_Y_EN: 1
; COMPUTE_PGM_RSRC2:TGID_Z_EN: 1
; COMPUTE_PGM_RSRC2:TIDIG_COMP_CNT: 2
	.section	.text._ZL9mul_mat_fI15__hip_bfloat162Li32ELi4ELi2ELb0EEvPKT_PKfPKiPfiiiiiiiiiiiiiiii,"axG",@progbits,_ZL9mul_mat_fI15__hip_bfloat162Li32ELi4ELi2ELb0EEvPKT_PKfPKiPfiiiiiiiiiiiiiiii,comdat
	.globl	_ZL9mul_mat_fI15__hip_bfloat162Li32ELi4ELi2ELb0EEvPKT_PKfPKiPfiiiiiiiiiiiiiiii ; -- Begin function _ZL9mul_mat_fI15__hip_bfloat162Li32ELi4ELi2ELb0EEvPKT_PKfPKiPfiiiiiiiiiiiiiiii
	.p2align	8
	.type	_ZL9mul_mat_fI15__hip_bfloat162Li32ELi4ELi2ELb0EEvPKT_PKfPKiPfiiiiiiiiiiiiiiii,@function
_ZL9mul_mat_fI15__hip_bfloat162Li32ELi4ELi2ELb0EEvPKT_PKfPKiPfiiiiiiiiiiiiiiii: ; @_ZL9mul_mat_fI15__hip_bfloat162Li32ELi4ELi2ELb0EEvPKT_PKfPKiPfiiiiiiiiiiiiiiii
; %bb.0:
	s_clause 0x1
	s_load_b256 s[4:11], s[0:1], 0x40
	s_load_b32 s21, s[0:1], 0x20
	v_bfe_u32 v36, v0, 10, 10
	v_and_b32_e32 v37, 0x3ff, v0
	s_mov_b32 s15, exec_lo
	s_delay_alu instid0(VALU_DEP_2) | instskip(NEXT) | instid1(VALU_DEP_2)
	v_lshlrev_b32_e32 v38, 5, v36
	v_and_b32_e32 v39, 15, v37
	s_delay_alu instid0(VALU_DEP_2)
	v_add_nc_u32_e32 v41, v38, v37
	s_wait_kmcnt 0x0
	s_abs_i32 s12, s4
	s_abs_i32 s23, s8
	s_cvt_f32_u32 s2, s12
	s_cvt_f32_u32 s3, s23
	s_delay_alu instid0(SALU_CYCLE_2) | instskip(NEXT) | instid1(SALU_CYCLE_2)
	v_rcp_iflag_f32_e32 v0, s2
	v_rcp_iflag_f32_e32 v1, s3
	s_mov_b32 s3, 0
	s_lshr_b32 s2, ttmp7, 16
	s_delay_alu instid0(TRANS32_DEP_2) | instskip(NEXT) | instid1(TRANS32_DEP_1)
	v_readfirstlane_b32 s13, v0
	v_readfirstlane_b32 s14, v1
	v_cmpx_le_i32_e64 s21, v41
	s_xor_b32 s15, exec_lo, s15
; %bb.1:
	v_and_b32_e32 v39, 15, v37
                                        ; implicit-def: $vgpr41
; %bb.2:
	s_or_saveexec_b32 s22, s15
	s_load_b96 s[16:18], s[0:1], 0x2c
	v_dual_mov_b32 v15, 0 :: v_dual_lshlrev_b32 v40, 2, v37
	s_and_b32 s19, ttmp7, 0xffff
	s_lshl_b32 s20, ttmp9, 5
	s_delay_alu instid0(VALU_DEP_1)
	v_dual_mov_b32 v14, v15 :: v_dual_mov_b32 v13, v15
	v_dual_mov_b32 v12, v15 :: v_dual_mov_b32 v11, v15
	;; [unrolled: 1-line block ×7, first 2 shown]
	v_mov_b32_e32 v0, v15
	s_xor_b32 exec_lo, exec_lo, s22
	s_cbranch_execz .LBB56_6
; %bb.3:
	s_mul_f32 s13, s13, 0x4f7ffffe
	s_mul_f32 s14, s14, 0x4f7ffffe
	s_sub_co_i32 s24, 0, s12
	s_sub_co_i32 s25, 0, s23
	s_cvt_u32_f32 s13, s13
	s_cvt_u32_f32 s27, s14
	s_abs_i32 s14, s19
	s_mov_b32 s15, s3
	s_mul_i32 s24, s24, s13
	s_mul_i32 s25, s25, s27
	s_mul_hi_u32 s24, s13, s24
	s_mul_hi_u32 s28, s27, s25
	s_add_co_i32 s24, s13, s24
	s_mov_b32 s25, s3
	s_abs_i32 s26, s2
	s_mul_u64 s[24:25], s[14:15], s[24:25]
	s_ashr_i32 s24, s8, 31
	s_mul_i32 s13, s25, s12
	s_add_co_i32 s28, s27, s28
	s_sub_co_i32 s8, s14, s13
	s_ashr_i32 s4, s4, 31
	s_add_co_i32 s13, s25, 1
	s_sub_co_i32 s14, s8, s12
	s_cmp_ge_u32 s8, s12
	s_mov_b32 s27, s3
	s_cselect_b32 s13, s13, s25
	s_mov_b32 s29, s3
	s_cselect_b32 s8, s14, s8
	s_add_co_i32 s14, s13, 1
	s_mul_u64 s[28:29], s[26:27], s[28:29]
	s_cmp_ge_u32 s8, s12
	s_mul_i32 s12, s29, s23
	s_cselect_b32 s8, s14, s13
	s_sub_co_i32 s25, s26, s12
	s_xor_b32 s8, s8, s4
	s_load_b128 s[12:15], s[0:1], 0x0
	s_sub_co_i32 s26, s8, s4
	s_add_co_i32 s4, s29, 1
	s_sub_co_i32 s8, s25, s23
	s_cmp_ge_u32 s25, s23
	v_mad_u32_u24 v0, 0x900, v36, 0
	s_cselect_b32 s4, s4, s29
	s_cselect_b32 s8, s8, s25
	s_add_co_i32 s25, s4, 1
	s_cmp_ge_u32 s8, s23
	s_mov_b32 s8, s9
	s_cselect_b32 s4, s25, s4
	s_ashr_i32 s9, s9, 31
	s_xor_b32 s4, s4, s24
	v_mul_u32_u24_e32 v1, 0x90, v39
	s_sub_co_i32 s24, s4, s24
	v_and_b32_e32 v2, 0x3f0, v37
	s_ashr_i32 s25, s24, 31
	v_add_nc_u32_e32 v42, v0, v40
	s_mul_u64 s[8:9], s[24:25], s[8:9]
	s_mul_i32 s24, s26, s5
	s_lshl_b64 s[54:55], s[8:9], 2
	s_ashr_i32 s25, s24, 31
	s_wait_kmcnt 0x0
	s_add_nc_u64 s[8:9], s[12:13], s[54:55]
	s_lshl_b64 s[56:57], s[24:25], 2
	s_mul_i32 s24, s16, s20
	v_add3_u32 v43, v0, v1, v2
	s_ashr_i32 s25, s24, 31
	v_dual_mov_b32 v0, 0 :: v_dual_lshlrev_b32 v1, 7, v36
	s_lshl_b64 s[60:61], s[24:25], 2
	s_add_nc_u64 s[8:9], s[8:9], s[56:57]
	s_add_nc_u64 s[56:57], s[56:57], s[60:61]
	s_mov_b32 s4, s10
	s_add_nc_u64 s[54:55], s[56:57], s[54:55]
	s_ashr_i32 s5, s10, 31
	v_add_co_u32 v1, s53, s54, v1
	s_delay_alu instid0(VALU_DEP_1) | instskip(SKIP_2) | instid1(VALU_DEP_3)
	v_add_co_ci_u32_e64 v2, null, s55, 0, s53
	v_dual_mov_b32 v44, 0 :: v_dual_lshlrev_b32 v3, 8, v36
	s_mul_u64 s[4:5], s[4:5], s[2:3]
	v_add_co_u32 v1, vcc_lo, v1, v40
	s_lshl_b64 s[58:59], s[4:5], 2
	v_add_co_ci_u32_e64 v2, null, 0, v2, vcc_lo
	v_add_co_u32 v3, s53, s58, v3
	v_lshlrev_b32_e32 v5, 3, v37
	s_mul_i32 s4, s6, s19
	s_wait_alu 0xf1ff
	v_add_co_ci_u32_e64 v4, null, s59, 0, s53
	v_add_co_u32 v32, vcc_lo, s12, v1
	s_ashr_i32 s5, s4, 31
	s_wait_alu 0xfffd
	v_add_co_ci_u32_e64 v33, null, s13, v2, vcc_lo
	v_add_co_u32 v1, vcc_lo, v3, v5
	s_lshl_b64 s[62:63], s[4:5], 2
	s_wait_alu 0xfffd
	v_add_co_ci_u32_e64 v2, null, 0, v4, vcc_lo
	s_add_nc_u64 s[12:13], s[14:15], s[62:63]
	v_dual_mov_b32 v3, v0 :: v_dual_mov_b32 v4, v0
	s_wait_alu 0xfffe
	v_add_co_u32 v34, vcc_lo, s12, v1
	s_wait_alu 0xfffd
	v_add_co_ci_u32_e64 v35, null, s13, v2, vcc_lo
	v_dual_mov_b32 v1, v0 :: v_dual_mov_b32 v2, v0
	v_dual_mov_b32 v5, v0 :: v_dual_mov_b32 v6, v0
	;; [unrolled: 1-line block ×6, first 2 shown]
	v_mov_b32_e32 v15, v0
	s_add_nc_u64 s[26:27], s[14:15], s[58:59]
	s_ashr_i32 s65, s16, 31
	s_mov_b32 s64, s16
	s_ashr_i32 s67, s17, 31
	s_mov_b32 s66, s17
	s_add_nc_u64 s[4:5], s[8:9], s[60:61]
	s_add_nc_u64 s[8:9], s[26:27], s[62:63]
	s_mov_b32 s6, 0
	s_add_co_i32 s10, s16, s16
	s_add_co_i32 s23, s17, s17
	s_mul_i32 s17, s17, 3
	s_mul_i32 s24, s16, 3
	s_lshl_b32 s25, s16, 2
	s_mul_i32 s26, s16, 5
	s_mul_i32 s27, s16, 6
	;; [unrolled: 1-line block ×3, first 2 shown]
	s_lshl_b32 s29, s16, 3
	s_mul_i32 s30, s16, 9
	s_mul_i32 s31, s16, 10
	;; [unrolled: 1-line block ×7, first 2 shown]
	s_lshl_b32 s38, s16, 4
	s_mul_i32 s39, s16, 17
	s_mul_i32 s40, s16, 18
	;; [unrolled: 1-line block ×15, first 2 shown]
	s_lshl_b64 s[12:13], s[64:65], 2
	s_lshl_b64 s[14:15], s[66:67], 3
.LBB56_4:                               ; =>This Inner Loop Header: Depth=1
	global_load_b32 v16, v[32:33], off
	v_add_nc_u32_e32 v45, s38, v41
	s_delay_alu instid0(VALU_DEP_1) | instskip(NEXT) | instid1(VALU_DEP_1)
	v_ashrrev_i32_e32 v46, 31, v45
	v_lshlrev_b64_e32 v[45:46], 2, v[45:46]
	s_wait_loadcnt 0x0
	ds_store_b32 v42, v16
	s_wait_alu 0xfffe
	v_add_co_u32 v16, vcc_lo, v32, s12
	s_wait_alu 0xfffd
	v_add_co_ci_u32_e64 v17, null, s13, v33, vcc_lo
	global_load_b32 v16, v[16:17], off
	s_wait_loadcnt 0x0
	ds_store_b32 v42, v16 offset:144
	v_add_nc_u32_e32 v16, s10, v41
	s_delay_alu instid0(VALU_DEP_1) | instskip(NEXT) | instid1(VALU_DEP_1)
	v_ashrrev_i32_e32 v17, 31, v16
	v_lshlrev_b64_e32 v[16:17], 2, v[16:17]
	s_delay_alu instid0(VALU_DEP_1) | instskip(SKIP_1) | instid1(VALU_DEP_2)
	v_add_co_u32 v16, vcc_lo, s4, v16
	s_wait_alu 0xfffd
	v_add_co_ci_u32_e64 v17, null, s5, v17, vcc_lo
	global_load_b32 v16, v[16:17], off
	s_wait_loadcnt 0x0
	ds_store_b32 v42, v16 offset:288
	v_add_nc_u32_e32 v16, s24, v41
	s_delay_alu instid0(VALU_DEP_1) | instskip(NEXT) | instid1(VALU_DEP_1)
	v_ashrrev_i32_e32 v17, 31, v16
	v_lshlrev_b64_e32 v[16:17], 2, v[16:17]
	s_delay_alu instid0(VALU_DEP_1) | instskip(SKIP_1) | instid1(VALU_DEP_2)
	;; [unrolled: 11-line block ×14, first 2 shown]
	v_add_co_u32 v16, vcc_lo, s4, v16
	s_wait_alu 0xfffd
	v_add_co_ci_u32_e64 v17, null, s5, v17, vcc_lo
	v_add_co_u32 v45, vcc_lo, s4, v45
	s_wait_alu 0xfffd
	v_add_co_ci_u32_e64 v46, null, s5, v46, vcc_lo
	global_load_b32 v16, v[16:17], off
	s_wait_loadcnt 0x0
	ds_store_b32 v42, v16 offset:2160
	ds_load_b128 v[28:31], v43
	ds_load_b128 v[24:27], v43 offset:32
	ds_load_b128 v[20:23], v43 offset:64
	;; [unrolled: 1-line block ×3, first 2 shown]
	global_load_b32 v45, v[45:46], off
	s_wait_loadcnt 0x0
	ds_store_b32 v42, v45
	v_add_nc_u32_e32 v45, s39, v41
	s_delay_alu instid0(VALU_DEP_1) | instskip(NEXT) | instid1(VALU_DEP_1)
	v_ashrrev_i32_e32 v46, 31, v45
	v_lshlrev_b64_e32 v[45:46], 2, v[45:46]
	s_delay_alu instid0(VALU_DEP_1) | instskip(SKIP_1) | instid1(VALU_DEP_2)
	v_add_co_u32 v45, vcc_lo, s4, v45
	s_wait_alu 0xfffd
	v_add_co_ci_u32_e64 v46, null, s5, v46, vcc_lo
	global_load_b32 v45, v[45:46], off
	s_wait_loadcnt 0x0
	ds_store_b32 v42, v45 offset:144
	v_add_nc_u32_e32 v45, s40, v41
	s_delay_alu instid0(VALU_DEP_1) | instskip(NEXT) | instid1(VALU_DEP_1)
	v_ashrrev_i32_e32 v46, 31, v45
	v_lshlrev_b64_e32 v[45:46], 2, v[45:46]
	s_delay_alu instid0(VALU_DEP_1) | instskip(SKIP_1) | instid1(VALU_DEP_2)
	v_add_co_u32 v45, vcc_lo, s4, v45
	s_wait_alu 0xfffd
	v_add_co_ci_u32_e64 v46, null, s5, v46, vcc_lo
	global_load_b32 v45, v[45:46], off
	s_wait_loadcnt 0x0
	ds_store_b32 v42, v45 offset:288
	;; [unrolled: 11-line block ×15, first 2 shown]
	ds_load_b128 v[45:48], v43
	ds_load_b128 v[49:52], v43 offset:32
	ds_load_b128 v[53:56], v43 offset:64
	;; [unrolled: 1-line block ×3, first 2 shown]
	global_load_b64 v[61:62], v[34:35], off
	s_wait_loadcnt 0x0
	v_bfe_u32 v63, v61, 16, 1
	v_or_b32_e32 v64, 0x400000, v61
	v_cmp_u_f32_e32 vcc_lo, v61, v61
	s_delay_alu instid0(VALU_DEP_3) | instskip(SKIP_1) | instid1(VALU_DEP_1)
	v_add3_u32 v63, v63, v61, 0x7fff
	s_wait_alu 0xfffd
	v_cndmask_b32_e32 v61, v63, v64, vcc_lo
	v_bfe_u32 v63, v62, 16, 1
	v_or_b32_e32 v64, 0x400000, v62
	v_cmp_u_f32_e32 vcc_lo, v62, v62
	s_delay_alu instid0(VALU_DEP_3) | instskip(SKIP_1) | instid1(VALU_DEP_1)
	v_add3_u32 v63, v63, v62, 0x7fff
	s_wait_alu 0xfffd
	v_cndmask_b32_e32 v62, v63, v64, vcc_lo
	s_delay_alu instid0(VALU_DEP_1)
	v_perm_b32 v61, v62, v61, 0x7060302
	ds_store_b32 v42, v61
	v_add_co_u32 v61, vcc_lo, v34, s14
	s_wait_alu 0xfffd
	v_add_co_ci_u32_e64 v62, null, s15, v35, vcc_lo
	global_load_b64 v[61:62], v[61:62], off
	s_wait_loadcnt 0x0
	v_bfe_u32 v63, v61, 16, 1
	v_or_b32_e32 v64, 0x400000, v61
	v_cmp_u_f32_e32 vcc_lo, v61, v61
	s_delay_alu instid0(VALU_DEP_3) | instskip(SKIP_1) | instid1(VALU_DEP_1)
	v_add3_u32 v63, v63, v61, 0x7fff
	s_wait_alu 0xfffd
	v_cndmask_b32_e32 v61, v63, v64, vcc_lo
	v_bfe_u32 v63, v62, 16, 1
	v_or_b32_e32 v64, 0x400000, v62
	v_cmp_u_f32_e32 vcc_lo, v62, v62
	s_delay_alu instid0(VALU_DEP_3) | instskip(SKIP_1) | instid1(VALU_DEP_1)
	v_add3_u32 v63, v63, v62, 0x7fff
	s_wait_alu 0xfffd
	v_cndmask_b32_e32 v62, v63, v64, vcc_lo
	s_delay_alu instid0(VALU_DEP_1) | instskip(SKIP_2) | instid1(VALU_DEP_1)
	v_perm_b32 v61, v62, v61, 0x7060302
	ds_store_b32 v42, v61 offset:144
	v_add_nc_u32_e32 v61, s23, v41
	v_ashrrev_i32_e32 v62, 31, v61
	s_delay_alu instid0(VALU_DEP_1) | instskip(NEXT) | instid1(VALU_DEP_1)
	v_lshlrev_b64_e32 v[61:62], 3, v[61:62]
	v_add_co_u32 v61, vcc_lo, s8, v61
	s_wait_alu 0xfffd
	s_delay_alu instid0(VALU_DEP_2)
	v_add_co_ci_u32_e64 v62, null, s9, v62, vcc_lo
	global_load_b64 v[61:62], v[61:62], off
	s_wait_loadcnt 0x0
	v_bfe_u32 v63, v61, 16, 1
	v_or_b32_e32 v64, 0x400000, v61
	v_cmp_u_f32_e32 vcc_lo, v61, v61
	s_delay_alu instid0(VALU_DEP_3) | instskip(SKIP_1) | instid1(VALU_DEP_1)
	v_add3_u32 v63, v63, v61, 0x7fff
	s_wait_alu 0xfffd
	v_cndmask_b32_e32 v61, v63, v64, vcc_lo
	v_bfe_u32 v63, v62, 16, 1
	v_or_b32_e32 v64, 0x400000, v62
	v_cmp_u_f32_e32 vcc_lo, v62, v62
	s_delay_alu instid0(VALU_DEP_3) | instskip(SKIP_1) | instid1(VALU_DEP_1)
	v_add3_u32 v63, v63, v62, 0x7fff
	s_wait_alu 0xfffd
	v_cndmask_b32_e32 v62, v63, v64, vcc_lo
	s_delay_alu instid0(VALU_DEP_1) | instskip(SKIP_3) | instid1(VALU_DEP_2)
	v_perm_b32 v61, v62, v61, 0x7060302
	ds_store_b32 v42, v61 offset:288
	v_add_nc_u32_e32 v61, s17, v41
	v_add_nc_u32_e32 v41, 64, v41
	v_ashrrev_i32_e32 v62, 31, v61
	s_delay_alu instid0(VALU_DEP_1) | instskip(NEXT) | instid1(VALU_DEP_1)
	v_lshlrev_b64_e32 v[61:62], 3, v[61:62]
	v_add_co_u32 v61, vcc_lo, s8, v61
	s_wait_alu 0xfffd
	s_delay_alu instid0(VALU_DEP_2)
	v_add_co_ci_u32_e64 v62, null, s9, v62, vcc_lo
	global_load_b64 v[61:62], v[61:62], off
	s_wait_loadcnt 0x0
	v_bfe_u32 v63, v61, 16, 1
	v_or_b32_e32 v64, 0x400000, v61
	v_cmp_u_f32_e32 vcc_lo, v61, v61
	s_delay_alu instid0(VALU_DEP_3) | instskip(SKIP_1) | instid1(VALU_DEP_1)
	v_add3_u32 v63, v63, v61, 0x7fff
	s_wait_alu 0xfffd
	v_cndmask_b32_e32 v61, v63, v64, vcc_lo
	v_bfe_u32 v63, v62, 16, 1
	v_or_b32_e32 v64, 0x400000, v62
	v_cmp_u_f32_e32 vcc_lo, v62, v62
	s_delay_alu instid0(VALU_DEP_3) | instskip(SKIP_1) | instid1(VALU_DEP_1)
	v_add3_u32 v63, v63, v62, 0x7fff
	s_wait_alu 0xfffd
	v_cndmask_b32_e32 v62, v63, v64, vcc_lo
	v_add_co_u32 v32, vcc_lo, 0x100, v32
	s_wait_alu 0xfffd
	v_add_co_ci_u32_e64 v33, null, 0, v33, vcc_lo
	s_delay_alu instid0(VALU_DEP_3)
	v_perm_b32 v61, v62, v61, 0x7060302
	ds_store_b32 v42, v61 offset:432
	ds_store_b32 v42, v44 offset:576
	;; [unrolled: 1-line block ×13, first 2 shown]
	ds_load_b128 v[61:64], v43
	ds_load_b128 v[65:68], v43 offset:32
	v_add_co_u32 v34, vcc_lo, 0x200, v34
	s_wait_alu 0xfffd
	v_add_co_ci_u32_e64 v35, null, 0, v35, vcc_lo
	v_cmp_le_i32_e32 vcc_lo, s21, v41
	s_or_b32 s6, vcc_lo, s6
	s_wait_dscnt 0x1
	v_wmma_f32_16x16x16_bf16 v[8:15], v[28:31], v[61:64], v[8:15]
	v_wmma_f32_16x16x16_bf16 v[0:7], v[45:48], v[61:64], v[0:7]
	s_wait_dscnt 0x0
	s_delay_alu instid0(VALU_DEP_2)
	v_wmma_f32_16x16x16_bf16 v[8:15], v[24:27], v[65:68], v[8:15]
	ds_load_b128 v[24:27], v43 offset:64
	v_wmma_f32_16x16x16_bf16 v[0:7], v[49:52], v[65:68], v[0:7]
	s_wait_dscnt 0x0
	v_wmma_f32_16x16x16_bf16 v[8:15], v[20:23], v[24:27], v[8:15]
	ds_load_b128 v[20:23], v43 offset:96
	v_wmma_f32_16x16x16_bf16 v[0:7], v[53:56], v[24:27], v[0:7]
	s_wait_dscnt 0x0
	v_wmma_f32_16x16x16_bf16 v[8:15], v[16:19], v[20:23], v[8:15]
	s_delay_alu instid0(VALU_DEP_2)
	v_wmma_f32_16x16x16_bf16 v[0:7], v[57:60], v[20:23], v[0:7]
	s_and_not1_b32 exec_lo, exec_lo, s6
	s_cbranch_execnz .LBB56_4
; %bb.5:
	s_or_b32 exec_lo, exec_lo, s6
.LBB56_6:
	s_delay_alu instid0(SALU_CYCLE_1) | instskip(SKIP_4) | instid1(VALU_DEP_3)
	s_or_b32 exec_lo, exec_lo, s22
	v_lshlrev_b32_e32 v16, 1, v37
	v_lshl_add_u32 v17, v38, 2, 0
	v_mul_u32_u24_e32 v18, 0x110, v39
	s_barrier_signal -1
	v_and_b32_e32 v16, 0x7e0, v16
	s_barrier_wait -1
	global_inv scope:SCOPE_SE
	s_load_b64 s[0:1], s[0:1], 0x18
	s_ashr_i32 s5, s11, 31
	v_add3_u32 v16, v17, v18, v16
	v_mul_u32_u24_e32 v17, 0x110, v36
	s_mov_b32 s4, s11
	ds_store_2addr_b32 v16, v8, v9 offset1:1
	ds_store_2addr_b32 v16, v10, v11 offset0:2 offset1:3
	ds_store_2addr_b32 v16, v12, v13 offset0:4 offset1:5
	;; [unrolled: 1-line block ×7, first 2 shown]
	v_add3_u32 v2, 0, v40, v17
	s_wait_loadcnt_dscnt 0x0
	s_barrier_signal -1
	s_barrier_wait -1
	global_inv scope:SCOPE_SE
	ds_load_2addr_b32 v[0:1], v2 offset1:32
	s_wait_kmcnt 0x0
	v_mul_lo_u32 v4, v36, s18
	ds_load_2addr_b32 v[2:3], v2 offset0:136 offset1:168
	v_mov_b32_e32 v5, 0
	s_wait_alu 0xfffe
	s_mul_u64 s[2:3], s[4:5], s[2:3]
	s_mul_i32 s4, s7, s19
	s_wait_alu 0xfffe
	s_lshl_b64 s[2:3], s[2:3], 2
	s_ashr_i32 s5, s4, 31
	s_wait_alu 0xfffe
	s_add_nc_u64 s[0:1], s[0:1], s[2:3]
	v_add3_u32 v4, s20, v37, v4
	s_lshl_b64 s[2:3], s[4:5], 2
	s_wait_alu 0xfffe
	s_add_nc_u64 s[0:1], s[0:1], s[2:3]
	s_delay_alu instid0(VALU_DEP_1)
	v_lshlrev_b64_e32 v[6:7], 2, v[4:5]
	v_lshl_add_u32 v4, s18, 1, v4
	s_wait_dscnt 0x1
	v_add_f32_e32 v0, 0, v0
	s_wait_dscnt 0x0
	v_add_f32_e32 v2, 0, v2
	s_delay_alu instid0(VALU_DEP_2)
	v_add_f32_e32 v8, v0, v1
	v_lshlrev_b64_e32 v[0:1], 2, v[4:5]
	v_add_co_u32 v4, vcc_lo, s0, v6
	s_wait_alu 0xfffd
	v_add_co_ci_u32_e64 v5, null, s1, v7, vcc_lo
	v_add_f32_e32 v2, v2, v3
	s_delay_alu instid0(VALU_DEP_4)
	v_add_co_u32 v0, vcc_lo, s0, v0
	s_wait_alu 0xfffd
	v_add_co_ci_u32_e64 v1, null, s1, v1, vcc_lo
	s_clause 0x1
	global_store_b32 v[4:5], v8, off
	global_store_b32 v[0:1], v2, off
	s_endpgm
	.section	.rodata,"a",@progbits
	.p2align	6, 0x0
	.amdhsa_kernel _ZL9mul_mat_fI15__hip_bfloat162Li32ELi4ELi2ELb0EEvPKT_PKfPKiPfiiiiiiiiiiiiiiii
		.amdhsa_group_segment_fixed_size 0
		.amdhsa_private_segment_fixed_size 0
		.amdhsa_kernarg_size 96
		.amdhsa_user_sgpr_count 2
		.amdhsa_user_sgpr_dispatch_ptr 0
		.amdhsa_user_sgpr_queue_ptr 0
		.amdhsa_user_sgpr_kernarg_segment_ptr 1
		.amdhsa_user_sgpr_dispatch_id 0
		.amdhsa_user_sgpr_private_segment_size 0
		.amdhsa_wavefront_size32 1
		.amdhsa_uses_dynamic_stack 0
		.amdhsa_enable_private_segment 0
		.amdhsa_system_sgpr_workgroup_id_x 1
		.amdhsa_system_sgpr_workgroup_id_y 1
		.amdhsa_system_sgpr_workgroup_id_z 1
		.amdhsa_system_sgpr_workgroup_info 0
		.amdhsa_system_vgpr_workitem_id 1
		.amdhsa_next_free_vgpr 69
		.amdhsa_next_free_sgpr 68
		.amdhsa_reserve_vcc 1
		.amdhsa_float_round_mode_32 0
		.amdhsa_float_round_mode_16_64 0
		.amdhsa_float_denorm_mode_32 3
		.amdhsa_float_denorm_mode_16_64 3
		.amdhsa_fp16_overflow 0
		.amdhsa_workgroup_processor_mode 1
		.amdhsa_memory_ordered 1
		.amdhsa_forward_progress 1
		.amdhsa_inst_pref_size 34
		.amdhsa_round_robin_scheduling 0
		.amdhsa_exception_fp_ieee_invalid_op 0
		.amdhsa_exception_fp_denorm_src 0
		.amdhsa_exception_fp_ieee_div_zero 0
		.amdhsa_exception_fp_ieee_overflow 0
		.amdhsa_exception_fp_ieee_underflow 0
		.amdhsa_exception_fp_ieee_inexact 0
		.amdhsa_exception_int_div_zero 0
	.end_amdhsa_kernel
	.section	.text._ZL9mul_mat_fI15__hip_bfloat162Li32ELi4ELi2ELb0EEvPKT_PKfPKiPfiiiiiiiiiiiiiiii,"axG",@progbits,_ZL9mul_mat_fI15__hip_bfloat162Li32ELi4ELi2ELb0EEvPKT_PKfPKiPfiiiiiiiiiiiiiiii,comdat
.Lfunc_end56:
	.size	_ZL9mul_mat_fI15__hip_bfloat162Li32ELi4ELi2ELb0EEvPKT_PKfPKiPfiiiiiiiiiiiiiiii, .Lfunc_end56-_ZL9mul_mat_fI15__hip_bfloat162Li32ELi4ELi2ELb0EEvPKT_PKfPKiPfiiiiiiiiiiiiiiii
                                        ; -- End function
	.set _ZL9mul_mat_fI15__hip_bfloat162Li32ELi4ELi2ELb0EEvPKT_PKfPKiPfiiiiiiiiiiiiiiii.num_vgpr, 69
	.set _ZL9mul_mat_fI15__hip_bfloat162Li32ELi4ELi2ELb0EEvPKT_PKfPKiPfiiiiiiiiiiiiiiii.num_agpr, 0
	.set _ZL9mul_mat_fI15__hip_bfloat162Li32ELi4ELi2ELb0EEvPKT_PKfPKiPfiiiiiiiiiiiiiiii.numbered_sgpr, 68
	.set _ZL9mul_mat_fI15__hip_bfloat162Li32ELi4ELi2ELb0EEvPKT_PKfPKiPfiiiiiiiiiiiiiiii.num_named_barrier, 0
	.set _ZL9mul_mat_fI15__hip_bfloat162Li32ELi4ELi2ELb0EEvPKT_PKfPKiPfiiiiiiiiiiiiiiii.private_seg_size, 0
	.set _ZL9mul_mat_fI15__hip_bfloat162Li32ELi4ELi2ELb0EEvPKT_PKfPKiPfiiiiiiiiiiiiiiii.uses_vcc, 1
	.set _ZL9mul_mat_fI15__hip_bfloat162Li32ELi4ELi2ELb0EEvPKT_PKfPKiPfiiiiiiiiiiiiiiii.uses_flat_scratch, 0
	.set _ZL9mul_mat_fI15__hip_bfloat162Li32ELi4ELi2ELb0EEvPKT_PKfPKiPfiiiiiiiiiiiiiiii.has_dyn_sized_stack, 0
	.set _ZL9mul_mat_fI15__hip_bfloat162Li32ELi4ELi2ELb0EEvPKT_PKfPKiPfiiiiiiiiiiiiiiii.has_recursion, 0
	.set _ZL9mul_mat_fI15__hip_bfloat162Li32ELi4ELi2ELb0EEvPKT_PKfPKiPfiiiiiiiiiiiiiiii.has_indirect_call, 0
	.section	.AMDGPU.csdata,"",@progbits
; Kernel info:
; codeLenInByte = 4280
; TotalNumSgprs: 70
; NumVgprs: 69
; ScratchSize: 0
; MemoryBound: 0
; FloatMode: 240
; IeeeMode: 1
; LDSByteSize: 0 bytes/workgroup (compile time only)
; SGPRBlocks: 0
; VGPRBlocks: 8
; NumSGPRsForWavesPerEU: 70
; NumVGPRsForWavesPerEU: 69
; Occupancy: 16
; WaveLimiterHint : 0
; COMPUTE_PGM_RSRC2:SCRATCH_EN: 0
; COMPUTE_PGM_RSRC2:USER_SGPR: 2
; COMPUTE_PGM_RSRC2:TRAP_HANDLER: 0
; COMPUTE_PGM_RSRC2:TGID_X_EN: 1
; COMPUTE_PGM_RSRC2:TGID_Y_EN: 1
; COMPUTE_PGM_RSRC2:TGID_Z_EN: 1
; COMPUTE_PGM_RSRC2:TIDIG_COMP_CNT: 1
	.section	.text._ZL13mul_mat_f_idsI15__hip_bfloat162Li32ELi4ELi3EEvPKT_PKfPKiS7_S7_Pfiiiiiiiiiiiiii15HIP_vector_typeIjLj3EESA_,"axG",@progbits,_ZL13mul_mat_f_idsI15__hip_bfloat162Li32ELi4ELi3EEvPKT_PKfPKiS7_S7_Pfiiiiiiiiiiiiii15HIP_vector_typeIjLj3EESA_,comdat
	.globl	_ZL13mul_mat_f_idsI15__hip_bfloat162Li32ELi4ELi3EEvPKT_PKfPKiS7_S7_Pfiiiiiiiiiiiiii15HIP_vector_typeIjLj3EESA_ ; -- Begin function _ZL13mul_mat_f_idsI15__hip_bfloat162Li32ELi4ELi3EEvPKT_PKfPKiS7_S7_Pfiiiiiiiiiiiiii15HIP_vector_typeIjLj3EESA_
	.p2align	8
	.type	_ZL13mul_mat_f_idsI15__hip_bfloat162Li32ELi4ELi3EEvPKT_PKfPKiS7_S7_Pfiiiiiiiiiiiiii15HIP_vector_typeIjLj3EESA_,@function
_ZL13mul_mat_f_idsI15__hip_bfloat162Li32ELi4ELi3EEvPKT_PKfPKiS7_S7_Pfiiiiiiiiiiiiii15HIP_vector_typeIjLj3EESA_: ; @_ZL13mul_mat_f_idsI15__hip_bfloat162Li32ELi4ELi3EEvPKT_PKfPKiS7_S7_Pfiiiiiiiiiiiiii15HIP_vector_typeIjLj3EESA_
; %bb.0:
	s_load_b64 s[4:5], s[0:1], 0x20
	s_and_b32 s2, ttmp7, 0xffff
	s_delay_alu instid0(SALU_CYCLE_1) | instskip(SKIP_4) | instid1(SALU_CYCLE_1)
	s_lshl_b32 s3, s2, 2
	s_wait_kmcnt 0x0
	s_load_b64 s[26:27], s[4:5], s3 offset:0x0
	s_wait_kmcnt 0x0
	s_sub_co_i32 s19, s27, s26
	s_add_co_i32 s3, s19, 3
	s_delay_alu instid0(SALU_CYCLE_1) | instskip(NEXT) | instid1(SALU_CYCLE_1)
	s_ashr_i32 s4, s3, 31
	s_lshr_b32 s4, s4, 30
	s_delay_alu instid0(SALU_CYCLE_1) | instskip(NEXT) | instid1(SALU_CYCLE_1)
	s_add_co_i32 s3, s3, s4
	s_ashr_i32 s4, s3, 2
	s_lshr_b32 s3, ttmp7, 16
	s_delay_alu instid0(SALU_CYCLE_1)
	s_cmp_ge_i32 s3, s4
	s_cbranch_scc1 .LBB57_26
; %bb.1:
	s_clause 0x3
	s_load_b128 s[4:7], s[0:1], 0x30
	s_load_b64 s[20:21], s[0:1], 0x40
	s_load_b128 s[8:11], s[0:1], 0x68
	s_load_b64 s[22:23], s[0:1], 0x78
	v_bfe_u32 v51, v0, 10, 10
	v_and_b32_e32 v52, 0x3ff, v0
	s_ashr_i32 s27, s26, 31
	s_mov_b32 s12, exec_lo
	s_delay_alu instid0(VALU_DEP_2) | instskip(NEXT) | instid1(VALU_DEP_2)
	v_lshlrev_b32_e32 v53, 5, v51
	v_and_b32_e32 v54, 15, v52
	s_delay_alu instid0(VALU_DEP_2) | instskip(SKIP_1) | instid1(VALU_DEP_1)
	v_add_nc_u32_e32 v48, v53, v52
	s_wait_kmcnt 0x0
	v_cmpx_le_i32_e64 s4, v48
	s_xor_b32 s12, exec_lo, s12
; %bb.2:
	v_and_b32_e32 v54, 15, v52
                                        ; implicit-def: $vgpr48
; %bb.3:
	s_or_saveexec_b32 s37, s12
	s_clause 0x1
	s_load_b64 s[24:25], s[0:1], 0x28
	s_load_b96 s[16:18], s[0:1], 0x4c
	v_mov_b32_e32 v7, 0
	s_lshl_b32 s36, ttmp9, 5
	s_lshl_b32 s33, s3, 2
	s_delay_alu instid0(VALU_DEP_1)
	v_dual_mov_b32 v6, v7 :: v_dual_mov_b32 v5, v7
	v_dual_mov_b32 v4, v7 :: v_dual_mov_b32 v3, v7
	;; [unrolled: 1-line block ×7, first 2 shown]
	v_mov_b32_e32 v8, v7
	s_xor_b32 exec_lo, exec_lo, s37
	s_cbranch_execz .LBB57_19
; %bb.4:
	s_clause 0x1
	s_load_b128 s[12:15], s[0:1], 0x0
	s_load_b64 s[28:29], s[0:1], 0x10
	s_wait_kmcnt 0x0
	s_mul_i32 s30, s16, s2
	s_mul_i32 s34, s7, s36
	s_ashr_i32 s31, s30, 31
	s_ashr_i32 s35, s34, 31
	s_lshl_b64 s[38:39], s[26:27], 2
	s_lshl_b64 s[68:69], s[30:31], 2
	;; [unrolled: 1-line block ×3, first 2 shown]
	s_cmp_lt_i32 s33, s19
	v_mad_u32_u24 v0, 0x900, v51, 0
	v_dual_mov_b32 v8, 0 :: v_dual_lshlrev_b32 v1, 2, v52
	v_mul_u32_u24_e32 v2, 0x90, v54
	s_cselect_b32 s16, -1, 0
	s_or_b32 s30, s33, 1
	v_mov_b32_e32 v57, 0
	v_and_b32_e32 v3, 0x3f0, v52
	s_lshl_b32 s2, s33, 2
	s_cmp_lt_i32 s30, s19
	s_add_nc_u64 s[30:31], s[12:13], s[68:69]
	s_add_nc_u64 s[34:35], s[28:29], s[38:39]
	;; [unrolled: 1-line block ×3, first 2 shown]
	s_cselect_b32 s38, -1, 0
	s_or_b32 s30, s33, 2
	v_dual_mov_b32 v10, v57 :: v_dual_add_nc_u32 v55, v0, v1
	v_add3_u32 v56, v0, v2, v3
	v_dual_mov_b32 v9, v57 :: v_dual_lshlrev_b32 v0, 7, v51
	s_mov_b32 s3, 0
	s_cmp_lt_i32 s30, s19
	s_add_nc_u64 s[30:31], s[34:35], s[2:3]
	s_cselect_b32 s39, -1, 0
	s_or_b32 s2, s33, 3
	s_add_nc_u64 s[68:69], s[68:69], s[70:71]
	s_cmp_lt_i32 s2, s19
	v_add_co_u32 v0, s2, s68, v0
	s_delay_alu instid0(VALU_DEP_1) | instskip(SKIP_2) | instid1(VALU_DEP_1)
	v_add_co_ci_u32_e64 v2, null, s69, 0, s2
	s_mov_b32 s34, s8
	v_add_co_u32 v0, vcc_lo, v0, v1
	v_add_co_ci_u32_e64 v1, null, 0, v2, vcc_lo
	s_cselect_b32 s8, -1, 0
	v_add_co_u32 v49, vcc_lo, s12, v0
	s_wait_alu 0xfffd
	v_add_co_ci_u32_e64 v50, null, s13, v1, vcc_lo
	v_dual_mov_b32 v0, 0 :: v_dual_mov_b32 v11, v57
	v_mov_b32_e32 v14, v57
	v_dual_mov_b32 v12, v57 :: v_dual_mov_b32 v13, v57
	v_dual_mov_b32 v2, v57 :: v_dual_mov_b32 v15, v57
	;; [unrolled: 1-line block ×4, first 2 shown]
	v_mov_b32_e32 v5, v57
	v_mov_b32_e32 v7, v57
	s_ashr_i32 s73, s7, 31
	s_mov_b32 s72, s7
	s_mov_b32 s35, s3
	s_add_co_i32 s40, s7, s7
	s_mul_i32 s41, s7, 3
	s_lshl_b32 s42, s7, 2
	s_mul_i32 s43, s7, 5
	s_mul_i32 s44, s7, 6
	;; [unrolled: 1-line block ×3, first 2 shown]
	s_lshl_b32 s46, s7, 3
	s_mul_i32 s47, s7, 9
	s_mul_i32 s48, s7, 10
	;; [unrolled: 1-line block ×7, first 2 shown]
	s_lshl_b32 s54, s7, 4
	s_mul_i32 s55, s7, 17
	s_mul_i32 s56, s7, 18
	;; [unrolled: 1-line block ×15, first 2 shown]
	s_lshl_b64 s[12:13], s[72:73], 2
	s_mov_b32 s69, 0
	s_branch .LBB57_6
.LBB57_5:                               ;   in Loop: Header=BB57_6 Depth=1
	v_perm_b32 v58, v58, v59, 0x5040100
	v_perm_b32 v59, v61, v62, 0x5040100
	;; [unrolled: 1-line block ×4, first 2 shown]
	v_add_nc_u32_e32 v62, 0x400, v55
	ds_store_2addr_b32 v55, v58, v59 offset1:36
	ds_store_2addr_b32 v55, v60, v61 offset0:72 offset1:108
	ds_store_2addr_b32 v55, v57, v57 offset0:144 offset1:180
	v_add_nc_u32_e32 v58, 0x600, v55
	ds_store_2addr_b32 v55, v57, v57 offset0:216 offset1:252
	ds_store_2addr_b32 v62, v57, v57 offset0:32 offset1:68
	ds_store_2addr_b32 v62, v57, v57 offset0:104 offset1:140
	ds_store_2addr_b32 v62, v57, v57 offset0:176 offset1:212
	ds_store_2addr_b32 v58, v57, v57 offset0:120 offset1:156
	ds_load_b128 v[58:61], v56
	ds_load_b128 v[62:65], v56 offset:32
	ds_load_b128 v[66:69], v56 offset:64
	ds_load_b128 v[70:73], v56 offset:96
	v_add_nc_u32_e32 v48, 0x60, v48
	v_add_co_u32 v49, s2, 0x180, v49
	s_wait_alu 0xf1ff
	v_add_co_ci_u32_e64 v50, null, 0, v50, s2
	s_delay_alu instid0(VALU_DEP_3)
	v_cmp_le_i32_e32 vcc_lo, s4, v48
	s_or_b32 s69, vcc_lo, s69
	s_wait_dscnt 0x3
	v_wmma_f32_16x16x16_bf16 v[8:15], v[32:35], v[58:61], v[8:15]
	v_wmma_f32_16x16x16_bf16 v[0:7], v[44:47], v[58:61], v[0:7]
	s_wait_dscnt 0x2
	s_delay_alu instid0(VALU_DEP_2) | instskip(NEXT) | instid1(VALU_DEP_2)
	v_wmma_f32_16x16x16_bf16 v[8:15], v[28:31], v[62:65], v[8:15]
	v_wmma_f32_16x16x16_bf16 v[0:7], v[40:43], v[62:65], v[0:7]
	s_wait_dscnt 0x1
	s_delay_alu instid0(VALU_DEP_2) | instskip(NEXT) | instid1(VALU_DEP_2)
	v_wmma_f32_16x16x16_bf16 v[8:15], v[24:27], v[66:69], v[8:15]
	v_wmma_f32_16x16x16_bf16 v[0:7], v[36:39], v[66:69], v[0:7]
	s_wait_dscnt 0x0
	s_delay_alu instid0(VALU_DEP_2) | instskip(NEXT) | instid1(VALU_DEP_2)
	v_wmma_f32_16x16x16_bf16 v[8:15], v[16:19], v[70:73], v[8:15]
	v_wmma_f32_16x16x16_bf16 v[0:7], v[20:23], v[70:73], v[0:7]
	s_wait_alu 0xfffe
	s_and_not1_b32 exec_lo, exec_lo, s69
	s_cbranch_execz .LBB57_18
.LBB57_6:                               ; =>This Inner Loop Header: Depth=1
	v_add_nc_u32_e32 v22, s42, v48
	v_add_nc_u32_e32 v16, s40, v48
	s_wait_alu 0xfffe
	v_add_co_u32 v20, vcc_lo, v49, s12
	v_add_nc_u32_e32 v18, s41, v48
	s_wait_alu 0xfffd
	v_add_co_ci_u32_e64 v21, null, s13, v50, vcc_lo
	v_ashrrev_i32_e32 v23, 31, v22
	v_ashrrev_i32_e32 v17, 31, v16
	v_add_nc_u32_e32 v24, s43, v48
	v_ashrrev_i32_e32 v19, 31, v18
	s_clause 0x1
	global_load_b32 v38, v[49:50], off
	global_load_b32 v39, v[20:21], off
	v_lshlrev_b64_e32 v[20:21], 2, v[22:23]
	v_add_nc_u32_e32 v22, s44, v48
	v_lshlrev_b64_e32 v[16:17], 2, v[16:17]
	v_add_nc_u32_e32 v26, s45, v48
	v_ashrrev_i32_e32 v25, 31, v24
	v_lshlrev_b64_e32 v[18:19], 2, v[18:19]
	v_add_nc_u32_e32 v28, s46, v48
	v_ashrrev_i32_e32 v23, 31, v22
	v_add_nc_u32_e32 v30, s47, v48
	v_ashrrev_i32_e32 v27, 31, v26
	v_add_co_u32 v16, vcc_lo, s28, v16
	v_lshlrev_b64_e32 v[24:25], 2, v[24:25]
	v_ashrrev_i32_e32 v29, 31, v28
	s_wait_alu 0xfffd
	v_add_co_ci_u32_e64 v17, null, s29, v17, vcc_lo
	v_add_co_u32 v18, vcc_lo, s28, v18
	v_lshlrev_b64_e32 v[22:23], 2, v[22:23]
	v_ashrrev_i32_e32 v31, 31, v30
	s_wait_alu 0xfffd
	v_add_co_ci_u32_e64 v19, null, s29, v19, vcc_lo
	v_add_co_u32 v20, vcc_lo, s28, v20
	v_lshlrev_b64_e32 v[26:27], 2, v[26:27]
	s_wait_alu 0xfffd
	v_add_co_ci_u32_e64 v21, null, s29, v21, vcc_lo
	v_add_co_u32 v24, vcc_lo, s28, v24
	v_lshlrev_b64_e32 v[28:29], 2, v[28:29]
	;; [unrolled: 4-line block ×3, first 2 shown]
	s_wait_alu 0xfffd
	v_add_co_ci_u32_e64 v23, null, s29, v23, vcc_lo
	v_add_co_u32 v26, vcc_lo, s28, v26
	v_add_nc_u32_e32 v32, s48, v48
	s_wait_alu 0xfffd
	v_add_co_ci_u32_e64 v27, null, s29, v27, vcc_lo
	v_add_co_u32 v28, vcc_lo, s28, v28
	v_add_nc_u32_e32 v34, s49, v48
	s_wait_alu 0xfffd
	v_add_co_ci_u32_e64 v29, null, s29, v29, vcc_lo
	v_add_co_u32 v30, vcc_lo, s28, v30
	v_add_nc_u32_e32 v36, s50, v48
	v_ashrrev_i32_e32 v33, 31, v32
	s_wait_alu 0xfffd
	v_add_co_ci_u32_e64 v31, null, s29, v31, vcc_lo
	s_clause 0x7
	global_load_b32 v40, v[16:17], off
	global_load_b32 v41, v[18:19], off
	;; [unrolled: 1-line block ×8, first 2 shown]
	v_add_nc_u32_e32 v18, s51, v48
	v_ashrrev_i32_e32 v35, 31, v34
	v_add_nc_u32_e32 v24, s52, v48
	v_ashrrev_i32_e32 v37, 31, v36
	v_lshlrev_b64_e32 v[32:33], 2, v[32:33]
	v_add_nc_u32_e32 v26, s53, v48
	v_ashrrev_i32_e32 v19, 31, v18
	v_lshlrev_b64_e32 v[16:17], 2, v[34:35]
	;; [unrolled: 3-line block ×3, first 2 shown]
	v_add_nc_u32_e32 v30, s55, v48
	v_ashrrev_i32_e32 v27, 31, v26
	v_add_co_u32 v20, vcc_lo, s28, v32
	v_lshlrev_b64_e32 v[18:19], 2, v[18:19]
	v_ashrrev_i32_e32 v29, 31, v28
	s_wait_alu 0xfffd
	v_add_co_ci_u32_e64 v21, null, s29, v33, vcc_lo
	v_add_co_u32 v16, vcc_lo, s28, v16
	v_lshlrev_b64_e32 v[24:25], 2, v[24:25]
	v_ashrrev_i32_e32 v31, 31, v30
	s_wait_alu 0xfffd
	v_add_co_ci_u32_e64 v17, null, s29, v17, vcc_lo
	v_add_co_u32 v22, vcc_lo, s28, v22
	v_lshlrev_b64_e32 v[26:27], 2, v[26:27]
	s_wait_alu 0xfffd
	v_add_co_ci_u32_e64 v23, null, s29, v23, vcc_lo
	v_add_co_u32 v18, vcc_lo, s28, v18
	v_lshlrev_b64_e32 v[28:29], 2, v[28:29]
	;; [unrolled: 4-line block ×3, first 2 shown]
	s_wait_alu 0xfffd
	v_add_co_ci_u32_e64 v25, null, s29, v25, vcc_lo
	v_add_co_u32 v26, vcc_lo, s28, v26
	v_add_nc_u32_e32 v32, s56, v48
	s_wait_alu 0xfffd
	v_add_co_ci_u32_e64 v27, null, s29, v27, vcc_lo
	v_add_co_u32 v28, vcc_lo, s28, v28
	v_add_nc_u32_e32 v34, s57, v48
	;; [unrolled: 4-line block ×3, first 2 shown]
	v_ashrrev_i32_e32 v33, 31, v32
	s_wait_alu 0xfffd
	v_add_co_ci_u32_e64 v31, null, s29, v31, vcc_lo
	s_clause 0x7
	global_load_b32 v58, v[20:21], off
	global_load_b32 v59, v[16:17], off
	;; [unrolled: 1-line block ×8, first 2 shown]
	v_add_nc_u32_e32 v18, s59, v48
	v_ashrrev_i32_e32 v35, 31, v34
	v_add_nc_u32_e32 v24, s60, v48
	v_ashrrev_i32_e32 v37, 31, v36
	v_lshlrev_b64_e32 v[32:33], 2, v[32:33]
	v_add_nc_u32_e32 v26, s61, v48
	v_ashrrev_i32_e32 v19, 31, v18
	v_lshlrev_b64_e32 v[16:17], 2, v[34:35]
	;; [unrolled: 3-line block ×3, first 2 shown]
	v_add_nc_u32_e32 v30, s63, v48
	v_ashrrev_i32_e32 v27, 31, v26
	v_add_co_u32 v20, vcc_lo, s28, v32
	v_lshlrev_b64_e32 v[18:19], 2, v[18:19]
	v_ashrrev_i32_e32 v29, 31, v28
	s_wait_alu 0xfffd
	v_add_co_ci_u32_e64 v21, null, s29, v33, vcc_lo
	v_add_co_u32 v16, vcc_lo, s28, v16
	v_lshlrev_b64_e32 v[24:25], 2, v[24:25]
	v_ashrrev_i32_e32 v31, 31, v30
	s_wait_alu 0xfffd
	v_add_co_ci_u32_e64 v17, null, s29, v17, vcc_lo
	v_add_co_u32 v22, vcc_lo, s28, v22
	v_lshlrev_b64_e32 v[26:27], 2, v[26:27]
	s_wait_alu 0xfffd
	v_add_co_ci_u32_e64 v23, null, s29, v23, vcc_lo
	v_add_co_u32 v18, vcc_lo, s28, v18
	v_lshlrev_b64_e32 v[28:29], 2, v[28:29]
	;; [unrolled: 4-line block ×3, first 2 shown]
	s_wait_alu 0xfffd
	v_add_co_ci_u32_e64 v25, null, s29, v25, vcc_lo
	v_add_co_u32 v26, vcc_lo, s28, v26
	v_add_nc_u32_e32 v32, s64, v48
	s_wait_alu 0xfffd
	v_add_co_ci_u32_e64 v27, null, s29, v27, vcc_lo
	v_add_co_u32 v28, vcc_lo, s28, v28
	v_add_nc_u32_e32 v34, s65, v48
	;; [unrolled: 4-line block ×3, first 2 shown]
	v_ashrrev_i32_e32 v33, 31, v32
	s_wait_alu 0xfffd
	v_add_co_ci_u32_e64 v31, null, s29, v31, vcc_lo
	s_clause 0x7
	global_load_b32 v66, v[20:21], off
	global_load_b32 v67, v[16:17], off
	;; [unrolled: 1-line block ×8, first 2 shown]
	v_add_nc_u32_e32 v18, s67, v48
	v_ashrrev_i32_e32 v35, 31, v34
	v_add_nc_u32_e32 v24, s68, v48
	v_ashrrev_i32_e32 v37, 31, v36
	v_lshlrev_b64_e32 v[32:33], 2, v[32:33]
	v_add_nc_u32_e32 v26, s7, v48
	v_ashrrev_i32_e32 v19, 31, v18
	v_lshlrev_b64_e32 v[16:17], 2, v[34:35]
	v_ashrrev_i32_e32 v25, 31, v24
	v_lshlrev_b64_e32 v[22:23], 2, v[36:37]
	v_ashrrev_i32_e32 v27, 31, v26
	v_add_co_u32 v20, vcc_lo, s28, v32
	v_lshlrev_b64_e32 v[18:19], 2, v[18:19]
	s_wait_alu 0xfffd
	v_add_co_ci_u32_e64 v21, null, s29, v33, vcc_lo
	v_add_co_u32 v16, vcc_lo, s28, v16
	v_lshlrev_b64_e32 v[24:25], 2, v[24:25]
	s_wait_alu 0xfffd
	v_add_co_ci_u32_e64 v17, null, s29, v17, vcc_lo
	;; [unrolled: 4-line block ×3, first 2 shown]
	v_add_co_u32 v18, vcc_lo, s28, v18
	s_wait_alu 0xfffd
	v_add_co_ci_u32_e64 v19, null, s29, v19, vcc_lo
	v_add_co_u32 v24, vcc_lo, s28, v24
	s_wait_alu 0xfffd
	v_add_co_ci_u32_e64 v25, null, s29, v25, vcc_lo
	;; [unrolled: 3-line block ×3, first 2 shown]
	s_clause 0x5
	global_load_b32 v20, v[20:21], off
	global_load_b32 v21, v[16:17], off
	;; [unrolled: 1-line block ×6, first 2 shown]
	s_and_not1_b32 vcc_lo, exec_lo, s16
	s_wait_loadcnt 0x1f
	ds_store_b32 v55, v38
	s_wait_loadcnt 0x1e
	ds_store_b32 v55, v39 offset:144
	s_wait_loadcnt 0x1d
	ds_store_b32 v55, v40 offset:288
	;; [unrolled: 2-line block ×15, first 2 shown]
	ds_load_b128 v[32:35], v56
	ds_load_b128 v[28:31], v56 offset:32
	ds_load_b128 v[24:27], v56 offset:64
	;; [unrolled: 1-line block ×3, first 2 shown]
	s_wait_loadcnt 0xf
	ds_store_b32 v55, v64
	s_wait_loadcnt 0xe
	ds_store_b32 v55, v65 offset:144
	s_wait_loadcnt 0xd
	ds_store_b32 v55, v66 offset:288
	;; [unrolled: 2-line block ×15, first 2 shown]
	ds_load_b128 v[44:47], v56
	ds_load_b128 v[40:43], v56 offset:32
	ds_load_b128 v[36:39], v56 offset:64
	;; [unrolled: 1-line block ×3, first 2 shown]
	v_dual_mov_b32 v59, 0 :: v_dual_mov_b32 v58, 0
	s_wait_alu 0xfffe
	s_cbranch_vccnz .LBB57_9
; %bb.7:                                ;   in Loop: Header=BB57_6 Depth=1
	s_load_b32 s2, s[30:31], 0x0
	v_dual_mov_b32 v58, 0 :: v_dual_mov_b32 v59, 0
	s_wait_kmcnt 0x0
	s_mul_u64 s[70:71], s[2:3], s[34:35]
	s_wait_alu 0xfffe
	s_add_co_i32 s70, s2, s71
	s_wait_alu 0xfffe
	s_lshr_b32 s70, s70, s9
	s_wait_alu 0xfffe
	s_cmp_ge_i32 s70, s5
	s_cbranch_scc1 .LBB57_9
; %bb.8:                                ;   in Loop: Header=BB57_6 Depth=1
	v_mad_co_u64_u32 v[58:59], null, s70, s20, v[48:49]
	s_mul_i32 s70, s70, s10
	s_wait_alu 0xfffe
	s_sub_co_i32 s2, s2, s70
	s_wait_alu 0xfffe
	s_mul_i32 s2, s2, s17
	s_wait_alu 0xfffe
	v_lshl_add_u32 v58, v58, 1, s2
	s_delay_alu instid0(VALU_DEP_1) | instskip(NEXT) | instid1(VALU_DEP_1)
	v_ashrrev_i32_e32 v59, 31, v58
	v_lshlrev_b64_e32 v[58:59], 2, v[58:59]
	s_delay_alu instid0(VALU_DEP_1) | instskip(SKIP_1) | instid1(VALU_DEP_2)
	v_add_co_u32 v58, vcc_lo, s14, v58
	s_wait_alu 0xfffd
	v_add_co_ci_u32_e64 v59, null, s15, v59, vcc_lo
	global_load_b64 v[58:59], v[58:59], off
	s_wait_loadcnt 0x0
	v_bfe_u32 v60, v58, 16, 1
	v_bfe_u32 v61, v59, 16, 1
	v_or_b32_e32 v62, 0x400000, v58
	v_cmp_u_f32_e32 vcc_lo, v58, v58
	v_or_b32_e32 v63, 0x400000, v59
	v_add3_u32 v60, v60, v58, 0x7fff
	v_add3_u32 v61, v61, v59, 0x7fff
	s_wait_alu 0xfffd
	s_delay_alu instid0(VALU_DEP_2) | instskip(SKIP_1) | instid1(VALU_DEP_2)
	v_cndmask_b32_e32 v58, v60, v62, vcc_lo
	v_cmp_u_f32_e32 vcc_lo, v59, v59
	v_lshrrev_b32_e32 v59, 16, v58
	s_wait_alu 0xfffd
	v_cndmask_b32_e32 v60, v61, v63, vcc_lo
	s_delay_alu instid0(VALU_DEP_1)
	v_lshrrev_b32_e32 v58, 16, v60
.LBB57_9:                               ;   in Loop: Header=BB57_6 Depth=1
	v_dual_mov_b32 v60, 0 :: v_dual_mov_b32 v61, 0
	v_mov_b32_e32 v62, 0
	s_and_not1_b32 vcc_lo, exec_lo, s38
	s_wait_alu 0xfffe
	s_cbranch_vccnz .LBB57_12
; %bb.10:                               ;   in Loop: Header=BB57_6 Depth=1
	s_load_b32 s2, s[30:31], 0x4
	v_dual_mov_b32 v61, 0 :: v_dual_mov_b32 v62, 0
	s_wait_kmcnt 0x0
	s_mul_u64 s[70:71], s[2:3], s[34:35]
	s_wait_alu 0xfffe
	s_add_co_i32 s70, s2, s71
	s_wait_alu 0xfffe
	s_lshr_b32 s70, s70, s9
	s_wait_alu 0xfffe
	s_cmp_ge_i32 s70, s5
	s_cbranch_scc1 .LBB57_12
; %bb.11:                               ;   in Loop: Header=BB57_6 Depth=1
	v_mad_co_u64_u32 v[61:62], null, s70, s20, v[48:49]
	s_mul_i32 s70, s70, s10
	s_wait_alu 0xfffe
	s_sub_co_i32 s2, s2, s70
	s_wait_alu 0xfffe
	s_mul_i32 s2, s2, s17
	s_wait_alu 0xfffe
	v_lshl_add_u32 v61, v61, 1, s2
	s_delay_alu instid0(VALU_DEP_1) | instskip(NEXT) | instid1(VALU_DEP_1)
	v_ashrrev_i32_e32 v62, 31, v61
	v_lshlrev_b64_e32 v[61:62], 2, v[61:62]
	s_delay_alu instid0(VALU_DEP_1) | instskip(SKIP_1) | instid1(VALU_DEP_2)
	v_add_co_u32 v61, vcc_lo, s14, v61
	s_wait_alu 0xfffd
	v_add_co_ci_u32_e64 v62, null, s15, v62, vcc_lo
	global_load_b64 v[61:62], v[61:62], off
	s_wait_loadcnt 0x0
	v_bfe_u32 v63, v61, 16, 1
	v_bfe_u32 v64, v62, 16, 1
	v_or_b32_e32 v65, 0x400000, v61
	v_cmp_u_f32_e32 vcc_lo, v61, v61
	v_or_b32_e32 v66, 0x400000, v62
	v_add3_u32 v63, v63, v61, 0x7fff
	v_add3_u32 v64, v64, v62, 0x7fff
	s_wait_alu 0xfffd
	s_delay_alu instid0(VALU_DEP_2) | instskip(SKIP_1) | instid1(VALU_DEP_2)
	v_cndmask_b32_e32 v61, v63, v65, vcc_lo
	v_cmp_u_f32_e32 vcc_lo, v62, v62
	v_lshrrev_b32_e32 v62, 16, v61
	s_wait_alu 0xfffd
	v_cndmask_b32_e32 v63, v64, v66, vcc_lo
	s_delay_alu instid0(VALU_DEP_1)
	v_lshrrev_b32_e32 v61, 16, v63
.LBB57_12:                              ;   in Loop: Header=BB57_6 Depth=1
	v_mov_b32_e32 v63, 0
	s_and_not1_b32 vcc_lo, exec_lo, s39
	s_wait_alu 0xfffe
	s_cbranch_vccnz .LBB57_15
; %bb.13:                               ;   in Loop: Header=BB57_6 Depth=1
	s_load_b32 s2, s[30:31], 0x8
	v_dual_mov_b32 v63, 0 :: v_dual_mov_b32 v60, 0
	s_wait_kmcnt 0x0
	s_mul_u64 s[70:71], s[2:3], s[34:35]
	s_wait_alu 0xfffe
	s_add_co_i32 s70, s2, s71
	s_wait_alu 0xfffe
	s_lshr_b32 s70, s70, s9
	s_wait_alu 0xfffe
	s_cmp_ge_i32 s70, s5
	s_cbranch_scc1 .LBB57_15
; %bb.14:                               ;   in Loop: Header=BB57_6 Depth=1
	v_mad_co_u64_u32 v[63:64], null, s70, s20, v[48:49]
	s_mul_i32 s70, s70, s10
	s_wait_alu 0xfffe
	s_sub_co_i32 s2, s2, s70
	s_wait_alu 0xfffe
	s_mul_i32 s2, s2, s17
	s_wait_alu 0xfffe
	v_lshl_add_u32 v63, v63, 1, s2
	s_delay_alu instid0(VALU_DEP_1) | instskip(NEXT) | instid1(VALU_DEP_1)
	v_ashrrev_i32_e32 v64, 31, v63
	v_lshlrev_b64_e32 v[63:64], 2, v[63:64]
	s_delay_alu instid0(VALU_DEP_1) | instskip(SKIP_1) | instid1(VALU_DEP_2)
	v_add_co_u32 v63, vcc_lo, s14, v63
	s_wait_alu 0xfffd
	v_add_co_ci_u32_e64 v64, null, s15, v64, vcc_lo
	global_load_b64 v[63:64], v[63:64], off
	s_wait_loadcnt 0x0
	v_bfe_u32 v60, v63, 16, 1
	v_bfe_u32 v65, v64, 16, 1
	v_or_b32_e32 v66, 0x400000, v63
	v_cmp_u_f32_e32 vcc_lo, v63, v63
	v_or_b32_e32 v67, 0x400000, v64
	v_add3_u32 v60, v60, v63, 0x7fff
	v_add3_u32 v65, v65, v64, 0x7fff
	s_wait_alu 0xfffd
	s_delay_alu instid0(VALU_DEP_2) | instskip(SKIP_3) | instid1(VALU_DEP_3)
	v_cndmask_b32_e32 v60, v60, v66, vcc_lo
	v_cmp_u_f32_e32 vcc_lo, v64, v64
	s_wait_alu 0xfffd
	v_cndmask_b32_e32 v63, v65, v67, vcc_lo
	v_lshrrev_b32_e32 v60, 16, v60
	s_delay_alu instid0(VALU_DEP_2)
	v_lshrrev_b32_e32 v63, 16, v63
.LBB57_15:                              ;   in Loop: Header=BB57_6 Depth=1
	v_dual_mov_b32 v64, 0 :: v_dual_mov_b32 v65, 0
	s_and_not1_b32 vcc_lo, exec_lo, s8
	s_wait_alu 0xfffe
	s_cbranch_vccnz .LBB57_5
; %bb.16:                               ;   in Loop: Header=BB57_6 Depth=1
	s_load_b32 s2, s[30:31], 0xc
	v_dual_mov_b32 v65, 0 :: v_dual_mov_b32 v64, 0
	s_wait_kmcnt 0x0
	s_mul_u64 s[70:71], s[2:3], s[34:35]
	s_wait_alu 0xfffe
	s_add_co_i32 s70, s2, s71
	s_wait_alu 0xfffe
	s_lshr_b32 s70, s70, s9
	s_wait_alu 0xfffe
	s_cmp_ge_i32 s70, s5
	s_cbranch_scc1 .LBB57_5
; %bb.17:                               ;   in Loop: Header=BB57_6 Depth=1
	v_mad_co_u64_u32 v[64:65], null, s70, s20, v[48:49]
	s_mul_i32 s70, s70, s10
	s_wait_alu 0xfffe
	s_sub_co_i32 s2, s2, s70
	s_wait_alu 0xfffe
	s_mul_i32 s2, s2, s17
	s_wait_alu 0xfffe
	v_lshl_add_u32 v64, v64, 1, s2
	s_delay_alu instid0(VALU_DEP_1) | instskip(NEXT) | instid1(VALU_DEP_1)
	v_ashrrev_i32_e32 v65, 31, v64
	v_lshlrev_b64_e32 v[64:65], 2, v[64:65]
	s_delay_alu instid0(VALU_DEP_1) | instskip(SKIP_1) | instid1(VALU_DEP_2)
	v_add_co_u32 v64, vcc_lo, s14, v64
	s_wait_alu 0xfffd
	v_add_co_ci_u32_e64 v65, null, s15, v65, vcc_lo
	global_load_b64 v[64:65], v[64:65], off
	s_wait_loadcnt 0x0
	v_bfe_u32 v66, v64, 16, 1
	v_bfe_u32 v67, v65, 16, 1
	v_or_b32_e32 v68, 0x400000, v64
	v_cmp_u_f32_e32 vcc_lo, v64, v64
	v_or_b32_e32 v69, 0x400000, v65
	v_add3_u32 v66, v66, v64, 0x7fff
	v_add3_u32 v67, v67, v65, 0x7fff
	s_wait_alu 0xfffd
	s_delay_alu instid0(VALU_DEP_2) | instskip(SKIP_3) | instid1(VALU_DEP_3)
	v_cndmask_b32_e32 v64, v66, v68, vcc_lo
	v_cmp_u_f32_e32 vcc_lo, v65, v65
	s_wait_alu 0xfffd
	v_cndmask_b32_e32 v65, v67, v69, vcc_lo
	v_lshrrev_b32_e32 v64, 16, v64
	s_delay_alu instid0(VALU_DEP_2)
	v_lshrrev_b32_e32 v65, 16, v65
	s_branch .LBB57_5
.LBB57_18:
	s_or_b32 exec_lo, exec_lo, s69
.LBB57_19:
	s_delay_alu instid0(SALU_CYCLE_1) | instskip(SKIP_4) | instid1(VALU_DEP_3)
	s_or_b32 exec_lo, exec_lo, s37
	v_lshlrev_b32_e32 v16, 1, v52
	s_load_b64 s[0:1], s[0:1], 0x18
	v_lshl_add_u32 v17, v53, 2, 0
	v_mul_u32_u24_e32 v18, 0x190, v54
	v_and_b32_e32 v16, 0x7e0, v16
	s_barrier_signal -1
	s_barrier_wait -1
	global_inv scope:SCOPE_SE
	s_lshl_b64 s[8:9], s[26:27], 2
	v_add3_u32 v16, v17, v18, v16
	s_cmp_gt_i32 s6, 0
	s_mov_b32 s3, 0
	s_mov_b32 s2, s11
	ds_store_2addr_b32 v16, v8, v9 offset1:1
	ds_store_2addr_b32 v16, v10, v11 offset0:2 offset1:3
	ds_store_2addr_b32 v16, v12, v13 offset0:4 offset1:5
	ds_store_2addr_b32 v16, v14, v15 offset0:6 offset1:7
	ds_store_2addr_b32 v16, v0, v1 offset0:16 offset1:17
	ds_store_2addr_b32 v16, v2, v3 offset0:18 offset1:19
	ds_store_2addr_b32 v16, v4, v5 offset0:20 offset1:21
	ds_store_2addr_b32 v16, v6, v7 offset0:22 offset1:23
	v_add_nc_u32_e32 v0, s33, v51
	v_lshl_add_u32 v3, v52, 2, 0
	v_add_nc_u32_e32 v2, s36, v52
	s_wait_loadcnt_dscnt 0x0
	s_barrier_signal -1
	v_cmp_gt_i32_e32 vcc_lo, s19, v0
	s_wait_kmcnt 0x0
	s_add_nc_u64 s[8:9], s[0:1], s[8:9]
	v_cmp_gt_u32_e64 s0, 4, v51
	s_cselect_b32 s1, -1, 0
	s_barrier_wait -1
	s_and_b32 s4, s1, vcc_lo
	global_inv scope:SCOPE_SE
	s_wait_alu 0xfffe
	s_and_b32 s4, s0, s4
	s_wait_alu 0xfffe
	s_and_saveexec_b32 s0, s4
	s_cbranch_execz .LBB57_22
; %bb.20:
	v_ashrrev_i32_e32 v1, 31, v0
	s_delay_alu instid0(VALU_DEP_1) | instskip(NEXT) | instid1(VALU_DEP_1)
	v_lshlrev_b64_e32 v[0:1], 2, v[0:1]
	v_add_co_u32 v0, vcc_lo, s8, v0
	s_wait_alu 0xfffd
	s_delay_alu instid0(VALU_DEP_2) | instskip(SKIP_3) | instid1(VALU_DEP_1)
	v_add_co_ci_u32_e64 v1, null, s9, v1, vcc_lo
	global_load_b32 v0, v[0:1], off
	s_wait_loadcnt 0x0
	v_mul_hi_u32 v1, v0, s2
	v_add_nc_u32_e32 v1, v0, v1
	s_delay_alu instid0(VALU_DEP_1) | instskip(NEXT) | instid1(VALU_DEP_1)
	v_lshrrev_b32_e32 v1, s22, v1
	v_cmp_gt_i32_e32 vcc_lo, s5, v1
	s_and_b32 exec_lo, exec_lo, vcc_lo
	s_cbranch_execz .LBB57_22
; %bb.21:
	v_mad_u32_u24 v6, 0x190, v51, v3
	v_mul_lo_u32 v7, v1, s23
	ds_load_2addr_b32 v[4:5], v6 offset1:32
	ds_load_b32 v6, v6 offset:256
	v_sub_nc_u32_e32 v0, v0, v7
	v_mul_lo_u32 v7, v1, s21
	v_mov_b32_e32 v1, 0
	s_delay_alu instid0(VALU_DEP_3) | instskip(NEXT) | instid1(VALU_DEP_1)
	v_mul_lo_u32 v0, v0, s18
	v_add3_u32 v0, v2, v7, v0
	s_wait_dscnt 0x1
	v_add_f32_e32 v4, 0, v4
	s_delay_alu instid0(VALU_DEP_2) | instskip(NEXT) | instid1(VALU_DEP_2)
	v_lshlrev_b64_e32 v[0:1], 2, v[0:1]
	v_add_f32_e32 v4, v4, v5
	s_delay_alu instid0(VALU_DEP_2) | instskip(SKIP_1) | instid1(VALU_DEP_2)
	v_add_co_u32 v0, vcc_lo, s24, v0
	s_wait_dscnt 0x0
	v_add_f32_e32 v4, v4, v6
	s_wait_alu 0xfffd
	v_add_co_ci_u32_e64 v1, null, s25, v1, vcc_lo
	global_store_b32 v[0:1], v4, off
.LBB57_22:
	s_or_b32 exec_lo, exec_lo, s0
	s_delay_alu instid0(SALU_CYCLE_1)
	s_mov_b32 s0, exec_lo
	v_cmpx_eq_u32_e32 0, v51
	s_cbranch_execz .LBB57_26
; %bb.23:
	s_or_b32 s0, s33, 3
	s_delay_alu instid0(SALU_CYCLE_1) | instskip(SKIP_2) | instid1(SALU_CYCLE_1)
	s_cmp_ge_i32 s0, s19
	s_cselect_b32 s0, -1, 0
	s_xor_b32 s1, s1, -1
	s_or_b32 s0, s1, s0
	s_delay_alu instid0(SALU_CYCLE_1)
	s_and_b32 vcc_lo, exec_lo, s0
	s_wait_alu 0xfffe
	s_cbranch_vccnz .LBB57_26
; %bb.24:
	s_lshl_b32 s0, s33, 2
	s_mov_b32 s1, 0
	s_load_b32 s0, s[8:9], s0 offset:0xc
	s_wait_kmcnt 0x0
	s_mul_u64 s[2:3], s[0:1], s[2:3]
	s_wait_alu 0xfffe
	s_add_co_i32 s1, s0, s3
	s_delay_alu instid0(SALU_CYCLE_1) | instskip(NEXT) | instid1(SALU_CYCLE_1)
	s_lshr_b32 s1, s1, s22
	s_cmp_ge_i32 s1, s5
	s_cbranch_scc1 .LBB57_26
; %bb.25:
	v_add_nc_u32_e32 v0, 0x400, v3
	s_mul_i32 s2, s1, s23
	s_mul_i32 s1, s1, s21
	s_wait_alu 0xfffe
	s_sub_co_i32 s0, s0, s2
	ds_load_2addr_b32 v[0:1], v0 offset0:44 offset1:76
	ds_load_b32 v4, v3 offset:1456
	s_mul_i32 s0, s0, s18
	v_mov_b32_e32 v3, 0
	v_add3_u32 v2, s0, s1, v2
	s_wait_dscnt 0x1
	v_add_f32_e32 v0, 0, v0
	s_delay_alu instid0(VALU_DEP_1) | instskip(NEXT) | instid1(VALU_DEP_3)
	v_add_f32_e32 v5, v0, v1
	v_lshlrev_b64_e32 v[0:1], 2, v[2:3]
	s_wait_dscnt 0x0
	s_delay_alu instid0(VALU_DEP_2) | instskip(NEXT) | instid1(VALU_DEP_2)
	v_add_f32_e32 v2, v5, v4
	v_add_co_u32 v0, vcc_lo, s24, v0
	s_wait_alu 0xfffd
	s_delay_alu instid0(VALU_DEP_3)
	v_add_co_ci_u32_e64 v1, null, s25, v1, vcc_lo
	global_store_b32 v[0:1], v2, off
.LBB57_26:
	s_endpgm
	.section	.rodata,"a",@progbits
	.p2align	6, 0x0
	.amdhsa_kernel _ZL13mul_mat_f_idsI15__hip_bfloat162Li32ELi4ELi3EEvPKT_PKfPKiS7_S7_Pfiiiiiiiiiiiiii15HIP_vector_typeIjLj3EESA_
		.amdhsa_group_segment_fixed_size 0
		.amdhsa_private_segment_fixed_size 0
		.amdhsa_kernarg_size 128
		.amdhsa_user_sgpr_count 2
		.amdhsa_user_sgpr_dispatch_ptr 0
		.amdhsa_user_sgpr_queue_ptr 0
		.amdhsa_user_sgpr_kernarg_segment_ptr 1
		.amdhsa_user_sgpr_dispatch_id 0
		.amdhsa_user_sgpr_private_segment_size 0
		.amdhsa_wavefront_size32 1
		.amdhsa_uses_dynamic_stack 0
		.amdhsa_enable_private_segment 0
		.amdhsa_system_sgpr_workgroup_id_x 1
		.amdhsa_system_sgpr_workgroup_id_y 1
		.amdhsa_system_sgpr_workgroup_id_z 1
		.amdhsa_system_sgpr_workgroup_info 0
		.amdhsa_system_vgpr_workitem_id 1
		.amdhsa_next_free_vgpr 74
		.amdhsa_next_free_sgpr 74
		.amdhsa_reserve_vcc 1
		.amdhsa_float_round_mode_32 0
		.amdhsa_float_round_mode_16_64 0
		.amdhsa_float_denorm_mode_32 3
		.amdhsa_float_denorm_mode_16_64 3
		.amdhsa_fp16_overflow 0
		.amdhsa_workgroup_processor_mode 1
		.amdhsa_memory_ordered 1
		.amdhsa_forward_progress 1
		.amdhsa_inst_pref_size 37
		.amdhsa_round_robin_scheduling 0
		.amdhsa_exception_fp_ieee_invalid_op 0
		.amdhsa_exception_fp_denorm_src 0
		.amdhsa_exception_fp_ieee_div_zero 0
		.amdhsa_exception_fp_ieee_overflow 0
		.amdhsa_exception_fp_ieee_underflow 0
		.amdhsa_exception_fp_ieee_inexact 0
		.amdhsa_exception_int_div_zero 0
	.end_amdhsa_kernel
	.section	.text._ZL13mul_mat_f_idsI15__hip_bfloat162Li32ELi4ELi3EEvPKT_PKfPKiS7_S7_Pfiiiiiiiiiiiiii15HIP_vector_typeIjLj3EESA_,"axG",@progbits,_ZL13mul_mat_f_idsI15__hip_bfloat162Li32ELi4ELi3EEvPKT_PKfPKiS7_S7_Pfiiiiiiiiiiiiii15HIP_vector_typeIjLj3EESA_,comdat
.Lfunc_end57:
	.size	_ZL13mul_mat_f_idsI15__hip_bfloat162Li32ELi4ELi3EEvPKT_PKfPKiS7_S7_Pfiiiiiiiiiiiiii15HIP_vector_typeIjLj3EESA_, .Lfunc_end57-_ZL13mul_mat_f_idsI15__hip_bfloat162Li32ELi4ELi3EEvPKT_PKfPKiS7_S7_Pfiiiiiiiiiiiiii15HIP_vector_typeIjLj3EESA_
                                        ; -- End function
	.set _ZL13mul_mat_f_idsI15__hip_bfloat162Li32ELi4ELi3EEvPKT_PKfPKiS7_S7_Pfiiiiiiiiiiiiii15HIP_vector_typeIjLj3EESA_.num_vgpr, 74
	.set _ZL13mul_mat_f_idsI15__hip_bfloat162Li32ELi4ELi3EEvPKT_PKfPKiS7_S7_Pfiiiiiiiiiiiiii15HIP_vector_typeIjLj3EESA_.num_agpr, 0
	.set _ZL13mul_mat_f_idsI15__hip_bfloat162Li32ELi4ELi3EEvPKT_PKfPKiS7_S7_Pfiiiiiiiiiiiiii15HIP_vector_typeIjLj3EESA_.numbered_sgpr, 74
	.set _ZL13mul_mat_f_idsI15__hip_bfloat162Li32ELi4ELi3EEvPKT_PKfPKiS7_S7_Pfiiiiiiiiiiiiii15HIP_vector_typeIjLj3EESA_.num_named_barrier, 0
	.set _ZL13mul_mat_f_idsI15__hip_bfloat162Li32ELi4ELi3EEvPKT_PKfPKiS7_S7_Pfiiiiiiiiiiiiii15HIP_vector_typeIjLj3EESA_.private_seg_size, 0
	.set _ZL13mul_mat_f_idsI15__hip_bfloat162Li32ELi4ELi3EEvPKT_PKfPKiS7_S7_Pfiiiiiiiiiiiiii15HIP_vector_typeIjLj3EESA_.uses_vcc, 1
	.set _ZL13mul_mat_f_idsI15__hip_bfloat162Li32ELi4ELi3EEvPKT_PKfPKiS7_S7_Pfiiiiiiiiiiiiii15HIP_vector_typeIjLj3EESA_.uses_flat_scratch, 0
	.set _ZL13mul_mat_f_idsI15__hip_bfloat162Li32ELi4ELi3EEvPKT_PKfPKiS7_S7_Pfiiiiiiiiiiiiii15HIP_vector_typeIjLj3EESA_.has_dyn_sized_stack, 0
	.set _ZL13mul_mat_f_idsI15__hip_bfloat162Li32ELi4ELi3EEvPKT_PKfPKiS7_S7_Pfiiiiiiiiiiiiii15HIP_vector_typeIjLj3EESA_.has_recursion, 0
	.set _ZL13mul_mat_f_idsI15__hip_bfloat162Li32ELi4ELi3EEvPKT_PKfPKiS7_S7_Pfiiiiiiiiiiiiii15HIP_vector_typeIjLj3EESA_.has_indirect_call, 0
	.section	.AMDGPU.csdata,"",@progbits
; Kernel info:
; codeLenInByte = 4628
; TotalNumSgprs: 76
; NumVgprs: 74
; ScratchSize: 0
; MemoryBound: 0
; FloatMode: 240
; IeeeMode: 1
; LDSByteSize: 0 bytes/workgroup (compile time only)
; SGPRBlocks: 0
; VGPRBlocks: 9
; NumSGPRsForWavesPerEU: 76
; NumVGPRsForWavesPerEU: 74
; Occupancy: 16
; WaveLimiterHint : 1
; COMPUTE_PGM_RSRC2:SCRATCH_EN: 0
; COMPUTE_PGM_RSRC2:USER_SGPR: 2
; COMPUTE_PGM_RSRC2:TRAP_HANDLER: 0
; COMPUTE_PGM_RSRC2:TGID_X_EN: 1
; COMPUTE_PGM_RSRC2:TGID_Y_EN: 1
; COMPUTE_PGM_RSRC2:TGID_Z_EN: 1
; COMPUTE_PGM_RSRC2:TIDIG_COMP_CNT: 1
	.section	.text._ZL9mul_mat_fI15__hip_bfloat162Li32ELi4ELi3ELb1EEvPKT_PKfPKiPfiiiiiiiiiiiiiiii,"axG",@progbits,_ZL9mul_mat_fI15__hip_bfloat162Li32ELi4ELi3ELb1EEvPKT_PKfPKiPfiiiiiiiiiiiiiiii,comdat
	.globl	_ZL9mul_mat_fI15__hip_bfloat162Li32ELi4ELi3ELb1EEvPKT_PKfPKiPfiiiiiiiiiiiiiiii ; -- Begin function _ZL9mul_mat_fI15__hip_bfloat162Li32ELi4ELi3ELb1EEvPKT_PKfPKiPfiiiiiiiiiiiiiiii
	.p2align	8
	.type	_ZL9mul_mat_fI15__hip_bfloat162Li32ELi4ELi3ELb1EEvPKT_PKfPKiPfiiiiiiiiiiiiiiii,@function
_ZL9mul_mat_fI15__hip_bfloat162Li32ELi4ELi3ELb1EEvPKT_PKfPKiPfiiiiiiiiiiiiiiii: ; @_ZL9mul_mat_fI15__hip_bfloat162Li32ELi4ELi3ELb1EEvPKT_PKfPKiPfiiiiiiiiiiiiiiii
; %bb.0:
	s_clause 0x1
	s_load_b256 s[8:15], s[0:1], 0x20
	s_load_b128 s[16:19], s[0:1], 0x44
	v_and_b32_e32 v48, 0x3ff, v0
	s_mov_b32 s29, 0
	v_bfe_u32 v55, v0, 10, 10
	s_delay_alu instid0(VALU_DEP_2) | instskip(SKIP_2) | instid1(SALU_CYCLE_1)
	v_cmp_eq_u32_e32 vcc_lo, 0, v48
	s_wait_kmcnt 0x0
	s_add_co_i32 s2, s9, 3
	s_ashr_i32 s3, s2, 31
	s_delay_alu instid0(SALU_CYCLE_1) | instskip(NEXT) | instid1(SALU_CYCLE_1)
	s_lshr_b32 s3, s3, 30
	s_add_co_i32 s2, s2, s3
	s_delay_alu instid0(SALU_CYCLE_1) | instskip(NEXT) | instid1(SALU_CYCLE_1)
	s_ashr_i32 s2, s2, 2
	s_cvt_f32_u32 s3, s2
	s_sub_co_i32 s5, 0, s2
	s_delay_alu instid0(SALU_CYCLE_2) | instskip(SKIP_1) | instid1(TRANS32_DEP_1)
	v_rcp_iflag_f32_e32 v1, s3
	s_load_b32 s3, s[0:1], 0x64
	v_readfirstlane_b32 s4, v1
	s_mul_f32 s4, s4, 0x4f7ffffe
	s_delay_alu instid0(SALU_CYCLE_3) | instskip(NEXT) | instid1(SALU_CYCLE_3)
	s_cvt_u32_f32 s4, s4
	s_mul_i32 s5, s5, s4
	s_delay_alu instid0(SALU_CYCLE_1) | instskip(NEXT) | instid1(SALU_CYCLE_1)
	s_mul_hi_u32 s5, s4, s5
	s_add_co_i32 s4, s4, s5
	s_wait_kmcnt 0x0
	s_mul_hi_u32 s4, s3, s4
	s_delay_alu instid0(SALU_CYCLE_1) | instskip(NEXT) | instid1(SALU_CYCLE_1)
	s_mul_i32 s5, s4, s2
	s_sub_co_i32 s3, s3, s5
	s_add_co_i32 s5, s4, 1
	s_wait_alu 0xfffe
	s_sub_co_i32 s6, s3, s2
	s_cmp_ge_u32 s3, s2
	s_cselect_b32 s4, s5, s4
	s_cselect_b32 s3, s6, s3
	s_add_co_i32 s5, s4, 1
	s_wait_alu 0xfffe
	s_cmp_ge_u32 s3, s2
	s_load_b64 s[6:7], s[0:1], 0x10
	s_cselect_b32 s4, s5, s4
	s_abs_i32 s33, s19
	s_cvt_f32_u32 s2, s4
	s_sub_co_i32 s5, 0, s4
	s_and_b32 s28, ttmp7, 0xffff
	s_wait_alu 0xfffe
	v_rcp_iflag_f32_e32 v1, s2
	s_cvt_f32_u32 s2, s33
	s_delay_alu instid0(TRANS32_DEP_1) | instskip(SKIP_1) | instid1(SALU_CYCLE_1)
	v_readfirstlane_b32 s3, v1
	s_wait_alu 0xfffe
	v_rcp_iflag_f32_e32 v1, s2
	s_mul_f32 s2, s3, 0x4f7ffffe
	s_mov_b32 s3, s29
	s_wait_alu 0xfffe
	s_delay_alu instid0(SALU_CYCLE_1) | instskip(NEXT) | instid1(TRANS32_DEP_1)
	s_cvt_u32_f32 s2, s2
	v_readfirstlane_b32 s20, v1
	s_wait_alu 0xfffe
	s_delay_alu instid0(SALU_CYCLE_1) | instskip(NEXT) | instid1(SALU_CYCLE_1)
	s_mul_i32 s5, s5, s2
	s_mul_hi_u32 s5, s2, s5
	s_mul_f32 s20, s20, 0x4f7ffffe
	s_add_co_i32 s2, s2, s5
	s_wait_alu 0xfffe
	s_mul_u64 s[2:3], s[28:29], s[2:3]
	s_cvt_u32_f32 s23, s20
	s_sub_co_i32 s20, 0, s33
	s_and_saveexec_b32 s2, vcc_lo
; %bb.1:
	v_lshl_add_u32 v1, v55, 2, 0x100
	v_mov_b32_e32 v2, -1
	ds_store_b32 v1, v2
; %bb.2:
	s_wait_alu 0xfffe
	s_or_b32 exec_lo, exec_lo, s2
	s_mul_i32 s2, s3, s4
	s_add_co_i32 s5, s3, 1
	s_wait_alu 0xfffe
	s_sub_co_i32 s2, s28, s2
	v_mov_b32_e32 v3, 0
	s_wait_alu 0xfffe
	s_sub_co_i32 s21, s2, s4
	s_cmp_ge_u32 s2, s4
	s_mul_i32 s20, s20, s23
	s_cselect_b32 s3, s5, s3
	s_cselect_b32 s2, s21, s2
	s_wait_alu 0xfffe
	s_add_co_i32 s5, s3, 1
	s_cmp_ge_u32 s2, s4
	s_mov_b32 s2, s15
	s_cselect_b32 s5, s5, s3
	s_ashr_i32 s3, s15, 31
	s_lshl_b32 s24, s5, 2
	s_mul_i32 s5, s5, s4
	v_add_nc_u32_e32 v1, s24, v55
	s_ashr_i32 s25, s24, 31
	v_cmp_gt_i32_e64 s4, s10, v48
	s_wait_alu 0xfffe
	s_mul_u64 s[26:27], s[24:25], s[2:3]
	s_sub_co_i32 s36, s28, s5
	v_cmp_gt_i32_e64 s2, s9, v1
	s_lshl_b64 s[26:27], s[26:27], 2
	s_wait_kmcnt 0x0
	s_add_nc_u64 s[6:7], s[6:7], s[26:27]
	s_and_saveexec_b32 s21, s2
	s_cbranch_execz .LBB58_10
; %bb.3:
	v_mov_b32_e32 v3, 0
	s_and_saveexec_b32 s22, s4
	s_cbranch_execz .LBB58_9
; %bb.4:
	v_mul_lo_u32 v1, v55, s15
	v_lshl_add_u32 v4, v55, 2, 0x100
	v_mov_b32_e32 v3, 0
	v_mov_b32_e32 v7, v48
	s_lshl_b32 s27, s14, 5
	s_mov_b32 s26, 0
	s_delay_alu instid0(VALU_DEP_4) | instskip(NEXT) | instid1(VALU_DEP_1)
	v_ashrrev_i32_e32 v2, 31, v1
	v_lshlrev_b64_e32 v[5:6], 2, v[1:2]
	v_mul_lo_u32 v1, v48, s14
	s_delay_alu instid0(VALU_DEP_2) | instskip(SKIP_1) | instid1(VALU_DEP_3)
	v_add_co_u32 v5, s3, s6, v5
	s_wait_alu 0xf1ff
	v_add_co_ci_u32_e64 v6, null, s7, v6, s3
	s_branch .LBB58_6
.LBB58_5:                               ;   in Loop: Header=BB58_6 Depth=1
	s_or_b32 exec_lo, exec_lo, s28
	v_add_nc_u32_e32 v7, 32, v7
	s_xor_b32 s3, s3, -1
	v_add_nc_u32_e32 v1, s27, v1
	s_delay_alu instid0(VALU_DEP_2)
	v_cmp_le_i32_e64 s5, s10, v7
	s_wait_alu 0xfffe
	s_or_b32 s3, s3, s5
	s_wait_alu 0xfffe
	s_and_b32 s3, exec_lo, s3
	s_wait_alu 0xfffe
	s_or_b32 s26, s3, s26
	s_wait_alu 0xfffe
	s_and_not1_b32 exec_lo, exec_lo, s26
	s_cbranch_execz .LBB58_8
.LBB58_6:                               ; =>This Inner Loop Header: Depth=1
	s_delay_alu instid0(VALU_DEP_3) | instskip(SKIP_1) | instid1(VALU_DEP_1)
	v_ashrrev_i32_e32 v2, 31, v1
	s_mov_b32 s28, exec_lo
	v_lshlrev_b64_e32 v[8:9], 2, v[1:2]
	s_delay_alu instid0(VALU_DEP_1) | instskip(SKIP_1) | instid1(VALU_DEP_2)
	v_add_co_u32 v8, s3, v5, v8
	s_wait_alu 0xf1ff
	v_add_co_ci_u32_e64 v9, null, v6, v9, s3
	global_load_b32 v2, v[8:9], off
	s_wait_loadcnt 0x0
	v_cmp_ne_u32_e64 s3, s36, v2
	v_cmpx_eq_u32_e64 s36, v2
	s_cbranch_execz .LBB58_5
; %bb.7:                                ;   in Loop: Header=BB58_6 Depth=1
	v_mov_b32_e32 v3, 1
	ds_store_b32 v4, v7
	s_branch .LBB58_5
.LBB58_8:
	s_or_b32 exec_lo, exec_lo, s26
.LBB58_9:
	s_delay_alu instid0(SALU_CYCLE_1)
	s_or_b32 exec_lo, exec_lo, s22
.LBB58_10:
	s_delay_alu instid0(SALU_CYCLE_1)
	s_or_b32 exec_lo, exec_lo, s21
	s_lshr_b32 s26, ttmp7, 16
	s_mul_hi_u32 s5, s23, s20
	s_and_saveexec_b32 s3, vcc_lo
; %bb.11:
	v_lshl_add_u32 v1, v55, 2, 0x100
	v_mov_b32_e32 v2, -1
	ds_store_b32 v1, v2 offset:12
; %bb.12:
	s_wait_alu 0xfffe
	s_or_b32 exec_lo, exec_lo, s3
	s_load_b96 s[20:22], s[0:1], 0x54
	v_add_nc_u32_e32 v1, 3, v55
	s_abs_i32 s28, s26
	s_add_co_i32 s30, s23, s5
	s_add_nc_u64 s[34:35], s[0:1], 0x60
	s_delay_alu instid0(VALU_DEP_1) | instskip(NEXT) | instid1(VALU_DEP_1)
	v_add_nc_u32_e32 v2, s24, v1
	v_cmp_gt_i32_e64 s3, s9, v2
	s_and_saveexec_b32 s5, s3
	s_cbranch_execz .LBB58_20
; %bb.13:
	s_and_saveexec_b32 s23, s4
	s_cbranch_execz .LBB58_19
; %bb.14:
	v_mul_lo_u32 v1, v1, s15
	v_lshl_add_u32 v4, v55, 2, 0x100
	v_mov_b32_e32 v7, v48
	s_delay_alu instid0(VALU_DEP_3) | instskip(NEXT) | instid1(VALU_DEP_1)
	v_ashrrev_i32_e32 v2, 31, v1
	v_lshlrev_b64_e32 v[5:6], 2, v[1:2]
	v_mul_lo_u32 v1, v48, s14
	s_delay_alu instid0(VALU_DEP_2) | instskip(NEXT) | instid1(VALU_DEP_1)
	v_add_co_u32 v5, vcc_lo, s6, v5
	v_add_co_ci_u32_e64 v6, null, s7, v6, vcc_lo
	s_lshl_b32 s7, s14, 5
	s_mov_b32 s6, 0
	s_branch .LBB58_16
.LBB58_15:                              ;   in Loop: Header=BB58_16 Depth=1
	s_wait_alu 0xfffe
	s_or_b32 exec_lo, exec_lo, s14
	v_add_nc_u32_e32 v7, 32, v7
	s_xor_b32 s14, vcc_lo, -1
	v_add_nc_u32_e32 v1, s7, v1
	s_delay_alu instid0(VALU_DEP_2) | instskip(SKIP_2) | instid1(SALU_CYCLE_1)
	v_cmp_le_i32_e64 s4, s10, v7
	s_wait_alu 0xfffe
	s_or_b32 s4, s14, s4
	s_and_b32 s4, exec_lo, s4
	s_delay_alu instid0(SALU_CYCLE_1)
	s_or_b32 s6, s4, s6
	s_wait_alu 0xfffe
	s_and_not1_b32 exec_lo, exec_lo, s6
	s_cbranch_execz .LBB58_18
.LBB58_16:                              ; =>This Inner Loop Header: Depth=1
	v_ashrrev_i32_e32 v2, 31, v1
	s_mov_b32 s14, exec_lo
	s_delay_alu instid0(VALU_DEP_1) | instskip(NEXT) | instid1(VALU_DEP_1)
	v_lshlrev_b64_e32 v[8:9], 2, v[1:2]
	v_add_co_u32 v8, vcc_lo, v5, v8
	s_wait_alu 0xfffd
	s_delay_alu instid0(VALU_DEP_2)
	v_add_co_ci_u32_e64 v9, null, v6, v9, vcc_lo
	global_load_b32 v2, v[8:9], off
	s_wait_loadcnt 0x0
	v_cmp_ne_u32_e32 vcc_lo, s36, v2
	v_cmpx_eq_u32_e64 s36, v2
	s_cbranch_execz .LBB58_15
; %bb.17:                               ;   in Loop: Header=BB58_16 Depth=1
	v_mov_b32_e32 v3, 1
	ds_store_b32 v4, v7 offset:12
	s_branch .LBB58_15
.LBB58_18:
	s_or_b32 exec_lo, exec_lo, s6
.LBB58_19:
	s_delay_alu instid0(SALU_CYCLE_1)
	s_or_b32 exec_lo, exec_lo, s23
.LBB58_20:
	s_delay_alu instid0(SALU_CYCLE_1) | instskip(SKIP_3) | instid1(VALU_DEP_1)
	s_or_b32 exec_lo, exec_lo, s5
	v_or_b32_dpp v1, v3, v3 row_shl:1 row_mask:0xf bank_mask:0xf bound_ctrl:1
	s_load_b64 s[6:7], s[34:35], 0xc
	s_mov_b32 s31, s29
	v_or_b32_dpp v1, v1, v1 row_shl:2 row_mask:0xf bank_mask:0xf bound_ctrl:1
	s_delay_alu instid0(VALU_DEP_1) | instskip(NEXT) | instid1(VALU_DEP_1)
	v_or_b32_dpp v1, v1, v1 row_shl:4 row_mask:0xf bank_mask:0xf bound_ctrl:1
	v_or_b32_dpp v1, v1, v1 row_shl:8 row_mask:0xf bank_mask:0xf bound_ctrl:1
	s_delay_alu instid0(VALU_DEP_1)
	v_mov_b32_dpp v1, v1 row_share:0 row_mask:0xf bank_mask:0xf bound_ctrl:1
	s_wait_kmcnt 0x0
	s_lshr_b32 s5, s6, 16
	s_and_b32 s4, s6, 0xffff
	s_and_b32 s7, s7, 0xffff
	s_mul_i32 s6, s5, s4
	v_permlanex16_b32 v2, v1, 0, 0 op_sel:[0,1]
	s_wait_alu 0xfffe
	s_bfe_i32 s6, s6, 0x180000
	s_wait_alu 0xfffe
	s_mul_i32 s6, s6, s7
	s_wait_alu 0xfffe
	s_add_co_i32 s6, s6, 31
	v_or_b32_e32 v2, v2, v1
	s_wait_alu 0xfffe
	s_and_not1_b32 s6, s6, 31
	s_wait_alu 0xfffe
	s_cmp_lg_u32 s6, 32
	s_cbranch_scc0 .LBB58_29
; %bb.21:
	v_bfe_u32 v0, v0, 20, 10
	s_delay_alu instid0(VALU_DEP_1) | instskip(NEXT) | instid1(VALU_DEP_1)
	v_mad_u32_u24 v0, v0, s5, v55
	v_mad_co_u64_u32 v[0:1], null, v0, s4, v[48:49]
	v_mbcnt_lo_u32_b32 v1, -1, 0
	s_mov_b32 s4, exec_lo
	s_delay_alu instid0(VALU_DEP_2) | instskip(NEXT) | instid1(VALU_DEP_1)
	v_lshrrev_b32_e32 v3, 5, v0
	v_or_b32_e32 v3, v1, v3
	s_delay_alu instid0(VALU_DEP_1)
	v_cmpx_eq_u32_e32 0, v3
; %bb.22:
	v_mov_b32_e32 v3, 0
	ds_store_b32 v3, v2
; %bb.23:
	s_wait_alu 0xfffe
	s_or_b32 exec_lo, exec_lo, s4
	v_cmp_eq_u32_e32 vcc_lo, 0, v1
	v_cmp_lt_u32_e64 s4, 31, v0
	s_mov_b32 s5, 0
	s_wait_dscnt 0x0
	s_barrier_signal -1
	s_barrier_wait -1
	s_and_b32 s6, s4, vcc_lo
	global_inv scope:SCOPE_SE
	s_wait_alu 0xfffe
	s_and_saveexec_b32 s4, s6
	s_cbranch_execz .LBB58_28
; %bb.24:
	s_mov_b32 s6, exec_lo
.LBB58_25:                              ; =>This Inner Loop Header: Depth=1
	s_wait_alu 0xfffe
	s_ctz_i32_b32 s7, s6
	s_wait_alu 0xfffe
	v_readlane_b32 s10, v2, s7
	s_lshl_b32 s7, 1, s7
	s_wait_alu 0xfffe
	s_and_not1_b32 s6, s6, s7
	s_or_b32 s5, s5, s10
	s_wait_alu 0xfffe
	s_cmp_lg_u32 s6, 0
	s_cbranch_scc1 .LBB58_25
; %bb.26:
	v_mbcnt_lo_u32_b32 v0, exec_lo, 0
	s_mov_b32 s6, exec_lo
	s_delay_alu instid0(VALU_DEP_1)
	v_cmpx_eq_u32_e32 0, v0
	s_wait_alu 0xfffe
	s_xor_b32 s6, exec_lo, s6
; %bb.27:
	v_dual_mov_b32 v0, 0 :: v_dual_mov_b32 v1, s5
	ds_or_b32 v0, v1
.LBB58_28:
	s_wait_alu 0xfffe
	s_or_b32 exec_lo, exec_lo, s4
	v_mov_b32_e32 v0, 0
	s_wait_loadcnt_dscnt 0x0
	s_barrier_signal -1
	s_barrier_wait -1
	global_inv scope:SCOPE_SE
	ds_load_b32 v2, v0
	s_wait_loadcnt_dscnt 0x0
	s_barrier_signal -1
	s_barrier_wait -1
	global_inv scope:SCOPE_SE
.LBB58_29:
	s_clause 0x1
	s_load_b128 s[4:7], s[0:1], 0x0
	s_load_b64 s[14:15], s[0:1], 0x18
	s_mul_u64 s[0:1], s[28:29], s[30:31]
	s_ashr_i32 s0, s19, 31
	s_mov_b32 s27, 0
	s_mov_b32 s10, exec_lo
	v_cmpx_ne_u32_e32 0, v2
	s_cbranch_execz .LBB58_59
; %bb.30:
	v_lshlrev_b32_e32 v56, 5, v55
	v_and_b32_e32 v57, 15, v48
	s_mov_b32 s10, exec_lo
	s_delay_alu instid0(VALU_DEP_2) | instskip(NEXT) | instid1(VALU_DEP_1)
	v_add_nc_u32_e32 v59, v56, v48
	v_cmpx_le_i32_e64 s8, v59
	s_wait_alu 0xfffe
	s_xor_b32 s10, exec_lo, s10
; %bb.31:
	v_and_b32_e32 v57, 15, v48
                                        ; implicit-def: $vgpr59
; %bb.32:
	s_wait_alu 0xfffe
	s_or_saveexec_b32 s23, s10
	v_dual_mov_b32 v15, 0 :: v_dual_lshlrev_b32 v58, 1, v48
	s_lshl_b32 s19, ttmp9, 5
	s_delay_alu instid0(VALU_DEP_1)
	v_dual_mov_b32 v14, v15 :: v_dual_mov_b32 v13, v15
	v_dual_mov_b32 v12, v15 :: v_dual_mov_b32 v11, v15
	;; [unrolled: 1-line block ×7, first 2 shown]
	v_mov_b32_e32 v0, v15
	s_xor_b32 exec_lo, exec_lo, s23
	s_cbranch_execz .LBB58_52
; %bb.33:
	s_mul_i32 s10, s1, s33
	s_add_co_i32 s29, s1, 1
	s_wait_alu 0xfffe
	s_sub_co_i32 s10, s28, s10
	s_mul_i32 s30, s36, s16
	s_wait_alu 0xfffe
	s_sub_co_i32 s31, s10, s33
	s_cmp_ge_u32 s10, s33
	s_mov_b32 s28, s20
	s_cselect_b32 s1, s29, s1
	s_cselect_b32 s10, s31, s10
	s_add_co_i32 s16, s1, 1
	s_wait_alu 0xfffe
	s_cmp_ge_u32 s10, s33
	s_mul_i32 s34, s11, s19
	s_cselect_b32 s1, s16, s1
	s_ashr_i32 s29, s20, 31
	s_xor_b32 s1, s1, s0
	s_ashr_i32 s31, s30, 31
	s_sub_co_i32 s0, s1, s0
	s_mov_b32 s36, s21
	s_ashr_i32 s1, s0, 31
	s_mov_b32 s38, s12
	s_mul_u64 s[0:1], s[0:1], s[28:29]
	s_ashr_i32 s35, s34, 31
	s_lshl_b64 s[64:65], s[0:1], 2
	s_ashr_i32 s37, s21, 31
	s_ashr_i32 s39, s12, 31
	s_lshl_b64 s[62:63], s[30:31], 2
	s_wait_kmcnt 0x0
	s_add_nc_u64 s[0:1], s[4:5], s[64:65]
	s_lshl_b64 s[66:67], s[34:35], 2
	s_mul_u64 s[28:29], s[38:39], s[24:25]
	s_add_nc_u64 s[0:1], s[0:1], s[62:63]
	s_wait_alu 0xfffe
	s_mul_u64 s[30:31], s[36:37], s[26:27]
	s_add_nc_u64 s[20:21], s[0:1], s[66:67]
	s_lshl_b64 s[28:29], s[28:29], 3
	s_lshl_b64 s[0:1], s[30:31], 2
	s_movk_i32 s10, 0x900
	s_cmp_lt_i32 s24, s9
	s_wait_alu 0xfffe
	v_mad_u32_u24 v0, v55, s10, 0x100
	s_add_nc_u64 s[6:7], s[6:7], s[0:1]
	s_cselect_b32 s1, -1, 0
	s_or_b32 s0, s24, 1
	v_mul_u32_u24_e32 v1, 0x90, v57
	v_mov_b32_e32 v62, 0
	v_and_b32_e32 v2, 0x3f0, v48
	s_cmp_lt_i32 s0, s9
	s_add_nc_u64 s[64:65], s[64:65], s[66:67]
	s_cselect_b32 s16, -1, 0
	s_or_b32 s0, s24, 2
	v_lshl_add_u32 v60, v48, 2, v0
	v_add3_u32 v61, v0, v1, v2
	v_dual_mov_b32 v63, 0x100 :: v_dual_lshlrev_b32 v0, 2, v59
	s_cmp_lt_i32 s0, s9
	s_add_nc_u64 s[62:63], s[64:65], s[62:63]
	s_wait_alu 0xfffe
	s_add_nc_u64 s[6:7], s[6:7], s[28:29]
	s_cselect_b32 s28, -1, 0
	s_or_b32 s0, s24, 3
	s_add_nc_u64 s[4:5], s[4:5], s[62:63]
	s_lshl_b32 s29, s12, 2
	s_cmp_lt_i32 s0, s9
	s_wait_alu 0xfffe
	v_add_co_u32 v50, s0, s4, v0
	v_lshl_add_u32 v49, v55, 6, v58
	v_add_co_ci_u32_e64 v51, null, s5, 0, s0
	v_dual_mov_b32 v0, 0 :: v_dual_mov_b32 v3, v62
	v_dual_mov_b32 v1, v62 :: v_dual_mov_b32 v2, v62
	;; [unrolled: 1-line block ×8, first 2 shown]
	s_cselect_b32 s9, -1, 0
	s_ashr_i32 s69, s11, 31
	s_mov_b32 s68, s11
	s_add_co_i32 s30, s11, s11
	s_mul_i32 s31, s11, 3
	s_lshl_b32 s33, s11, 2
	s_mul_i32 s34, s11, 5
	s_mul_i32 s35, s11, 6
	;; [unrolled: 1-line block ×3, first 2 shown]
	s_lshl_b32 s37, s11, 3
	s_mul_i32 s38, s11, 9
	s_mul_i32 s39, s11, 10
	;; [unrolled: 1-line block ×7, first 2 shown]
	s_lshl_b32 s45, s11, 4
	s_mul_i32 s46, s11, 17
	s_mul_i32 s47, s11, 18
	;; [unrolled: 1-line block ×15, first 2 shown]
	s_lshl_b64 s[10:11], s[68:69], 2
	s_mul_i32 s4, s12, 6
	s_lshl_b32 s12, s12, 1
	s_mov_b32 s5, 0
	s_branch .LBB58_36
.LBB58_34:                              ;   in Loop: Header=BB58_36 Depth=1
	v_mul_lo_u32 v52, v52, s17
	s_delay_alu instid0(VALU_DEP_1) | instskip(NEXT) | instid1(VALU_DEP_1)
	v_add3_u32 v52, v52, s4, v49
	v_ashrrev_i32_e32 v53, 31, v52
	s_delay_alu instid0(VALU_DEP_1) | instskip(NEXT) | instid1(VALU_DEP_1)
	v_lshlrev_b64_e32 v[52:53], 2, v[52:53]
	v_add_co_u32 v52, vcc_lo, s6, v52
	s_wait_alu 0xfffd
	s_delay_alu instid0(VALU_DEP_2)
	v_add_co_ci_u32_e64 v53, null, s7, v53, vcc_lo
	global_load_b64 v[52:53], v[52:53], off
.LBB58_35:                              ;   in Loop: Header=BB58_36 Depth=1
	s_wait_loadcnt 0x0
	s_delay_alu instid0(VALU_DEP_1) | instskip(NEXT) | instid1(VALU_DEP_2)
	v_bfe_u32 v54, v52, 16, 1
	v_bfe_u32 v64, v53, 16, 1
	v_or_b32_e32 v65, 0x400000, v52
	v_cmp_u_f32_e32 vcc_lo, v52, v52
	v_or_b32_e32 v66, 0x400000, v53
	v_add3_u32 v54, v54, v52, 0x7fff
	v_add3_u32 v64, v64, v53, 0x7fff
	ds_store_2addr_b32 v60, v62, v62 offset0:196 offset1:232
	ds_store_b32 v60, v62 offset:2224
	s_wait_alu 0xfffd
	v_dual_cndmask_b32 v52, v54, v65 :: v_dual_add_nc_u32 v59, 0x60, v59
	v_cmp_u_f32_e32 vcc_lo, v53, v53
	v_add_nc_u32_e32 v54, 0x400, v60
	v_add_co_u32 v50, s0, 0x180, v50
	v_add_nc_u32_e32 v49, 0xc0, v49
	s_wait_alu 0xfffd
	v_dual_cndmask_b32 v53, v64, v66 :: v_dual_add_nc_u32 v64, 0x600, v60
	v_cmp_le_i32_e32 vcc_lo, s8, v59
	s_wait_alu 0xf1ff
	v_add_co_ci_u32_e64 v51, null, 0, v51, s0
	s_delay_alu instid0(VALU_DEP_3)
	v_perm_b32 v52, v53, v52, 0x7060302
	ds_store_2addr_b32 v54, v62, v62 offset0:12 offset1:48
	ds_store_2addr_b32 v54, v62, v62 offset0:84 offset1:120
	;; [unrolled: 1-line block ×5, first 2 shown]
	ds_load_b128 v[64:67], v61 offset:64
	ds_load_b128 v[68:71], v61 offset:96
	;; [unrolled: 1-line block ×4, first 2 shown]
	s_or_b32 s5, vcc_lo, s5
	s_wait_dscnt 0x3
	v_wmma_f32_16x16x16_bf16 v[8:15], v[32:35], v[64:67], v[8:15]
	v_wmma_f32_16x16x16_bf16 v[0:7], v[44:47], v[64:67], v[0:7]
	s_wait_dscnt 0x2
	s_delay_alu instid0(VALU_DEP_2) | instskip(NEXT) | instid1(VALU_DEP_2)
	v_wmma_f32_16x16x16_bf16 v[8:15], v[28:31], v[68:71], v[8:15]
	v_wmma_f32_16x16x16_bf16 v[0:7], v[40:43], v[68:71], v[0:7]
	s_wait_dscnt 0x1
	s_delay_alu instid0(VALU_DEP_2) | instskip(NEXT) | instid1(VALU_DEP_2)
	;; [unrolled: 4-line block ×3, first 2 shown]
	v_wmma_f32_16x16x16_bf16 v[8:15], v[16:19], v[76:79], v[8:15]
	v_wmma_f32_16x16x16_bf16 v[0:7], v[20:23], v[76:79], v[0:7]
	s_wait_alu 0xfffe
	s_and_not1_b32 exec_lo, exec_lo, s5
	s_cbranch_execz .LBB58_51
.LBB58_36:                              ; =>This Inner Loop Header: Depth=1
	v_add_nc_u32_e32 v22, s33, v59
	v_add_nc_u32_e32 v16, s30, v59
	s_wait_alu 0xfffe
	v_add_co_u32 v20, vcc_lo, v50, s10
	v_add_nc_u32_e32 v18, s31, v59
	s_wait_alu 0xfffd
	v_add_co_ci_u32_e64 v21, null, s11, v51, vcc_lo
	v_ashrrev_i32_e32 v23, 31, v22
	v_ashrrev_i32_e32 v17, 31, v16
	v_add_nc_u32_e32 v24, s34, v59
	v_ashrrev_i32_e32 v19, 31, v18
	s_clause 0x1
	global_load_b32 v38, v[50:51], off
	global_load_b32 v39, v[20:21], off
	v_lshlrev_b64_e32 v[20:21], 2, v[22:23]
	v_add_nc_u32_e32 v22, s35, v59
	v_lshlrev_b64_e32 v[16:17], 2, v[16:17]
	v_add_nc_u32_e32 v26, s36, v59
	v_ashrrev_i32_e32 v25, 31, v24
	v_lshlrev_b64_e32 v[18:19], 2, v[18:19]
	v_add_nc_u32_e32 v28, s37, v59
	v_ashrrev_i32_e32 v23, 31, v22
	v_add_nc_u32_e32 v30, s38, v59
	v_ashrrev_i32_e32 v27, 31, v26
	v_add_co_u32 v16, vcc_lo, s20, v16
	v_lshlrev_b64_e32 v[24:25], 2, v[24:25]
	v_ashrrev_i32_e32 v29, 31, v28
	s_wait_alu 0xfffd
	v_add_co_ci_u32_e64 v17, null, s21, v17, vcc_lo
	v_add_co_u32 v18, vcc_lo, s20, v18
	v_lshlrev_b64_e32 v[22:23], 2, v[22:23]
	v_ashrrev_i32_e32 v31, 31, v30
	s_wait_alu 0xfffd
	v_add_co_ci_u32_e64 v19, null, s21, v19, vcc_lo
	v_add_co_u32 v20, vcc_lo, s20, v20
	v_lshlrev_b64_e32 v[26:27], 2, v[26:27]
	s_wait_alu 0xfffd
	v_add_co_ci_u32_e64 v21, null, s21, v21, vcc_lo
	v_add_co_u32 v24, vcc_lo, s20, v24
	v_lshlrev_b64_e32 v[28:29], 2, v[28:29]
	;; [unrolled: 4-line block ×3, first 2 shown]
	s_wait_alu 0xfffd
	v_add_co_ci_u32_e64 v23, null, s21, v23, vcc_lo
	v_add_co_u32 v26, vcc_lo, s20, v26
	v_add_nc_u32_e32 v32, s39, v59
	s_wait_alu 0xfffd
	v_add_co_ci_u32_e64 v27, null, s21, v27, vcc_lo
	v_add_co_u32 v28, vcc_lo, s20, v28
	v_add_nc_u32_e32 v34, s40, v59
	;; [unrolled: 4-line block ×3, first 2 shown]
	v_ashrrev_i32_e32 v33, 31, v32
	s_wait_alu 0xfffd
	v_add_co_ci_u32_e64 v31, null, s21, v31, vcc_lo
	s_clause 0x7
	global_load_b32 v40, v[16:17], off
	global_load_b32 v41, v[18:19], off
	;; [unrolled: 1-line block ×8, first 2 shown]
	v_add_nc_u32_e32 v18, s42, v59
	v_ashrrev_i32_e32 v35, 31, v34
	v_add_nc_u32_e32 v24, s43, v59
	v_ashrrev_i32_e32 v37, 31, v36
	v_lshlrev_b64_e32 v[32:33], 2, v[32:33]
	v_add_nc_u32_e32 v26, s44, v59
	v_ashrrev_i32_e32 v19, 31, v18
	v_lshlrev_b64_e32 v[16:17], 2, v[34:35]
	;; [unrolled: 3-line block ×3, first 2 shown]
	v_add_nc_u32_e32 v30, s46, v59
	v_ashrrev_i32_e32 v27, 31, v26
	v_add_co_u32 v20, vcc_lo, s20, v32
	v_lshlrev_b64_e32 v[18:19], 2, v[18:19]
	v_ashrrev_i32_e32 v29, 31, v28
	s_wait_alu 0xfffd
	v_add_co_ci_u32_e64 v21, null, s21, v33, vcc_lo
	v_add_co_u32 v16, vcc_lo, s20, v16
	v_lshlrev_b64_e32 v[24:25], 2, v[24:25]
	v_ashrrev_i32_e32 v31, 31, v30
	s_wait_alu 0xfffd
	v_add_co_ci_u32_e64 v17, null, s21, v17, vcc_lo
	v_add_co_u32 v22, vcc_lo, s20, v22
	v_lshlrev_b64_e32 v[26:27], 2, v[26:27]
	s_wait_alu 0xfffd
	v_add_co_ci_u32_e64 v23, null, s21, v23, vcc_lo
	v_add_co_u32 v18, vcc_lo, s20, v18
	v_lshlrev_b64_e32 v[28:29], 2, v[28:29]
	;; [unrolled: 4-line block ×3, first 2 shown]
	s_wait_alu 0xfffd
	v_add_co_ci_u32_e64 v25, null, s21, v25, vcc_lo
	v_add_co_u32 v26, vcc_lo, s20, v26
	v_add_nc_u32_e32 v32, s47, v59
	s_wait_alu 0xfffd
	v_add_co_ci_u32_e64 v27, null, s21, v27, vcc_lo
	v_add_co_u32 v28, vcc_lo, s20, v28
	v_add_nc_u32_e32 v34, s48, v59
	;; [unrolled: 4-line block ×3, first 2 shown]
	v_ashrrev_i32_e32 v33, 31, v32
	s_wait_alu 0xfffd
	v_add_co_ci_u32_e64 v31, null, s21, v31, vcc_lo
	s_clause 0x7
	global_load_b32 v52, v[20:21], off
	global_load_b32 v53, v[16:17], off
	;; [unrolled: 1-line block ×8, first 2 shown]
	v_add_nc_u32_e32 v18, s50, v59
	v_ashrrev_i32_e32 v35, 31, v34
	v_add_nc_u32_e32 v24, s51, v59
	v_ashrrev_i32_e32 v37, 31, v36
	v_lshlrev_b64_e32 v[32:33], 2, v[32:33]
	v_add_nc_u32_e32 v26, s52, v59
	v_ashrrev_i32_e32 v19, 31, v18
	v_lshlrev_b64_e32 v[16:17], 2, v[34:35]
	;; [unrolled: 3-line block ×3, first 2 shown]
	v_add_nc_u32_e32 v30, s54, v59
	v_ashrrev_i32_e32 v27, 31, v26
	v_add_co_u32 v20, vcc_lo, s20, v32
	v_lshlrev_b64_e32 v[18:19], 2, v[18:19]
	v_ashrrev_i32_e32 v29, 31, v28
	s_wait_alu 0xfffd
	v_add_co_ci_u32_e64 v21, null, s21, v33, vcc_lo
	v_add_co_u32 v16, vcc_lo, s20, v16
	v_lshlrev_b64_e32 v[24:25], 2, v[24:25]
	v_ashrrev_i32_e32 v31, 31, v30
	s_wait_alu 0xfffd
	v_add_co_ci_u32_e64 v17, null, s21, v17, vcc_lo
	v_add_co_u32 v22, vcc_lo, s20, v22
	v_lshlrev_b64_e32 v[26:27], 2, v[26:27]
	s_wait_alu 0xfffd
	v_add_co_ci_u32_e64 v23, null, s21, v23, vcc_lo
	v_add_co_u32 v18, vcc_lo, s20, v18
	v_lshlrev_b64_e32 v[28:29], 2, v[28:29]
	;; [unrolled: 4-line block ×3, first 2 shown]
	s_wait_alu 0xfffd
	v_add_co_ci_u32_e64 v25, null, s21, v25, vcc_lo
	v_add_co_u32 v26, vcc_lo, s20, v26
	v_add_nc_u32_e32 v32, s55, v59
	s_wait_alu 0xfffd
	v_add_co_ci_u32_e64 v27, null, s21, v27, vcc_lo
	v_add_co_u32 v28, vcc_lo, s20, v28
	v_add_nc_u32_e32 v34, s56, v59
	;; [unrolled: 4-line block ×3, first 2 shown]
	v_ashrrev_i32_e32 v33, 31, v32
	s_wait_alu 0xfffd
	v_add_co_ci_u32_e64 v31, null, s21, v31, vcc_lo
	s_clause 0x7
	global_load_b32 v69, v[20:21], off
	global_load_b32 v70, v[16:17], off
	;; [unrolled: 1-line block ×8, first 2 shown]
	v_add_nc_u32_e32 v18, s58, v59
	v_ashrrev_i32_e32 v35, 31, v34
	v_add_nc_u32_e32 v24, s59, v59
	v_ashrrev_i32_e32 v37, 31, v36
	v_lshlrev_b64_e32 v[32:33], 2, v[32:33]
	v_add_nc_u32_e32 v26, s60, v59
	v_ashrrev_i32_e32 v19, 31, v18
	v_lshlrev_b64_e32 v[16:17], 2, v[34:35]
	v_ashrrev_i32_e32 v25, 31, v24
	v_lshlrev_b64_e32 v[22:23], 2, v[36:37]
	v_ashrrev_i32_e32 v27, 31, v26
	v_add_co_u32 v20, vcc_lo, s20, v32
	v_lshlrev_b64_e32 v[18:19], 2, v[18:19]
	s_wait_alu 0xfffd
	v_add_co_ci_u32_e64 v21, null, s21, v33, vcc_lo
	v_add_co_u32 v16, vcc_lo, s20, v16
	v_lshlrev_b64_e32 v[24:25], 2, v[24:25]
	s_wait_alu 0xfffd
	v_add_co_ci_u32_e64 v17, null, s21, v17, vcc_lo
	v_add_co_u32 v22, vcc_lo, s20, v22
	v_lshlrev_b64_e32 v[26:27], 2, v[26:27]
	s_wait_alu 0xfffd
	v_add_co_ci_u32_e64 v23, null, s21, v23, vcc_lo
	v_add_co_u32 v18, vcc_lo, s20, v18
	s_wait_alu 0xfffd
	v_add_co_ci_u32_e64 v19, null, s21, v19, vcc_lo
	v_add_co_u32 v24, vcc_lo, s20, v24
	s_wait_alu 0xfffd
	v_add_co_ci_u32_e64 v25, null, s21, v25, vcc_lo
	;; [unrolled: 3-line block ×3, first 2 shown]
	s_clause 0x5
	global_load_b32 v20, v[20:21], off
	global_load_b32 v21, v[16:17], off
	;; [unrolled: 1-line block ×6, first 2 shown]
	s_and_not1_b32 vcc_lo, exec_lo, s1
	s_wait_loadcnt 0x1f
	ds_store_b32 v60, v38 offset:64
	s_wait_loadcnt 0x1e
	ds_store_b32 v60, v39 offset:208
	;; [unrolled: 2-line block ×16, first 2 shown]
	ds_load_b128 v[32:35], v61 offset:64
	ds_load_b128 v[28:31], v61 offset:96
	;; [unrolled: 1-line block ×4, first 2 shown]
	s_wait_loadcnt 0xf
	ds_store_b32 v60, v67 offset:64
	s_wait_loadcnt 0xe
	ds_store_b32 v60, v68 offset:208
	s_wait_loadcnt 0xd
	ds_store_b32 v60, v69 offset:352
	s_wait_loadcnt 0xc
	ds_store_b32 v60, v70 offset:496
	s_wait_loadcnt 0xb
	ds_store_b32 v60, v71 offset:640
	s_wait_loadcnt 0xa
	ds_store_b32 v60, v72 offset:784
	s_wait_loadcnt 0x9
	ds_store_b32 v60, v73 offset:928
	s_wait_loadcnt 0x8
	ds_store_b32 v60, v74 offset:1072
	s_wait_loadcnt 0x7
	ds_store_b32 v60, v75 offset:1216
	s_wait_loadcnt 0x6
	ds_store_b32 v60, v76 offset:1360
	s_wait_loadcnt 0x5
	ds_store_b32 v60, v20 offset:1504
	s_wait_loadcnt 0x4
	ds_store_b32 v60, v21 offset:1648
	s_wait_loadcnt 0x3
	ds_store_b32 v60, v22 offset:1792
	s_wait_loadcnt 0x2
	ds_store_b32 v60, v23 offset:1936
	s_wait_loadcnt 0x1
	ds_store_b32 v60, v36 offset:2080
	s_wait_loadcnt 0x0
	ds_store_b32 v60, v37 offset:2224
	ds_load_b128 v[44:47], v61 offset:64
	ds_load_b128 v[40:43], v61 offset:96
	;; [unrolled: 1-line block ×4, first 2 shown]
	v_dual_mov_b32 v52, 0 :: v_dual_mov_b32 v53, 0
	s_wait_alu 0xfffe
	s_cbranch_vccnz .LBB58_40
; %bb.37:                               ;   in Loop: Header=BB58_36 Depth=1
	ds_load_b32 v52, v63
	s_wait_dscnt 0x0
	v_cmp_gt_i32_e32 vcc_lo, 0, v52
	s_cbranch_vccnz .LBB58_39
; %bb.38:                               ;   in Loop: Header=BB58_36 Depth=1
	v_mad_co_u64_u32 v[52:53], null, v52, s17, v[49:50]
	s_delay_alu instid0(VALU_DEP_1) | instskip(NEXT) | instid1(VALU_DEP_1)
	v_ashrrev_i32_e32 v53, 31, v52
	v_lshlrev_b64_e32 v[52:53], 2, v[52:53]
	s_delay_alu instid0(VALU_DEP_1) | instskip(SKIP_1) | instid1(VALU_DEP_2)
	v_add_co_u32 v52, vcc_lo, s6, v52
	s_wait_alu 0xfffd
	v_add_co_ci_u32_e64 v53, null, s7, v53, vcc_lo
	global_load_b64 v[52:53], v[52:53], off
	s_branch .LBB58_40
.LBB58_39:                              ;   in Loop: Header=BB58_36 Depth=1
	v_dual_mov_b32 v52, 0 :: v_dual_mov_b32 v53, 0
.LBB58_40:                              ;   in Loop: Header=BB58_36 Depth=1
	s_wait_loadcnt 0x0
	s_delay_alu instid0(VALU_DEP_1) | instskip(NEXT) | instid1(VALU_DEP_2)
	v_bfe_u32 v54, v52, 16, 1
	v_bfe_u32 v64, v53, 16, 1
	v_or_b32_e32 v65, 0x400000, v52
	v_cmp_u_f32_e32 vcc_lo, v52, v52
	v_or_b32_e32 v66, 0x400000, v53
	v_add3_u32 v54, v54, v52, 0x7fff
	v_add3_u32 v64, v64, v53, 0x7fff
	v_mov_b32_e32 v52, 0
	s_wait_alu 0xfffd
	s_delay_alu instid0(VALU_DEP_3) | instskip(SKIP_4) | instid1(VALU_DEP_1)
	v_cndmask_b32_e32 v54, v54, v65, vcc_lo
	v_cmp_u_f32_e32 vcc_lo, v53, v53
	s_wait_alu 0xfffd
	v_cndmask_b32_e32 v53, v64, v66, vcc_lo
	s_and_not1_b32 vcc_lo, exec_lo, s16
	v_perm_b32 v64, v53, v54, 0x7060302
	v_dual_mov_b32 v53, 0 :: v_dual_mov_b32 v54, 0
	ds_store_b32 v60, v64 offset:64
	s_wait_alu 0xfffe
	s_cbranch_vccnz .LBB58_44
; %bb.41:                               ;   in Loop: Header=BB58_36 Depth=1
	ds_load_b32 v53, v63 offset:4
	s_wait_dscnt 0x0
	v_cmp_gt_i32_e32 vcc_lo, 0, v53
	s_cbranch_vccnz .LBB58_43
; %bb.42:                               ;   in Loop: Header=BB58_36 Depth=1
	v_mul_lo_u32 v53, v53, s17
	s_delay_alu instid0(VALU_DEP_1) | instskip(NEXT) | instid1(VALU_DEP_1)
	v_add3_u32 v53, v53, s12, v49
	v_ashrrev_i32_e32 v54, 31, v53
	s_delay_alu instid0(VALU_DEP_1) | instskip(NEXT) | instid1(VALU_DEP_1)
	v_lshlrev_b64_e32 v[53:54], 2, v[53:54]
	v_add_co_u32 v53, vcc_lo, s6, v53
	s_wait_alu 0xfffd
	s_delay_alu instid0(VALU_DEP_2)
	v_add_co_ci_u32_e64 v54, null, s7, v54, vcc_lo
	global_load_b64 v[53:54], v[53:54], off
	s_branch .LBB58_44
.LBB58_43:                              ;   in Loop: Header=BB58_36 Depth=1
	v_dual_mov_b32 v53, 0 :: v_dual_mov_b32 v54, 0
.LBB58_44:                              ;   in Loop: Header=BB58_36 Depth=1
	s_wait_loadcnt 0x0
	s_delay_alu instid0(VALU_DEP_1) | instskip(NEXT) | instid1(VALU_DEP_2)
	v_bfe_u32 v64, v53, 16, 1
	v_bfe_u32 v65, v54, 16, 1
	v_or_b32_e32 v66, 0x400000, v53
	v_cmp_u_f32_e32 vcc_lo, v53, v53
	v_or_b32_e32 v67, 0x400000, v54
	v_add3_u32 v64, v64, v53, 0x7fff
	v_add3_u32 v65, v65, v54, 0x7fff
	s_wait_alu 0xfffd
	s_delay_alu instid0(VALU_DEP_2) | instskip(SKIP_4) | instid1(VALU_DEP_1)
	v_cndmask_b32_e32 v53, v64, v66, vcc_lo
	v_cmp_u_f32_e32 vcc_lo, v54, v54
	s_wait_alu 0xfffd
	v_cndmask_b32_e32 v54, v65, v67, vcc_lo
	s_and_not1_b32 vcc_lo, exec_lo, s28
	v_perm_b32 v54, v54, v53, 0x7060302
	v_mov_b32_e32 v53, 0
	ds_store_b32 v60, v54 offset:208
	s_wait_alu 0xfffe
	s_cbranch_vccnz .LBB58_48
; %bb.45:                               ;   in Loop: Header=BB58_36 Depth=1
	ds_load_b32 v52, v63 offset:8
	s_wait_dscnt 0x0
	v_cmp_gt_i32_e32 vcc_lo, 0, v52
	s_cbranch_vccnz .LBB58_47
; %bb.46:                               ;   in Loop: Header=BB58_36 Depth=1
	v_mul_lo_u32 v52, v52, s17
	s_delay_alu instid0(VALU_DEP_1) | instskip(NEXT) | instid1(VALU_DEP_1)
	v_add3_u32 v52, v52, s29, v49
	v_ashrrev_i32_e32 v53, 31, v52
	s_delay_alu instid0(VALU_DEP_1) | instskip(NEXT) | instid1(VALU_DEP_1)
	v_lshlrev_b64_e32 v[52:53], 2, v[52:53]
	v_add_co_u32 v52, vcc_lo, s6, v52
	s_wait_alu 0xfffd
	s_delay_alu instid0(VALU_DEP_2)
	v_add_co_ci_u32_e64 v53, null, s7, v53, vcc_lo
	global_load_b64 v[52:53], v[52:53], off
	s_branch .LBB58_48
.LBB58_47:                              ;   in Loop: Header=BB58_36 Depth=1
	v_dual_mov_b32 v52, 0 :: v_dual_mov_b32 v53, 0
.LBB58_48:                              ;   in Loop: Header=BB58_36 Depth=1
	s_wait_loadcnt 0x0
	s_delay_alu instid0(VALU_DEP_1) | instskip(NEXT) | instid1(VALU_DEP_2)
	v_bfe_u32 v54, v52, 16, 1
	v_bfe_u32 v64, v53, 16, 1
	v_or_b32_e32 v65, 0x400000, v52
	v_cmp_u_f32_e32 vcc_lo, v52, v52
	v_or_b32_e32 v66, 0x400000, v53
	v_add3_u32 v54, v54, v52, 0x7fff
	v_add3_u32 v64, v64, v53, 0x7fff
	s_wait_alu 0xfffd
	s_delay_alu instid0(VALU_DEP_2) | instskip(SKIP_4) | instid1(VALU_DEP_1)
	v_cndmask_b32_e32 v52, v54, v65, vcc_lo
	v_cmp_u_f32_e32 vcc_lo, v53, v53
	s_wait_alu 0xfffd
	v_cndmask_b32_e32 v53, v64, v66, vcc_lo
	s_and_not1_b32 vcc_lo, exec_lo, s9
	v_perm_b32 v54, v53, v52, 0x7060302
	v_dual_mov_b32 v52, 0 :: v_dual_mov_b32 v53, 0
	ds_store_b32 v60, v54 offset:352
	s_wait_alu 0xfffe
	s_cbranch_vccnz .LBB58_35
; %bb.49:                               ;   in Loop: Header=BB58_36 Depth=1
	ds_load_b32 v52, v63 offset:12
	s_wait_dscnt 0x0
	v_cmp_gt_i32_e32 vcc_lo, 0, v52
	s_cbranch_vccz .LBB58_34
; %bb.50:                               ;   in Loop: Header=BB58_36 Depth=1
	v_dual_mov_b32 v52, 0 :: v_dual_mov_b32 v53, 0
	s_branch .LBB58_35
.LBB58_51:
	s_or_b32 exec_lo, exec_lo, s5
.LBB58_52:
	s_delay_alu instid0(SALU_CYCLE_1)
	s_or_b32 exec_lo, exec_lo, s23
	v_lshl_add_u32 v16, v56, 2, 0x100
	v_mul_u32_u24_e32 v17, 0x190, v57
	v_and_b32_e32 v18, 0x7e0, v58
	s_wait_loadcnt_dscnt 0x0
	s_barrier_signal -1
	s_barrier_wait -1
	global_inv scope:SCOPE_SE
	v_add3_u32 v17, v16, v17, v18
	s_mov_b32 s0, exec_lo
	ds_store_2addr_b32 v17, v8, v9 offset0:16 offset1:17
	ds_store_2addr_b32 v17, v10, v11 offset0:18 offset1:19
	;; [unrolled: 1-line block ×4, first 2 shown]
	v_lshl_add_u32 v8, v48, 2, 0x100
	ds_store_2addr_b32 v17, v0, v1 offset0:32 offset1:33
	ds_store_2addr_b32 v17, v2, v3 offset0:34 offset1:35
	;; [unrolled: 1-line block ×4, first 2 shown]
	s_wait_loadcnt_dscnt 0x0
	s_barrier_signal -1
	s_barrier_wait -1
	v_mad_u32_u24 v2, 0x190, v55, v8
	global_inv scope:SCOPE_SE
	ds_load_2addr_b32 v[0:1], v2 offset0:16 offset1:48
	ds_load_b32 v3, v2 offset:320
	v_mov_b32_e32 v4, -1
	v_cmpx_gt_u32_e32 4, v55
; %bb.53:
	v_mad_i32_i24 v2, 0xffffff84, v55, v16
	ds_load_b32 v4, v2
; %bb.54:
	s_wait_alu 0xfffe
	s_or_b32 exec_lo, exec_lo, s0
	s_ashr_i32 s1, s22, 31
	s_mov_b32 s0, s22
	s_wait_kmcnt 0x0
	s_ashr_i32 s5, s13, 31
	s_wait_alu 0xfffe
	s_mul_u64 s[0:1], s[0:1], s[26:27]
	s_mov_b32 s4, s13
	s_wait_dscnt 0x0
	v_cmp_lt_i32_e32 vcc_lo, -1, v4
	s_wait_alu 0xfffe
	s_mul_u64 s[4:5], s[24:25], s[4:5]
	s_lshl_b64 s[0:1], s[0:1], 2
	v_add_nc_u32_e32 v2, s19, v48
	s_wait_alu 0xfffe
	s_lshl_b64 s[4:5], s[4:5], 2
	s_add_nc_u64 s[0:1], s[14:15], s[0:1]
	s_wait_alu 0xfffe
	s_add_nc_u64 s[0:1], s[0:1], s[4:5]
	s_and_b32 s4, vcc_lo, s2
	s_wait_alu 0xfffe
	s_and_saveexec_b32 s2, s4
	s_cbranch_execz .LBB58_56
; %bb.55:
	v_mul_lo_u32 v4, v4, s18
	v_mul_lo_u32 v6, v55, s13
	v_dual_add_f32 v0, 0, v0 :: v_dual_mov_b32 v5, 0
	s_delay_alu instid0(VALU_DEP_2) | instskip(NEXT) | instid1(VALU_DEP_2)
	v_add3_u32 v4, v2, v6, v4
	v_add_f32_e32 v6, v0, v1
	s_delay_alu instid0(VALU_DEP_2) | instskip(NEXT) | instid1(VALU_DEP_2)
	v_lshlrev_b64_e32 v[0:1], 2, v[4:5]
	v_add_f32_e32 v3, v6, v3
	s_delay_alu instid0(VALU_DEP_2) | instskip(SKIP_1) | instid1(VALU_DEP_3)
	v_add_co_u32 v0, vcc_lo, s0, v0
	s_wait_alu 0xfffd
	v_add_co_ci_u32_e64 v1, null, s1, v1, vcc_lo
	global_store_b32 v[0:1], v3, off
.LBB58_56:
	s_wait_alu 0xfffe
	s_or_b32 exec_lo, exec_lo, s2
	v_cmp_eq_u32_e32 vcc_lo, 0, v55
	s_and_b32 exec_lo, exec_lo, vcc_lo
	s_cbranch_execz .LBB58_59
; %bb.57:
	v_mov_b32_e32 v0, 0x100
	ds_load_b32 v0, v0 offset:12
	s_wait_dscnt 0x0
	v_readfirstlane_b32 s2, v0
	s_cmp_gt_i32 s2, -1
	s_cselect_b32 s2, -1, 0
	s_wait_alu 0xfffe
	s_and_b32 s2, s2, s3
	s_wait_alu 0xfffe
	s_and_b32 exec_lo, exec_lo, s2
	s_cbranch_execz .LBB58_59
; %bb.58:
	v_add_nc_u32_e32 v1, 0x400, v8
	v_mul_lo_u32 v0, v0, s18
	s_mul_i32 s2, s13, 3
	ds_load_2addr_b32 v[3:4], v1 offset0:60 offset1:92
	ds_load_b32 v5, v8 offset:1520
	s_wait_alu 0xfffe
	v_add3_u32 v0, v0, s2, v2
	s_wait_dscnt 0x1
	v_add_f32_e32 v3, 0, v3
	s_delay_alu instid0(VALU_DEP_1) | instskip(NEXT) | instid1(VALU_DEP_1)
	v_dual_mov_b32 v1, 0 :: v_dual_add_f32 v2, v3, v4
	v_lshlrev_b64_e32 v[0:1], 2, v[0:1]
	s_wait_dscnt 0x0
	s_delay_alu instid0(VALU_DEP_2) | instskip(NEXT) | instid1(VALU_DEP_2)
	v_add_f32_e32 v2, v2, v5
	v_add_co_u32 v0, vcc_lo, s0, v0
	s_wait_alu 0xfffd
	s_delay_alu instid0(VALU_DEP_3)
	v_add_co_ci_u32_e64 v1, null, s1, v1, vcc_lo
	global_store_b32 v[0:1], v2, off
.LBB58_59:
	s_endpgm
	.section	.rodata,"a",@progbits
	.p2align	6, 0x0
	.amdhsa_kernel _ZL9mul_mat_fI15__hip_bfloat162Li32ELi4ELi3ELb1EEvPKT_PKfPKiPfiiiiiiiiiiiiiiii
		.amdhsa_group_segment_fixed_size 256
		.amdhsa_private_segment_fixed_size 0
		.amdhsa_kernarg_size 352
		.amdhsa_user_sgpr_count 2
		.amdhsa_user_sgpr_dispatch_ptr 0
		.amdhsa_user_sgpr_queue_ptr 0
		.amdhsa_user_sgpr_kernarg_segment_ptr 1
		.amdhsa_user_sgpr_dispatch_id 0
		.amdhsa_user_sgpr_private_segment_size 0
		.amdhsa_wavefront_size32 1
		.amdhsa_uses_dynamic_stack 0
		.amdhsa_enable_private_segment 0
		.amdhsa_system_sgpr_workgroup_id_x 1
		.amdhsa_system_sgpr_workgroup_id_y 1
		.amdhsa_system_sgpr_workgroup_id_z 1
		.amdhsa_system_sgpr_workgroup_info 0
		.amdhsa_system_vgpr_workitem_id 2
		.amdhsa_next_free_vgpr 80
		.amdhsa_next_free_sgpr 70
		.amdhsa_reserve_vcc 1
		.amdhsa_float_round_mode_32 0
		.amdhsa_float_round_mode_16_64 0
		.amdhsa_float_denorm_mode_32 3
		.amdhsa_float_denorm_mode_16_64 3
		.amdhsa_fp16_overflow 0
		.amdhsa_workgroup_processor_mode 1
		.amdhsa_memory_ordered 1
		.amdhsa_forward_progress 1
		.amdhsa_inst_pref_size 47
		.amdhsa_round_robin_scheduling 0
		.amdhsa_exception_fp_ieee_invalid_op 0
		.amdhsa_exception_fp_denorm_src 0
		.amdhsa_exception_fp_ieee_div_zero 0
		.amdhsa_exception_fp_ieee_overflow 0
		.amdhsa_exception_fp_ieee_underflow 0
		.amdhsa_exception_fp_ieee_inexact 0
		.amdhsa_exception_int_div_zero 0
	.end_amdhsa_kernel
	.section	.text._ZL9mul_mat_fI15__hip_bfloat162Li32ELi4ELi3ELb1EEvPKT_PKfPKiPfiiiiiiiiiiiiiiii,"axG",@progbits,_ZL9mul_mat_fI15__hip_bfloat162Li32ELi4ELi3ELb1EEvPKT_PKfPKiPfiiiiiiiiiiiiiiii,comdat
.Lfunc_end58:
	.size	_ZL9mul_mat_fI15__hip_bfloat162Li32ELi4ELi3ELb1EEvPKT_PKfPKiPfiiiiiiiiiiiiiiii, .Lfunc_end58-_ZL9mul_mat_fI15__hip_bfloat162Li32ELi4ELi3ELb1EEvPKT_PKfPKiPfiiiiiiiiiiiiiiii
                                        ; -- End function
	.set _ZL9mul_mat_fI15__hip_bfloat162Li32ELi4ELi3ELb1EEvPKT_PKfPKiPfiiiiiiiiiiiiiiii.num_vgpr, 80
	.set _ZL9mul_mat_fI15__hip_bfloat162Li32ELi4ELi3ELb1EEvPKT_PKfPKiPfiiiiiiiiiiiiiiii.num_agpr, 0
	.set _ZL9mul_mat_fI15__hip_bfloat162Li32ELi4ELi3ELb1EEvPKT_PKfPKiPfiiiiiiiiiiiiiiii.numbered_sgpr, 70
	.set _ZL9mul_mat_fI15__hip_bfloat162Li32ELi4ELi3ELb1EEvPKT_PKfPKiPfiiiiiiiiiiiiiiii.num_named_barrier, 0
	.set _ZL9mul_mat_fI15__hip_bfloat162Li32ELi4ELi3ELb1EEvPKT_PKfPKiPfiiiiiiiiiiiiiiii.private_seg_size, 0
	.set _ZL9mul_mat_fI15__hip_bfloat162Li32ELi4ELi3ELb1EEvPKT_PKfPKiPfiiiiiiiiiiiiiiii.uses_vcc, 1
	.set _ZL9mul_mat_fI15__hip_bfloat162Li32ELi4ELi3ELb1EEvPKT_PKfPKiPfiiiiiiiiiiiiiiii.uses_flat_scratch, 0
	.set _ZL9mul_mat_fI15__hip_bfloat162Li32ELi4ELi3ELb1EEvPKT_PKfPKiPfiiiiiiiiiiiiiiii.has_dyn_sized_stack, 0
	.set _ZL9mul_mat_fI15__hip_bfloat162Li32ELi4ELi3ELb1EEvPKT_PKfPKiPfiiiiiiiiiiiiiiii.has_recursion, 0
	.set _ZL9mul_mat_fI15__hip_bfloat162Li32ELi4ELi3ELb1EEvPKT_PKfPKiPfiiiiiiiiiiiiiiii.has_indirect_call, 0
	.section	.AMDGPU.csdata,"",@progbits
; Kernel info:
; codeLenInByte = 5892
; TotalNumSgprs: 72
; NumVgprs: 80
; ScratchSize: 0
; MemoryBound: 0
; FloatMode: 240
; IeeeMode: 1
; LDSByteSize: 256 bytes/workgroup (compile time only)
; SGPRBlocks: 0
; VGPRBlocks: 9
; NumSGPRsForWavesPerEU: 72
; NumVGPRsForWavesPerEU: 80
; Occupancy: 16
; WaveLimiterHint : 0
; COMPUTE_PGM_RSRC2:SCRATCH_EN: 0
; COMPUTE_PGM_RSRC2:USER_SGPR: 2
; COMPUTE_PGM_RSRC2:TRAP_HANDLER: 0
; COMPUTE_PGM_RSRC2:TGID_X_EN: 1
; COMPUTE_PGM_RSRC2:TGID_Y_EN: 1
; COMPUTE_PGM_RSRC2:TGID_Z_EN: 1
; COMPUTE_PGM_RSRC2:TIDIG_COMP_CNT: 2
	.section	.text._ZL9mul_mat_fI15__hip_bfloat162Li32ELi4ELi3ELb0EEvPKT_PKfPKiPfiiiiiiiiiiiiiiii,"axG",@progbits,_ZL9mul_mat_fI15__hip_bfloat162Li32ELi4ELi3ELb0EEvPKT_PKfPKiPfiiiiiiiiiiiiiiii,comdat
	.globl	_ZL9mul_mat_fI15__hip_bfloat162Li32ELi4ELi3ELb0EEvPKT_PKfPKiPfiiiiiiiiiiiiiiii ; -- Begin function _ZL9mul_mat_fI15__hip_bfloat162Li32ELi4ELi3ELb0EEvPKT_PKfPKiPfiiiiiiiiiiiiiiii
	.p2align	8
	.type	_ZL9mul_mat_fI15__hip_bfloat162Li32ELi4ELi3ELb0EEvPKT_PKfPKiPfiiiiiiiiiiiiiiii,@function
_ZL9mul_mat_fI15__hip_bfloat162Li32ELi4ELi3ELb0EEvPKT_PKfPKiPfiiiiiiiiiiiiiiii: ; @_ZL9mul_mat_fI15__hip_bfloat162Li32ELi4ELi3ELb0EEvPKT_PKfPKiPfiiiiiiiiiiiiiiii
; %bb.0:
	s_clause 0x1
	s_load_b256 s[4:11], s[0:1], 0x40
	s_load_b32 s21, s[0:1], 0x20
	v_bfe_u32 v36, v0, 10, 10
	v_and_b32_e32 v37, 0x3ff, v0
	s_mov_b32 s15, exec_lo
	s_delay_alu instid0(VALU_DEP_2) | instskip(NEXT) | instid1(VALU_DEP_2)
	v_lshlrev_b32_e32 v38, 5, v36
	v_and_b32_e32 v39, 15, v37
	s_delay_alu instid0(VALU_DEP_2)
	v_add_nc_u32_e32 v40, v38, v37
	s_wait_kmcnt 0x0
	s_abs_i32 s12, s4
	s_abs_i32 s23, s8
	s_cvt_f32_u32 s2, s12
	s_cvt_f32_u32 s3, s23
	s_delay_alu instid0(SALU_CYCLE_2) | instskip(NEXT) | instid1(SALU_CYCLE_2)
	v_rcp_iflag_f32_e32 v0, s2
	v_rcp_iflag_f32_e32 v1, s3
	s_mov_b32 s3, 0
	s_lshr_b32 s2, ttmp7, 16
	s_delay_alu instid0(TRANS32_DEP_2) | instskip(NEXT) | instid1(TRANS32_DEP_1)
	v_readfirstlane_b32 s13, v0
	v_readfirstlane_b32 s14, v1
	v_cmpx_le_i32_e64 s21, v40
	s_xor_b32 s15, exec_lo, s15
; %bb.1:
	v_and_b32_e32 v39, 15, v37
                                        ; implicit-def: $vgpr40
; %bb.2:
	s_or_saveexec_b32 s22, s15
	s_load_b96 s[16:18], s[0:1], 0x2c
	v_mov_b32_e32 v15, 0
	s_and_b32 s19, ttmp7, 0xffff
	s_lshl_b32 s20, ttmp9, 5
	s_delay_alu instid0(VALU_DEP_1)
	v_dual_mov_b32 v14, v15 :: v_dual_mov_b32 v13, v15
	v_dual_mov_b32 v12, v15 :: v_dual_mov_b32 v11, v15
	;; [unrolled: 1-line block ×7, first 2 shown]
	v_mov_b32_e32 v0, v15
	s_xor_b32 exec_lo, exec_lo, s22
	s_cbranch_execz .LBB59_6
; %bb.3:
	s_mul_f32 s13, s13, 0x4f7ffffe
	s_mul_f32 s14, s14, 0x4f7ffffe
	s_sub_co_i32 s24, 0, s12
	s_sub_co_i32 s25, 0, s23
	s_cvt_u32_f32 s13, s13
	s_cvt_u32_f32 s27, s14
	s_abs_i32 s14, s19
	s_mov_b32 s15, s3
	s_mul_i32 s24, s24, s13
	s_mul_i32 s25, s25, s27
	s_mul_hi_u32 s24, s13, s24
	s_mul_hi_u32 s28, s27, s25
	s_add_co_i32 s24, s13, s24
	s_mov_b32 s25, s3
	s_abs_i32 s26, s2
	s_mul_u64 s[24:25], s[14:15], s[24:25]
	s_ashr_i32 s24, s8, 31
	s_mul_i32 s13, s25, s12
	s_add_co_i32 s28, s27, s28
	s_sub_co_i32 s8, s14, s13
	s_ashr_i32 s4, s4, 31
	s_add_co_i32 s13, s25, 1
	s_sub_co_i32 s14, s8, s12
	s_cmp_ge_u32 s8, s12
	s_mov_b32 s27, s3
	s_cselect_b32 s13, s13, s25
	s_mov_b32 s29, s3
	s_cselect_b32 s8, s14, s8
	s_add_co_i32 s14, s13, 1
	s_mul_u64 s[28:29], s[26:27], s[28:29]
	s_cmp_ge_u32 s8, s12
	s_mul_i32 s12, s29, s23
	s_cselect_b32 s8, s14, s13
	s_sub_co_i32 s25, s26, s12
	s_xor_b32 s8, s8, s4
	s_load_b128 s[12:15], s[0:1], 0x0
	s_sub_co_i32 s26, s8, s4
	s_add_co_i32 s4, s29, 1
	s_sub_co_i32 s8, s25, s23
	s_cmp_ge_u32 s25, s23
	v_mad_u32_u24 v0, 0x900, v36, 0
	s_cselect_b32 s4, s4, s29
	s_cselect_b32 s8, s8, s25
	s_add_co_i32 s25, s4, 1
	s_cmp_ge_u32 s8, s23
	s_mov_b32 s8, s9
	s_cselect_b32 s4, s25, s4
	s_ashr_i32 s9, s9, 31
	s_xor_b32 s4, s4, s24
	v_mul_u32_u24_e32 v2, 0x90, v39
	s_sub_co_i32 s24, s4, s24
	v_and_b32_e32 v3, 0x3f0, v37
	s_ashr_i32 s25, s24, 31
	v_lshlrev_b32_e32 v1, 2, v37
	s_mul_u64 s[8:9], s[24:25], s[8:9]
	s_mul_i32 s24, s26, s5
	s_lshl_b64 s[54:55], s[8:9], 2
	s_ashr_i32 s25, s24, 31
	s_wait_kmcnt 0x0
	s_add_nc_u64 s[8:9], s[12:13], s[54:55]
	s_lshl_b64 s[56:57], s[24:25], 2
	s_mul_i32 s24, s16, s20
	v_add3_u32 v42, v0, v2, v3
	s_ashr_i32 s25, s24, 31
	v_dual_mov_b32 v43, 0 :: v_dual_lshlrev_b32 v2, 7, v36
	s_lshl_b64 s[60:61], s[24:25], 2
	s_add_nc_u64 s[8:9], s[8:9], s[56:57]
	s_add_nc_u64 s[56:57], s[56:57], s[60:61]
	s_mov_b32 s4, s10
	s_add_nc_u64 s[54:55], s[56:57], s[54:55]
	s_ashr_i32 s5, s10, 31
	v_add_co_u32 v2, s53, s54, v2
	v_dual_mov_b32 v0, 0 :: v_dual_add_nc_u32 v41, v0, v1
	v_add_co_ci_u32_e64 v3, null, s55, 0, s53
	v_lshlrev_b32_e32 v4, 8, v36
	s_mul_u64 s[4:5], s[4:5], s[2:3]
	v_add_co_u32 v1, vcc_lo, v2, v1
	s_lshl_b64 s[58:59], s[4:5], 2
	v_add_co_ci_u32_e64 v2, null, 0, v3, vcc_lo
	v_add_co_u32 v3, s53, s58, v4
	v_lshlrev_b32_e32 v5, 3, v37
	s_mul_i32 s4, s6, s19
	s_wait_alu 0xf1ff
	v_add_co_ci_u32_e64 v4, null, s59, 0, s53
	v_add_co_u32 v32, vcc_lo, s12, v1
	s_ashr_i32 s5, s4, 31
	s_wait_alu 0xfffd
	v_add_co_ci_u32_e64 v33, null, s13, v2, vcc_lo
	v_add_co_u32 v1, vcc_lo, v3, v5
	s_lshl_b64 s[62:63], s[4:5], 2
	s_wait_alu 0xfffd
	v_add_co_ci_u32_e64 v2, null, 0, v4, vcc_lo
	s_add_nc_u64 s[12:13], s[14:15], s[62:63]
	v_dual_mov_b32 v3, v0 :: v_dual_mov_b32 v6, v0
	s_wait_alu 0xfffe
	v_add_co_u32 v34, vcc_lo, s12, v1
	s_wait_alu 0xfffd
	v_add_co_ci_u32_e64 v35, null, s13, v2, vcc_lo
	v_dual_mov_b32 v1, v0 :: v_dual_mov_b32 v2, v0
	v_dual_mov_b32 v4, v0 :: v_dual_mov_b32 v5, v0
	;; [unrolled: 1-line block ×6, first 2 shown]
	v_mov_b32_e32 v15, v0
	s_add_nc_u64 s[26:27], s[14:15], s[58:59]
	s_ashr_i32 s65, s16, 31
	s_mov_b32 s64, s16
	s_ashr_i32 s67, s17, 31
	s_mov_b32 s66, s17
	s_add_nc_u64 s[4:5], s[8:9], s[60:61]
	s_add_nc_u64 s[8:9], s[26:27], s[62:63]
	s_mov_b32 s6, 0
	s_add_co_i32 s10, s16, s16
	s_add_co_i32 s23, s17, s17
	s_mul_i32 s17, s17, 3
	s_mul_i32 s24, s16, 3
	s_lshl_b32 s25, s16, 2
	s_mul_i32 s26, s16, 5
	s_mul_i32 s27, s16, 6
	;; [unrolled: 1-line block ×3, first 2 shown]
	s_lshl_b32 s29, s16, 3
	s_mul_i32 s30, s16, 9
	s_mul_i32 s31, s16, 10
	;; [unrolled: 1-line block ×7, first 2 shown]
	s_lshl_b32 s38, s16, 4
	s_mul_i32 s39, s16, 17
	s_mul_i32 s40, s16, 18
	;; [unrolled: 1-line block ×15, first 2 shown]
	s_lshl_b64 s[12:13], s[64:65], 2
	s_lshl_b64 s[14:15], s[66:67], 3
.LBB59_4:                               ; =>This Inner Loop Header: Depth=1
	global_load_b32 v16, v[32:33], off
	v_add_nc_u32_e32 v44, s38, v40
	s_delay_alu instid0(VALU_DEP_1) | instskip(NEXT) | instid1(VALU_DEP_1)
	v_ashrrev_i32_e32 v45, 31, v44
	v_lshlrev_b64_e32 v[44:45], 2, v[44:45]
	s_wait_loadcnt 0x0
	ds_store_b32 v41, v16
	s_wait_alu 0xfffe
	v_add_co_u32 v16, vcc_lo, v32, s12
	s_wait_alu 0xfffd
	v_add_co_ci_u32_e64 v17, null, s13, v33, vcc_lo
	global_load_b32 v16, v[16:17], off
	s_wait_loadcnt 0x0
	ds_store_b32 v41, v16 offset:144
	v_add_nc_u32_e32 v16, s10, v40
	s_delay_alu instid0(VALU_DEP_1) | instskip(NEXT) | instid1(VALU_DEP_1)
	v_ashrrev_i32_e32 v17, 31, v16
	v_lshlrev_b64_e32 v[16:17], 2, v[16:17]
	s_delay_alu instid0(VALU_DEP_1) | instskip(SKIP_1) | instid1(VALU_DEP_2)
	v_add_co_u32 v16, vcc_lo, s4, v16
	s_wait_alu 0xfffd
	v_add_co_ci_u32_e64 v17, null, s5, v17, vcc_lo
	global_load_b32 v16, v[16:17], off
	s_wait_loadcnt 0x0
	ds_store_b32 v41, v16 offset:288
	v_add_nc_u32_e32 v16, s24, v40
	s_delay_alu instid0(VALU_DEP_1) | instskip(NEXT) | instid1(VALU_DEP_1)
	v_ashrrev_i32_e32 v17, 31, v16
	v_lshlrev_b64_e32 v[16:17], 2, v[16:17]
	s_delay_alu instid0(VALU_DEP_1) | instskip(SKIP_1) | instid1(VALU_DEP_2)
	;; [unrolled: 11-line block ×14, first 2 shown]
	v_add_co_u32 v16, vcc_lo, s4, v16
	s_wait_alu 0xfffd
	v_add_co_ci_u32_e64 v17, null, s5, v17, vcc_lo
	v_add_co_u32 v44, vcc_lo, s4, v44
	s_wait_alu 0xfffd
	v_add_co_ci_u32_e64 v45, null, s5, v45, vcc_lo
	global_load_b32 v16, v[16:17], off
	s_wait_loadcnt 0x0
	ds_store_b32 v41, v16 offset:2160
	ds_load_b128 v[28:31], v42
	ds_load_b128 v[24:27], v42 offset:32
	ds_load_b128 v[20:23], v42 offset:64
	;; [unrolled: 1-line block ×3, first 2 shown]
	global_load_b32 v44, v[44:45], off
	s_wait_loadcnt 0x0
	ds_store_b32 v41, v44
	v_add_nc_u32_e32 v44, s39, v40
	s_delay_alu instid0(VALU_DEP_1) | instskip(NEXT) | instid1(VALU_DEP_1)
	v_ashrrev_i32_e32 v45, 31, v44
	v_lshlrev_b64_e32 v[44:45], 2, v[44:45]
	s_delay_alu instid0(VALU_DEP_1) | instskip(SKIP_1) | instid1(VALU_DEP_2)
	v_add_co_u32 v44, vcc_lo, s4, v44
	s_wait_alu 0xfffd
	v_add_co_ci_u32_e64 v45, null, s5, v45, vcc_lo
	global_load_b32 v44, v[44:45], off
	s_wait_loadcnt 0x0
	ds_store_b32 v41, v44 offset:144
	v_add_nc_u32_e32 v44, s40, v40
	s_delay_alu instid0(VALU_DEP_1) | instskip(NEXT) | instid1(VALU_DEP_1)
	v_ashrrev_i32_e32 v45, 31, v44
	v_lshlrev_b64_e32 v[44:45], 2, v[44:45]
	s_delay_alu instid0(VALU_DEP_1) | instskip(SKIP_1) | instid1(VALU_DEP_2)
	v_add_co_u32 v44, vcc_lo, s4, v44
	s_wait_alu 0xfffd
	v_add_co_ci_u32_e64 v45, null, s5, v45, vcc_lo
	global_load_b32 v44, v[44:45], off
	s_wait_loadcnt 0x0
	ds_store_b32 v41, v44 offset:288
	;; [unrolled: 11-line block ×15, first 2 shown]
	ds_load_b128 v[44:47], v42
	ds_load_b128 v[48:51], v42 offset:32
	ds_load_b128 v[52:55], v42 offset:64
	;; [unrolled: 1-line block ×3, first 2 shown]
	global_load_b64 v[60:61], v[34:35], off
	s_wait_loadcnt 0x0
	v_bfe_u32 v62, v60, 16, 1
	v_or_b32_e32 v63, 0x400000, v60
	v_cmp_u_f32_e32 vcc_lo, v60, v60
	s_delay_alu instid0(VALU_DEP_3) | instskip(SKIP_1) | instid1(VALU_DEP_1)
	v_add3_u32 v62, v62, v60, 0x7fff
	s_wait_alu 0xfffd
	v_cndmask_b32_e32 v60, v62, v63, vcc_lo
	v_bfe_u32 v62, v61, 16, 1
	v_or_b32_e32 v63, 0x400000, v61
	v_cmp_u_f32_e32 vcc_lo, v61, v61
	s_delay_alu instid0(VALU_DEP_3) | instskip(SKIP_1) | instid1(VALU_DEP_1)
	v_add3_u32 v62, v62, v61, 0x7fff
	s_wait_alu 0xfffd
	v_cndmask_b32_e32 v61, v62, v63, vcc_lo
	s_delay_alu instid0(VALU_DEP_1)
	v_perm_b32 v60, v61, v60, 0x7060302
	ds_store_b32 v41, v60
	v_add_co_u32 v60, vcc_lo, v34, s14
	s_wait_alu 0xfffd
	v_add_co_ci_u32_e64 v61, null, s15, v35, vcc_lo
	global_load_b64 v[60:61], v[60:61], off
	s_wait_loadcnt 0x0
	v_bfe_u32 v62, v60, 16, 1
	v_or_b32_e32 v63, 0x400000, v60
	v_cmp_u_f32_e32 vcc_lo, v60, v60
	s_delay_alu instid0(VALU_DEP_3) | instskip(SKIP_1) | instid1(VALU_DEP_1)
	v_add3_u32 v62, v62, v60, 0x7fff
	s_wait_alu 0xfffd
	v_cndmask_b32_e32 v60, v62, v63, vcc_lo
	v_bfe_u32 v62, v61, 16, 1
	v_or_b32_e32 v63, 0x400000, v61
	v_cmp_u_f32_e32 vcc_lo, v61, v61
	s_delay_alu instid0(VALU_DEP_3) | instskip(SKIP_1) | instid1(VALU_DEP_1)
	v_add3_u32 v62, v62, v61, 0x7fff
	s_wait_alu 0xfffd
	v_cndmask_b32_e32 v61, v62, v63, vcc_lo
	s_delay_alu instid0(VALU_DEP_1) | instskip(SKIP_2) | instid1(VALU_DEP_1)
	v_perm_b32 v60, v61, v60, 0x7060302
	ds_store_b32 v41, v60 offset:144
	v_add_nc_u32_e32 v60, s23, v40
	v_ashrrev_i32_e32 v61, 31, v60
	s_delay_alu instid0(VALU_DEP_1) | instskip(NEXT) | instid1(VALU_DEP_1)
	v_lshlrev_b64_e32 v[60:61], 3, v[60:61]
	v_add_co_u32 v60, vcc_lo, s8, v60
	s_wait_alu 0xfffd
	s_delay_alu instid0(VALU_DEP_2)
	v_add_co_ci_u32_e64 v61, null, s9, v61, vcc_lo
	global_load_b64 v[60:61], v[60:61], off
	s_wait_loadcnt 0x0
	v_bfe_u32 v62, v60, 16, 1
	v_or_b32_e32 v63, 0x400000, v60
	v_cmp_u_f32_e32 vcc_lo, v60, v60
	s_delay_alu instid0(VALU_DEP_3) | instskip(SKIP_1) | instid1(VALU_DEP_1)
	v_add3_u32 v62, v62, v60, 0x7fff
	s_wait_alu 0xfffd
	v_cndmask_b32_e32 v60, v62, v63, vcc_lo
	v_bfe_u32 v62, v61, 16, 1
	v_or_b32_e32 v63, 0x400000, v61
	v_cmp_u_f32_e32 vcc_lo, v61, v61
	s_delay_alu instid0(VALU_DEP_3) | instskip(SKIP_1) | instid1(VALU_DEP_1)
	v_add3_u32 v62, v62, v61, 0x7fff
	s_wait_alu 0xfffd
	v_cndmask_b32_e32 v61, v62, v63, vcc_lo
	s_delay_alu instid0(VALU_DEP_1) | instskip(SKIP_3) | instid1(VALU_DEP_2)
	v_perm_b32 v60, v61, v60, 0x7060302
	ds_store_b32 v41, v60 offset:288
	v_add_nc_u32_e32 v60, s17, v40
	v_add_nc_u32_e32 v40, 0x60, v40
	v_ashrrev_i32_e32 v61, 31, v60
	s_delay_alu instid0(VALU_DEP_1) | instskip(NEXT) | instid1(VALU_DEP_1)
	v_lshlrev_b64_e32 v[60:61], 3, v[60:61]
	v_add_co_u32 v60, vcc_lo, s8, v60
	s_wait_alu 0xfffd
	s_delay_alu instid0(VALU_DEP_2)
	v_add_co_ci_u32_e64 v61, null, s9, v61, vcc_lo
	global_load_b64 v[60:61], v[60:61], off
	s_wait_loadcnt 0x0
	v_bfe_u32 v62, v60, 16, 1
	v_or_b32_e32 v63, 0x400000, v60
	v_cmp_u_f32_e32 vcc_lo, v60, v60
	s_delay_alu instid0(VALU_DEP_3) | instskip(SKIP_1) | instid1(VALU_DEP_1)
	v_add3_u32 v62, v62, v60, 0x7fff
	s_wait_alu 0xfffd
	v_cndmask_b32_e32 v60, v62, v63, vcc_lo
	v_bfe_u32 v62, v61, 16, 1
	v_or_b32_e32 v63, 0x400000, v61
	v_cmp_u_f32_e32 vcc_lo, v61, v61
	s_delay_alu instid0(VALU_DEP_3) | instskip(SKIP_1) | instid1(VALU_DEP_1)
	v_add3_u32 v62, v62, v61, 0x7fff
	s_wait_alu 0xfffd
	v_cndmask_b32_e32 v61, v62, v63, vcc_lo
	v_add_co_u32 v32, vcc_lo, 0x180, v32
	s_wait_alu 0xfffd
	v_add_co_ci_u32_e64 v33, null, 0, v33, vcc_lo
	s_delay_alu instid0(VALU_DEP_3)
	v_perm_b32 v60, v61, v60, 0x7060302
	ds_store_b32 v41, v60 offset:432
	ds_store_b32 v41, v43 offset:576
	;; [unrolled: 1-line block ×13, first 2 shown]
	ds_load_b128 v[60:63], v42
	ds_load_b128 v[64:67], v42 offset:32
	v_add_co_u32 v34, vcc_lo, 0x300, v34
	s_wait_alu 0xfffd
	v_add_co_ci_u32_e64 v35, null, 0, v35, vcc_lo
	v_cmp_le_i32_e32 vcc_lo, s21, v40
	s_or_b32 s6, vcc_lo, s6
	s_wait_dscnt 0x1
	v_wmma_f32_16x16x16_bf16 v[8:15], v[28:31], v[60:63], v[8:15]
	v_wmma_f32_16x16x16_bf16 v[0:7], v[44:47], v[60:63], v[0:7]
	s_wait_dscnt 0x0
	s_delay_alu instid0(VALU_DEP_2)
	v_wmma_f32_16x16x16_bf16 v[8:15], v[24:27], v[64:67], v[8:15]
	ds_load_b128 v[24:27], v42 offset:64
	v_wmma_f32_16x16x16_bf16 v[0:7], v[48:51], v[64:67], v[0:7]
	s_wait_dscnt 0x0
	v_wmma_f32_16x16x16_bf16 v[8:15], v[20:23], v[24:27], v[8:15]
	ds_load_b128 v[20:23], v42 offset:96
	v_wmma_f32_16x16x16_bf16 v[0:7], v[52:55], v[24:27], v[0:7]
	s_wait_dscnt 0x0
	v_wmma_f32_16x16x16_bf16 v[8:15], v[16:19], v[20:23], v[8:15]
	s_delay_alu instid0(VALU_DEP_2)
	v_wmma_f32_16x16x16_bf16 v[0:7], v[56:59], v[20:23], v[0:7]
	s_and_not1_b32 exec_lo, exec_lo, s6
	s_cbranch_execnz .LBB59_4
; %bb.5:
	s_or_b32 exec_lo, exec_lo, s6
.LBB59_6:
	s_delay_alu instid0(SALU_CYCLE_1) | instskip(SKIP_4) | instid1(VALU_DEP_3)
	s_or_b32 exec_lo, exec_lo, s22
	v_lshlrev_b32_e32 v16, 1, v37
	v_lshl_add_u32 v17, v38, 2, 0
	v_mul_u32_u24_e32 v18, 0x190, v39
	s_barrier_signal -1
	v_and_b32_e32 v16, 0x7e0, v16
	s_barrier_wait -1
	global_inv scope:SCOPE_SE
	s_load_b64 s[0:1], s[0:1], 0x18
	s_ashr_i32 s5, s11, 31
	v_add3_u32 v17, v17, v18, v16
	v_lshl_add_u32 v16, v37, 2, 0
	s_mov_b32 s4, s11
	s_mul_i32 s6, s7, s19
	s_wait_alu 0xfffe
	s_mul_u64 s[2:3], s[4:5], s[2:3]
	ds_store_2addr_b32 v17, v8, v9 offset1:1
	ds_store_2addr_b32 v17, v10, v11 offset0:2 offset1:3
	ds_store_2addr_b32 v17, v12, v13 offset0:4 offset1:5
	ds_store_2addr_b32 v17, v14, v15 offset0:6 offset1:7
	ds_store_2addr_b32 v17, v0, v1 offset0:16 offset1:17
	ds_store_2addr_b32 v17, v2, v3 offset0:18 offset1:19
	ds_store_2addr_b32 v17, v4, v5 offset0:20 offset1:21
	ds_store_2addr_b32 v17, v6, v7 offset0:22 offset1:23
	v_mad_u32_u24 v0, 0x190, v36, v16
	s_wait_loadcnt_dscnt 0x0
	s_barrier_signal -1
	s_barrier_wait -1
	global_inv scope:SCOPE_SE
	ds_load_2addr_b32 v[3:4], v0 offset1:32
	ds_load_b32 v5, v0 offset:256
	v_add_nc_u32_e32 v0, s20, v37
	s_ashr_i32 s7, s6, 31
	s_wait_alu 0xfffe
	s_lshl_b64 s[2:3], s[2:3], 2
	s_lshl_b64 s[4:5], s[6:7], 2
	s_wait_kmcnt 0x0
	v_mad_co_u64_u32 v[1:2], null, v36, s18, v[0:1]
	v_mov_b32_e32 v2, 0
	s_wait_alu 0xfffe
	s_add_nc_u64 s[0:1], s[0:1], s[2:3]
	s_mov_b32 s2, exec_lo
	s_add_nc_u64 s[0:1], s[0:1], s[4:5]
	s_wait_dscnt 0x1
	v_add_f32_e32 v3, 0, v3
	s_delay_alu instid0(VALU_DEP_1) | instskip(SKIP_2) | instid1(VALU_DEP_2)
	v_add_f32_e32 v6, v3, v4
	v_lshlrev_b64_e32 v[3:4], 2, v[1:2]
	s_wait_dscnt 0x0
	v_add_f32_e32 v1, v6, v5
	s_delay_alu instid0(VALU_DEP_2) | instskip(SKIP_1) | instid1(VALU_DEP_3)
	v_add_co_u32 v3, vcc_lo, s0, v3
	s_wait_alu 0xfffd
	v_add_co_ci_u32_e64 v4, null, s1, v4, vcc_lo
	global_store_b32 v[3:4], v1, off
	v_cmpx_eq_u32_e32 0, v36
	s_cbranch_execz .LBB59_8
; %bb.7:
	v_add_nc_u32_e32 v1, 0x400, v16
	ds_load_2addr_b32 v[3:4], v1 offset0:44 offset1:76
	ds_load_b32 v5, v16 offset:1456
	v_mad_co_u64_u32 v[0:1], null, s18, 3, v[0:1]
	s_wait_dscnt 0x1
	v_add_f32_e32 v3, 0, v3
	s_delay_alu instid0(VALU_DEP_1) | instskip(NEXT) | instid1(VALU_DEP_1)
	v_dual_mov_b32 v1, v2 :: v_dual_add_f32 v2, v3, v4
	v_lshlrev_b64_e32 v[0:1], 2, v[0:1]
	s_wait_dscnt 0x0
	s_delay_alu instid0(VALU_DEP_2) | instskip(NEXT) | instid1(VALU_DEP_2)
	v_add_f32_e32 v2, v2, v5
	v_add_co_u32 v0, vcc_lo, s0, v0
	s_wait_alu 0xfffd
	s_delay_alu instid0(VALU_DEP_3)
	v_add_co_ci_u32_e64 v1, null, s1, v1, vcc_lo
	global_store_b32 v[0:1], v2, off
.LBB59_8:
	s_endpgm
	.section	.rodata,"a",@progbits
	.p2align	6, 0x0
	.amdhsa_kernel _ZL9mul_mat_fI15__hip_bfloat162Li32ELi4ELi3ELb0EEvPKT_PKfPKiPfiiiiiiiiiiiiiiii
		.amdhsa_group_segment_fixed_size 0
		.amdhsa_private_segment_fixed_size 0
		.amdhsa_kernarg_size 96
		.amdhsa_user_sgpr_count 2
		.amdhsa_user_sgpr_dispatch_ptr 0
		.amdhsa_user_sgpr_queue_ptr 0
		.amdhsa_user_sgpr_kernarg_segment_ptr 1
		.amdhsa_user_sgpr_dispatch_id 0
		.amdhsa_user_sgpr_private_segment_size 0
		.amdhsa_wavefront_size32 1
		.amdhsa_uses_dynamic_stack 0
		.amdhsa_enable_private_segment 0
		.amdhsa_system_sgpr_workgroup_id_x 1
		.amdhsa_system_sgpr_workgroup_id_y 1
		.amdhsa_system_sgpr_workgroup_id_z 1
		.amdhsa_system_sgpr_workgroup_info 0
		.amdhsa_system_vgpr_workitem_id 1
		.amdhsa_next_free_vgpr 68
		.amdhsa_next_free_sgpr 68
		.amdhsa_reserve_vcc 1
		.amdhsa_float_round_mode_32 0
		.amdhsa_float_round_mode_16_64 0
		.amdhsa_float_denorm_mode_32 3
		.amdhsa_float_denorm_mode_16_64 3
		.amdhsa_fp16_overflow 0
		.amdhsa_workgroup_processor_mode 1
		.amdhsa_memory_ordered 1
		.amdhsa_forward_progress 1
		.amdhsa_inst_pref_size 34
		.amdhsa_round_robin_scheduling 0
		.amdhsa_exception_fp_ieee_invalid_op 0
		.amdhsa_exception_fp_denorm_src 0
		.amdhsa_exception_fp_ieee_div_zero 0
		.amdhsa_exception_fp_ieee_overflow 0
		.amdhsa_exception_fp_ieee_underflow 0
		.amdhsa_exception_fp_ieee_inexact 0
		.amdhsa_exception_int_div_zero 0
	.end_amdhsa_kernel
	.section	.text._ZL9mul_mat_fI15__hip_bfloat162Li32ELi4ELi3ELb0EEvPKT_PKfPKiPfiiiiiiiiiiiiiiii,"axG",@progbits,_ZL9mul_mat_fI15__hip_bfloat162Li32ELi4ELi3ELb0EEvPKT_PKfPKiPfiiiiiiiiiiiiiiii,comdat
.Lfunc_end59:
	.size	_ZL9mul_mat_fI15__hip_bfloat162Li32ELi4ELi3ELb0EEvPKT_PKfPKiPfiiiiiiiiiiiiiiii, .Lfunc_end59-_ZL9mul_mat_fI15__hip_bfloat162Li32ELi4ELi3ELb0EEvPKT_PKfPKiPfiiiiiiiiiiiiiiii
                                        ; -- End function
	.set _ZL9mul_mat_fI15__hip_bfloat162Li32ELi4ELi3ELb0EEvPKT_PKfPKiPfiiiiiiiiiiiiiiii.num_vgpr, 68
	.set _ZL9mul_mat_fI15__hip_bfloat162Li32ELi4ELi3ELb0EEvPKT_PKfPKiPfiiiiiiiiiiiiiiii.num_agpr, 0
	.set _ZL9mul_mat_fI15__hip_bfloat162Li32ELi4ELi3ELb0EEvPKT_PKfPKiPfiiiiiiiiiiiiiiii.numbered_sgpr, 68
	.set _ZL9mul_mat_fI15__hip_bfloat162Li32ELi4ELi3ELb0EEvPKT_PKfPKiPfiiiiiiiiiiiiiiii.num_named_barrier, 0
	.set _ZL9mul_mat_fI15__hip_bfloat162Li32ELi4ELi3ELb0EEvPKT_PKfPKiPfiiiiiiiiiiiiiiii.private_seg_size, 0
	.set _ZL9mul_mat_fI15__hip_bfloat162Li32ELi4ELi3ELb0EEvPKT_PKfPKiPfiiiiiiiiiiiiiiii.uses_vcc, 1
	.set _ZL9mul_mat_fI15__hip_bfloat162Li32ELi4ELi3ELb0EEvPKT_PKfPKiPfiiiiiiiiiiiiiiii.uses_flat_scratch, 0
	.set _ZL9mul_mat_fI15__hip_bfloat162Li32ELi4ELi3ELb0EEvPKT_PKfPKiPfiiiiiiiiiiiiiiii.has_dyn_sized_stack, 0
	.set _ZL9mul_mat_fI15__hip_bfloat162Li32ELi4ELi3ELb0EEvPKT_PKfPKiPfiiiiiiiiiiiiiiii.has_recursion, 0
	.set _ZL9mul_mat_fI15__hip_bfloat162Li32ELi4ELi3ELb0EEvPKT_PKfPKiPfiiiiiiiiiiiiiiii.has_indirect_call, 0
	.section	.AMDGPU.csdata,"",@progbits
; Kernel info:
; codeLenInByte = 4336
; TotalNumSgprs: 70
; NumVgprs: 68
; ScratchSize: 0
; MemoryBound: 0
; FloatMode: 240
; IeeeMode: 1
; LDSByteSize: 0 bytes/workgroup (compile time only)
; SGPRBlocks: 0
; VGPRBlocks: 8
; NumSGPRsForWavesPerEU: 70
; NumVGPRsForWavesPerEU: 68
; Occupancy: 16
; WaveLimiterHint : 0
; COMPUTE_PGM_RSRC2:SCRATCH_EN: 0
; COMPUTE_PGM_RSRC2:USER_SGPR: 2
; COMPUTE_PGM_RSRC2:TRAP_HANDLER: 0
; COMPUTE_PGM_RSRC2:TGID_X_EN: 1
; COMPUTE_PGM_RSRC2:TGID_Y_EN: 1
; COMPUTE_PGM_RSRC2:TGID_Z_EN: 1
; COMPUTE_PGM_RSRC2:TIDIG_COMP_CNT: 1
	.section	.text._ZL13mul_mat_f_idsI15__hip_bfloat162Li32ELi4ELi4EEvPKT_PKfPKiS7_S7_Pfiiiiiiiiiiiiii15HIP_vector_typeIjLj3EESA_,"axG",@progbits,_ZL13mul_mat_f_idsI15__hip_bfloat162Li32ELi4ELi4EEvPKT_PKfPKiS7_S7_Pfiiiiiiiiiiiiii15HIP_vector_typeIjLj3EESA_,comdat
	.globl	_ZL13mul_mat_f_idsI15__hip_bfloat162Li32ELi4ELi4EEvPKT_PKfPKiS7_S7_Pfiiiiiiiiiiiiii15HIP_vector_typeIjLj3EESA_ ; -- Begin function _ZL13mul_mat_f_idsI15__hip_bfloat162Li32ELi4ELi4EEvPKT_PKfPKiS7_S7_Pfiiiiiiiiiiiiii15HIP_vector_typeIjLj3EESA_
	.p2align	8
	.type	_ZL13mul_mat_f_idsI15__hip_bfloat162Li32ELi4ELi4EEvPKT_PKfPKiS7_S7_Pfiiiiiiiiiiiiii15HIP_vector_typeIjLj3EESA_,@function
_ZL13mul_mat_f_idsI15__hip_bfloat162Li32ELi4ELi4EEvPKT_PKfPKiS7_S7_Pfiiiiiiiiiiiiii15HIP_vector_typeIjLj3EESA_: ; @_ZL13mul_mat_f_idsI15__hip_bfloat162Li32ELi4ELi4EEvPKT_PKfPKiS7_S7_Pfiiiiiiiiiiiiii15HIP_vector_typeIjLj3EESA_
; %bb.0:
	s_load_b64 s[4:5], s[0:1], 0x20
	s_and_b32 s2, ttmp7, 0xffff
	s_delay_alu instid0(SALU_CYCLE_1) | instskip(SKIP_4) | instid1(SALU_CYCLE_1)
	s_lshl_b32 s3, s2, 2
	s_wait_kmcnt 0x0
	s_load_b64 s[24:25], s[4:5], s3 offset:0x0
	s_wait_kmcnt 0x0
	s_sub_co_i32 s33, s25, s24
	s_add_co_i32 s3, s33, 3
	s_delay_alu instid0(SALU_CYCLE_1) | instskip(NEXT) | instid1(SALU_CYCLE_1)
	s_ashr_i32 s4, s3, 31
	s_lshr_b32 s4, s4, 30
	s_delay_alu instid0(SALU_CYCLE_1) | instskip(NEXT) | instid1(SALU_CYCLE_1)
	s_add_co_i32 s3, s3, s4
	s_ashr_i32 s4, s3, 2
	s_lshr_b32 s3, ttmp7, 16
	s_delay_alu instid0(SALU_CYCLE_1)
	s_cmp_ge_i32 s3, s4
	s_cbranch_scc1 .LBB60_22
; %bb.1:
	s_clause 0x3
	s_load_b128 s[4:7], s[0:1], 0x30
	s_load_b64 s[20:21], s[0:1], 0x40
	s_load_b128 s[8:11], s[0:1], 0x68
	s_load_b64 s[22:23], s[0:1], 0x78
	v_bfe_u32 v52, v0, 10, 10
	v_and_b32_e32 v51, 0x3ff, v0
	s_ashr_i32 s25, s24, 31
	s_mov_b32 s12, exec_lo
	s_delay_alu instid0(VALU_DEP_2) | instskip(NEXT) | instid1(VALU_DEP_2)
	v_lshlrev_b32_e32 v53, 5, v52
	v_and_b32_e32 v54, 15, v51
	s_delay_alu instid0(VALU_DEP_2) | instskip(SKIP_1) | instid1(VALU_DEP_1)
	v_add_nc_u32_e32 v48, v53, v51
	s_wait_kmcnt 0x0
	v_cmpx_le_i32_e64 s4, v48
	s_xor_b32 s12, exec_lo, s12
; %bb.2:
	v_and_b32_e32 v54, 15, v51
                                        ; implicit-def: $vgpr48
; %bb.3:
	s_or_saveexec_b32 s37, s12
	s_clause 0x1
	s_load_b64 s[26:27], s[0:1], 0x28
	s_load_b96 s[16:18], s[0:1], 0x4c
	v_mov_b32_e32 v7, 0
	s_lshl_b32 s19, ttmp9, 5
	s_lshl_b32 s36, s3, 2
	s_delay_alu instid0(VALU_DEP_1)
	v_dual_mov_b32 v6, v7 :: v_dual_mov_b32 v5, v7
	v_dual_mov_b32 v4, v7 :: v_dual_mov_b32 v3, v7
	;; [unrolled: 1-line block ×7, first 2 shown]
	v_mov_b32_e32 v8, v7
	s_xor_b32 exec_lo, exec_lo, s37
	s_cbranch_execz .LBB60_19
; %bb.4:
	s_clause 0x1
	s_load_b128 s[12:15], s[0:1], 0x0
	s_load_b64 s[28:29], s[0:1], 0x10
	s_wait_kmcnt 0x0
	s_mul_i32 s30, s16, s2
	s_mul_i32 s34, s7, s19
	s_ashr_i32 s31, s30, 31
	s_ashr_i32 s35, s34, 31
	s_lshl_b64 s[38:39], s[24:25], 2
	s_lshl_b64 s[68:69], s[30:31], 2
	;; [unrolled: 1-line block ×3, first 2 shown]
	s_cmp_lt_i32 s36, s33
	v_mad_u32_u24 v0, 0x900, v52, 0
	v_dual_mov_b32 v8, 0 :: v_dual_lshlrev_b32 v1, 2, v51
	v_mul_u32_u24_e32 v2, 0x90, v54
	s_cselect_b32 s16, -1, 0
	s_or_b32 s30, s36, 1
	v_mov_b32_e32 v57, 0
	v_and_b32_e32 v3, 0x3f0, v51
	s_lshl_b32 s2, s36, 2
	s_cmp_lt_i32 s30, s33
	s_add_nc_u64 s[30:31], s[12:13], s[68:69]
	s_add_nc_u64 s[34:35], s[28:29], s[38:39]
	;; [unrolled: 1-line block ×3, first 2 shown]
	s_cselect_b32 s38, -1, 0
	s_or_b32 s30, s36, 2
	v_dual_mov_b32 v10, v57 :: v_dual_add_nc_u32 v55, v0, v1
	v_add3_u32 v56, v0, v2, v3
	v_dual_mov_b32 v9, v57 :: v_dual_lshlrev_b32 v0, 7, v52
	s_mov_b32 s3, 0
	s_cmp_lt_i32 s30, s33
	s_add_nc_u64 s[30:31], s[34:35], s[2:3]
	s_cselect_b32 s39, -1, 0
	s_or_b32 s2, s36, 3
	s_add_nc_u64 s[68:69], s[68:69], s[70:71]
	s_cmp_lt_i32 s2, s33
	v_add_co_u32 v0, s2, s68, v0
	s_delay_alu instid0(VALU_DEP_1) | instskip(SKIP_2) | instid1(VALU_DEP_1)
	v_add_co_ci_u32_e64 v2, null, s69, 0, s2
	s_mov_b32 s34, s8
	v_add_co_u32 v0, vcc_lo, v0, v1
	v_add_co_ci_u32_e64 v1, null, 0, v2, vcc_lo
	s_cselect_b32 s8, -1, 0
	v_add_co_u32 v49, vcc_lo, s12, v0
	s_wait_alu 0xfffd
	v_add_co_ci_u32_e64 v50, null, s13, v1, vcc_lo
	v_dual_mov_b32 v0, 0 :: v_dual_mov_b32 v11, v57
	v_mov_b32_e32 v14, v57
	v_dual_mov_b32 v12, v57 :: v_dual_mov_b32 v13, v57
	v_dual_mov_b32 v2, v57 :: v_dual_mov_b32 v15, v57
	;; [unrolled: 1-line block ×4, first 2 shown]
	v_mov_b32_e32 v5, v57
	v_mov_b32_e32 v7, v57
	s_ashr_i32 s73, s7, 31
	s_mov_b32 s72, s7
	s_mov_b32 s35, s3
	s_add_co_i32 s40, s7, s7
	s_mul_i32 s41, s7, 3
	s_lshl_b32 s42, s7, 2
	s_mul_i32 s43, s7, 5
	s_mul_i32 s44, s7, 6
	;; [unrolled: 1-line block ×3, first 2 shown]
	s_lshl_b32 s46, s7, 3
	s_mul_i32 s47, s7, 9
	s_mul_i32 s48, s7, 10
	;; [unrolled: 1-line block ×7, first 2 shown]
	s_lshl_b32 s54, s7, 4
	s_mul_i32 s55, s7, 17
	s_mul_i32 s56, s7, 18
	;; [unrolled: 1-line block ×15, first 2 shown]
	s_lshl_b64 s[12:13], s[72:73], 2
	s_mov_b32 s69, 0
	s_branch .LBB60_6
.LBB60_5:                               ;   in Loop: Header=BB60_6 Depth=1
	v_perm_b32 v58, v58, v59, 0x5040100
	v_perm_b32 v59, v61, v62, 0x5040100
	;; [unrolled: 1-line block ×4, first 2 shown]
	v_add_nc_u32_e32 v62, 0x400, v55
	ds_store_2addr_b32 v55, v58, v59 offset1:36
	ds_store_2addr_b32 v55, v60, v61 offset0:72 offset1:108
	ds_store_2addr_b32 v55, v57, v57 offset0:144 offset1:180
	v_add_nc_u32_e32 v58, 0x600, v55
	ds_store_2addr_b32 v55, v57, v57 offset0:216 offset1:252
	ds_store_2addr_b32 v62, v57, v57 offset0:32 offset1:68
	;; [unrolled: 1-line block ×5, first 2 shown]
	ds_load_b128 v[58:61], v56
	ds_load_b128 v[62:65], v56 offset:32
	ds_load_b128 v[66:69], v56 offset:64
	;; [unrolled: 1-line block ×3, first 2 shown]
	v_add_nc_u32_e32 v48, 0x80, v48
	v_add_co_u32 v49, s2, 0x200, v49
	s_wait_alu 0xf1ff
	v_add_co_ci_u32_e64 v50, null, 0, v50, s2
	s_delay_alu instid0(VALU_DEP_3)
	v_cmp_le_i32_e32 vcc_lo, s4, v48
	s_or_b32 s69, vcc_lo, s69
	s_wait_dscnt 0x3
	v_wmma_f32_16x16x16_bf16 v[8:15], v[32:35], v[58:61], v[8:15]
	v_wmma_f32_16x16x16_bf16 v[0:7], v[44:47], v[58:61], v[0:7]
	s_wait_dscnt 0x2
	s_delay_alu instid0(VALU_DEP_2) | instskip(NEXT) | instid1(VALU_DEP_2)
	v_wmma_f32_16x16x16_bf16 v[8:15], v[28:31], v[62:65], v[8:15]
	v_wmma_f32_16x16x16_bf16 v[0:7], v[40:43], v[62:65], v[0:7]
	s_wait_dscnt 0x1
	s_delay_alu instid0(VALU_DEP_2) | instskip(NEXT) | instid1(VALU_DEP_2)
	;; [unrolled: 4-line block ×3, first 2 shown]
	v_wmma_f32_16x16x16_bf16 v[8:15], v[16:19], v[70:73], v[8:15]
	v_wmma_f32_16x16x16_bf16 v[0:7], v[20:23], v[70:73], v[0:7]
	s_wait_alu 0xfffe
	s_and_not1_b32 exec_lo, exec_lo, s69
	s_cbranch_execz .LBB60_18
.LBB60_6:                               ; =>This Inner Loop Header: Depth=1
	v_add_nc_u32_e32 v22, s42, v48
	v_add_nc_u32_e32 v16, s40, v48
	s_wait_alu 0xfffe
	v_add_co_u32 v20, vcc_lo, v49, s12
	v_add_nc_u32_e32 v18, s41, v48
	s_wait_alu 0xfffd
	v_add_co_ci_u32_e64 v21, null, s13, v50, vcc_lo
	v_ashrrev_i32_e32 v23, 31, v22
	v_ashrrev_i32_e32 v17, 31, v16
	v_add_nc_u32_e32 v24, s43, v48
	v_ashrrev_i32_e32 v19, 31, v18
	s_clause 0x1
	global_load_b32 v38, v[49:50], off
	global_load_b32 v39, v[20:21], off
	v_lshlrev_b64_e32 v[20:21], 2, v[22:23]
	v_add_nc_u32_e32 v22, s44, v48
	v_lshlrev_b64_e32 v[16:17], 2, v[16:17]
	v_add_nc_u32_e32 v26, s45, v48
	v_ashrrev_i32_e32 v25, 31, v24
	v_lshlrev_b64_e32 v[18:19], 2, v[18:19]
	v_add_nc_u32_e32 v28, s46, v48
	v_ashrrev_i32_e32 v23, 31, v22
	v_add_nc_u32_e32 v30, s47, v48
	v_ashrrev_i32_e32 v27, 31, v26
	v_add_co_u32 v16, vcc_lo, s28, v16
	v_lshlrev_b64_e32 v[24:25], 2, v[24:25]
	v_ashrrev_i32_e32 v29, 31, v28
	s_wait_alu 0xfffd
	v_add_co_ci_u32_e64 v17, null, s29, v17, vcc_lo
	v_add_co_u32 v18, vcc_lo, s28, v18
	v_lshlrev_b64_e32 v[22:23], 2, v[22:23]
	v_ashrrev_i32_e32 v31, 31, v30
	s_wait_alu 0xfffd
	v_add_co_ci_u32_e64 v19, null, s29, v19, vcc_lo
	v_add_co_u32 v20, vcc_lo, s28, v20
	v_lshlrev_b64_e32 v[26:27], 2, v[26:27]
	s_wait_alu 0xfffd
	v_add_co_ci_u32_e64 v21, null, s29, v21, vcc_lo
	v_add_co_u32 v24, vcc_lo, s28, v24
	v_lshlrev_b64_e32 v[28:29], 2, v[28:29]
	;; [unrolled: 4-line block ×3, first 2 shown]
	s_wait_alu 0xfffd
	v_add_co_ci_u32_e64 v23, null, s29, v23, vcc_lo
	v_add_co_u32 v26, vcc_lo, s28, v26
	v_add_nc_u32_e32 v32, s48, v48
	s_wait_alu 0xfffd
	v_add_co_ci_u32_e64 v27, null, s29, v27, vcc_lo
	v_add_co_u32 v28, vcc_lo, s28, v28
	v_add_nc_u32_e32 v34, s49, v48
	;; [unrolled: 4-line block ×3, first 2 shown]
	v_ashrrev_i32_e32 v33, 31, v32
	s_wait_alu 0xfffd
	v_add_co_ci_u32_e64 v31, null, s29, v31, vcc_lo
	s_clause 0x7
	global_load_b32 v40, v[16:17], off
	global_load_b32 v41, v[18:19], off
	;; [unrolled: 1-line block ×8, first 2 shown]
	v_add_nc_u32_e32 v18, s51, v48
	v_ashrrev_i32_e32 v35, 31, v34
	v_add_nc_u32_e32 v24, s52, v48
	v_ashrrev_i32_e32 v37, 31, v36
	v_lshlrev_b64_e32 v[32:33], 2, v[32:33]
	v_add_nc_u32_e32 v26, s53, v48
	v_ashrrev_i32_e32 v19, 31, v18
	v_lshlrev_b64_e32 v[16:17], 2, v[34:35]
	;; [unrolled: 3-line block ×3, first 2 shown]
	v_add_nc_u32_e32 v30, s55, v48
	v_ashrrev_i32_e32 v27, 31, v26
	v_add_co_u32 v20, vcc_lo, s28, v32
	v_lshlrev_b64_e32 v[18:19], 2, v[18:19]
	v_ashrrev_i32_e32 v29, 31, v28
	s_wait_alu 0xfffd
	v_add_co_ci_u32_e64 v21, null, s29, v33, vcc_lo
	v_add_co_u32 v16, vcc_lo, s28, v16
	v_lshlrev_b64_e32 v[24:25], 2, v[24:25]
	v_ashrrev_i32_e32 v31, 31, v30
	s_wait_alu 0xfffd
	v_add_co_ci_u32_e64 v17, null, s29, v17, vcc_lo
	v_add_co_u32 v22, vcc_lo, s28, v22
	v_lshlrev_b64_e32 v[26:27], 2, v[26:27]
	s_wait_alu 0xfffd
	v_add_co_ci_u32_e64 v23, null, s29, v23, vcc_lo
	v_add_co_u32 v18, vcc_lo, s28, v18
	v_lshlrev_b64_e32 v[28:29], 2, v[28:29]
	;; [unrolled: 4-line block ×3, first 2 shown]
	s_wait_alu 0xfffd
	v_add_co_ci_u32_e64 v25, null, s29, v25, vcc_lo
	v_add_co_u32 v26, vcc_lo, s28, v26
	v_add_nc_u32_e32 v32, s56, v48
	s_wait_alu 0xfffd
	v_add_co_ci_u32_e64 v27, null, s29, v27, vcc_lo
	v_add_co_u32 v28, vcc_lo, s28, v28
	v_add_nc_u32_e32 v34, s57, v48
	;; [unrolled: 4-line block ×3, first 2 shown]
	v_ashrrev_i32_e32 v33, 31, v32
	s_wait_alu 0xfffd
	v_add_co_ci_u32_e64 v31, null, s29, v31, vcc_lo
	s_clause 0x7
	global_load_b32 v58, v[20:21], off
	global_load_b32 v59, v[16:17], off
	;; [unrolled: 1-line block ×8, first 2 shown]
	v_add_nc_u32_e32 v18, s59, v48
	v_ashrrev_i32_e32 v35, 31, v34
	v_add_nc_u32_e32 v24, s60, v48
	v_ashrrev_i32_e32 v37, 31, v36
	v_lshlrev_b64_e32 v[32:33], 2, v[32:33]
	v_add_nc_u32_e32 v26, s61, v48
	v_ashrrev_i32_e32 v19, 31, v18
	v_lshlrev_b64_e32 v[16:17], 2, v[34:35]
	;; [unrolled: 3-line block ×3, first 2 shown]
	v_add_nc_u32_e32 v30, s63, v48
	v_ashrrev_i32_e32 v27, 31, v26
	v_add_co_u32 v20, vcc_lo, s28, v32
	v_lshlrev_b64_e32 v[18:19], 2, v[18:19]
	v_ashrrev_i32_e32 v29, 31, v28
	s_wait_alu 0xfffd
	v_add_co_ci_u32_e64 v21, null, s29, v33, vcc_lo
	v_add_co_u32 v16, vcc_lo, s28, v16
	v_lshlrev_b64_e32 v[24:25], 2, v[24:25]
	v_ashrrev_i32_e32 v31, 31, v30
	s_wait_alu 0xfffd
	v_add_co_ci_u32_e64 v17, null, s29, v17, vcc_lo
	v_add_co_u32 v22, vcc_lo, s28, v22
	v_lshlrev_b64_e32 v[26:27], 2, v[26:27]
	s_wait_alu 0xfffd
	v_add_co_ci_u32_e64 v23, null, s29, v23, vcc_lo
	v_add_co_u32 v18, vcc_lo, s28, v18
	v_lshlrev_b64_e32 v[28:29], 2, v[28:29]
	;; [unrolled: 4-line block ×3, first 2 shown]
	s_wait_alu 0xfffd
	v_add_co_ci_u32_e64 v25, null, s29, v25, vcc_lo
	v_add_co_u32 v26, vcc_lo, s28, v26
	v_add_nc_u32_e32 v32, s64, v48
	s_wait_alu 0xfffd
	v_add_co_ci_u32_e64 v27, null, s29, v27, vcc_lo
	v_add_co_u32 v28, vcc_lo, s28, v28
	v_add_nc_u32_e32 v34, s65, v48
	;; [unrolled: 4-line block ×3, first 2 shown]
	v_ashrrev_i32_e32 v33, 31, v32
	s_wait_alu 0xfffd
	v_add_co_ci_u32_e64 v31, null, s29, v31, vcc_lo
	s_clause 0x7
	global_load_b32 v66, v[20:21], off
	global_load_b32 v67, v[16:17], off
	;; [unrolled: 1-line block ×8, first 2 shown]
	v_add_nc_u32_e32 v18, s67, v48
	v_ashrrev_i32_e32 v35, 31, v34
	v_add_nc_u32_e32 v24, s68, v48
	v_ashrrev_i32_e32 v37, 31, v36
	v_lshlrev_b64_e32 v[32:33], 2, v[32:33]
	v_add_nc_u32_e32 v26, s7, v48
	v_ashrrev_i32_e32 v19, 31, v18
	v_lshlrev_b64_e32 v[16:17], 2, v[34:35]
	v_ashrrev_i32_e32 v25, 31, v24
	v_lshlrev_b64_e32 v[22:23], 2, v[36:37]
	v_ashrrev_i32_e32 v27, 31, v26
	v_add_co_u32 v20, vcc_lo, s28, v32
	v_lshlrev_b64_e32 v[18:19], 2, v[18:19]
	s_wait_alu 0xfffd
	v_add_co_ci_u32_e64 v21, null, s29, v33, vcc_lo
	v_add_co_u32 v16, vcc_lo, s28, v16
	v_lshlrev_b64_e32 v[24:25], 2, v[24:25]
	s_wait_alu 0xfffd
	v_add_co_ci_u32_e64 v17, null, s29, v17, vcc_lo
	;; [unrolled: 4-line block ×3, first 2 shown]
	v_add_co_u32 v18, vcc_lo, s28, v18
	s_wait_alu 0xfffd
	v_add_co_ci_u32_e64 v19, null, s29, v19, vcc_lo
	v_add_co_u32 v24, vcc_lo, s28, v24
	s_wait_alu 0xfffd
	v_add_co_ci_u32_e64 v25, null, s29, v25, vcc_lo
	;; [unrolled: 3-line block ×3, first 2 shown]
	s_clause 0x5
	global_load_b32 v20, v[20:21], off
	global_load_b32 v21, v[16:17], off
	;; [unrolled: 1-line block ×6, first 2 shown]
	s_and_not1_b32 vcc_lo, exec_lo, s16
	s_wait_loadcnt 0x1f
	ds_store_b32 v55, v38
	s_wait_loadcnt 0x1e
	ds_store_b32 v55, v39 offset:144
	s_wait_loadcnt 0x1d
	ds_store_b32 v55, v40 offset:288
	s_wait_loadcnt 0x1c
	ds_store_b32 v55, v41 offset:432
	s_wait_loadcnt 0x1b
	ds_store_b32 v55, v42 offset:576
	s_wait_loadcnt 0x1a
	ds_store_b32 v55, v43 offset:720
	s_wait_loadcnt 0x19
	ds_store_b32 v55, v44 offset:864
	s_wait_loadcnt 0x18
	ds_store_b32 v55, v45 offset:1008
	s_wait_loadcnt 0x17
	ds_store_b32 v55, v46 offset:1152
	s_wait_loadcnt 0x16
	ds_store_b32 v55, v47 offset:1296
	s_wait_loadcnt 0x15
	ds_store_b32 v55, v58 offset:1440
	s_wait_loadcnt 0x14
	ds_store_b32 v55, v59 offset:1584
	s_wait_loadcnt 0x13
	ds_store_b32 v55, v60 offset:1728
	s_wait_loadcnt 0x12
	ds_store_b32 v55, v61 offset:1872
	s_wait_loadcnt 0x11
	ds_store_b32 v55, v62 offset:2016
	s_wait_loadcnt 0x10
	ds_store_b32 v55, v63 offset:2160
	ds_load_b128 v[32:35], v56
	ds_load_b128 v[28:31], v56 offset:32
	ds_load_b128 v[24:27], v56 offset:64
	;; [unrolled: 1-line block ×3, first 2 shown]
	s_wait_loadcnt 0xf
	ds_store_b32 v55, v64
	s_wait_loadcnt 0xe
	ds_store_b32 v55, v65 offset:144
	s_wait_loadcnt 0xd
	ds_store_b32 v55, v66 offset:288
	;; [unrolled: 2-line block ×15, first 2 shown]
	ds_load_b128 v[44:47], v56
	ds_load_b128 v[40:43], v56 offset:32
	ds_load_b128 v[36:39], v56 offset:64
	;; [unrolled: 1-line block ×3, first 2 shown]
	v_dual_mov_b32 v59, 0 :: v_dual_mov_b32 v58, 0
	s_wait_alu 0xfffe
	s_cbranch_vccnz .LBB60_9
; %bb.7:                                ;   in Loop: Header=BB60_6 Depth=1
	s_load_b32 s2, s[30:31], 0x0
	v_dual_mov_b32 v58, 0 :: v_dual_mov_b32 v59, 0
	s_wait_kmcnt 0x0
	s_mul_u64 s[70:71], s[2:3], s[34:35]
	s_wait_alu 0xfffe
	s_add_co_i32 s70, s2, s71
	s_wait_alu 0xfffe
	s_lshr_b32 s70, s70, s9
	s_wait_alu 0xfffe
	s_cmp_ge_i32 s70, s5
	s_cbranch_scc1 .LBB60_9
; %bb.8:                                ;   in Loop: Header=BB60_6 Depth=1
	v_mad_co_u64_u32 v[58:59], null, s70, s20, v[48:49]
	s_mul_i32 s70, s70, s10
	s_wait_alu 0xfffe
	s_sub_co_i32 s2, s2, s70
	s_wait_alu 0xfffe
	s_mul_i32 s2, s2, s17
	s_wait_alu 0xfffe
	v_lshl_add_u32 v58, v58, 1, s2
	s_delay_alu instid0(VALU_DEP_1) | instskip(NEXT) | instid1(VALU_DEP_1)
	v_ashrrev_i32_e32 v59, 31, v58
	v_lshlrev_b64_e32 v[58:59], 2, v[58:59]
	s_delay_alu instid0(VALU_DEP_1) | instskip(SKIP_1) | instid1(VALU_DEP_2)
	v_add_co_u32 v58, vcc_lo, s14, v58
	s_wait_alu 0xfffd
	v_add_co_ci_u32_e64 v59, null, s15, v59, vcc_lo
	global_load_b64 v[58:59], v[58:59], off
	s_wait_loadcnt 0x0
	v_bfe_u32 v60, v58, 16, 1
	v_bfe_u32 v61, v59, 16, 1
	v_or_b32_e32 v62, 0x400000, v58
	v_cmp_u_f32_e32 vcc_lo, v58, v58
	v_or_b32_e32 v63, 0x400000, v59
	v_add3_u32 v60, v60, v58, 0x7fff
	v_add3_u32 v61, v61, v59, 0x7fff
	s_wait_alu 0xfffd
	s_delay_alu instid0(VALU_DEP_2) | instskip(SKIP_1) | instid1(VALU_DEP_2)
	v_cndmask_b32_e32 v58, v60, v62, vcc_lo
	v_cmp_u_f32_e32 vcc_lo, v59, v59
	v_lshrrev_b32_e32 v59, 16, v58
	s_wait_alu 0xfffd
	v_cndmask_b32_e32 v60, v61, v63, vcc_lo
	s_delay_alu instid0(VALU_DEP_1)
	v_lshrrev_b32_e32 v58, 16, v60
.LBB60_9:                               ;   in Loop: Header=BB60_6 Depth=1
	v_dual_mov_b32 v60, 0 :: v_dual_mov_b32 v61, 0
	v_mov_b32_e32 v62, 0
	s_and_not1_b32 vcc_lo, exec_lo, s38
	s_wait_alu 0xfffe
	s_cbranch_vccnz .LBB60_12
; %bb.10:                               ;   in Loop: Header=BB60_6 Depth=1
	s_load_b32 s2, s[30:31], 0x4
	v_dual_mov_b32 v61, 0 :: v_dual_mov_b32 v62, 0
	s_wait_kmcnt 0x0
	s_mul_u64 s[70:71], s[2:3], s[34:35]
	s_wait_alu 0xfffe
	s_add_co_i32 s70, s2, s71
	s_wait_alu 0xfffe
	s_lshr_b32 s70, s70, s9
	s_wait_alu 0xfffe
	s_cmp_ge_i32 s70, s5
	s_cbranch_scc1 .LBB60_12
; %bb.11:                               ;   in Loop: Header=BB60_6 Depth=1
	v_mad_co_u64_u32 v[61:62], null, s70, s20, v[48:49]
	s_mul_i32 s70, s70, s10
	s_wait_alu 0xfffe
	s_sub_co_i32 s2, s2, s70
	s_wait_alu 0xfffe
	s_mul_i32 s2, s2, s17
	s_wait_alu 0xfffe
	v_lshl_add_u32 v61, v61, 1, s2
	s_delay_alu instid0(VALU_DEP_1) | instskip(NEXT) | instid1(VALU_DEP_1)
	v_ashrrev_i32_e32 v62, 31, v61
	v_lshlrev_b64_e32 v[61:62], 2, v[61:62]
	s_delay_alu instid0(VALU_DEP_1) | instskip(SKIP_1) | instid1(VALU_DEP_2)
	v_add_co_u32 v61, vcc_lo, s14, v61
	s_wait_alu 0xfffd
	v_add_co_ci_u32_e64 v62, null, s15, v62, vcc_lo
	global_load_b64 v[61:62], v[61:62], off
	s_wait_loadcnt 0x0
	v_bfe_u32 v63, v61, 16, 1
	v_bfe_u32 v64, v62, 16, 1
	v_or_b32_e32 v65, 0x400000, v61
	v_cmp_u_f32_e32 vcc_lo, v61, v61
	v_or_b32_e32 v66, 0x400000, v62
	v_add3_u32 v63, v63, v61, 0x7fff
	v_add3_u32 v64, v64, v62, 0x7fff
	s_wait_alu 0xfffd
	s_delay_alu instid0(VALU_DEP_2) | instskip(SKIP_1) | instid1(VALU_DEP_2)
	v_cndmask_b32_e32 v61, v63, v65, vcc_lo
	v_cmp_u_f32_e32 vcc_lo, v62, v62
	v_lshrrev_b32_e32 v62, 16, v61
	s_wait_alu 0xfffd
	v_cndmask_b32_e32 v63, v64, v66, vcc_lo
	s_delay_alu instid0(VALU_DEP_1)
	v_lshrrev_b32_e32 v61, 16, v63
.LBB60_12:                              ;   in Loop: Header=BB60_6 Depth=1
	v_mov_b32_e32 v63, 0
	s_and_not1_b32 vcc_lo, exec_lo, s39
	s_wait_alu 0xfffe
	s_cbranch_vccnz .LBB60_15
; %bb.13:                               ;   in Loop: Header=BB60_6 Depth=1
	s_load_b32 s2, s[30:31], 0x8
	v_dual_mov_b32 v63, 0 :: v_dual_mov_b32 v60, 0
	s_wait_kmcnt 0x0
	s_mul_u64 s[70:71], s[2:3], s[34:35]
	s_wait_alu 0xfffe
	s_add_co_i32 s70, s2, s71
	s_wait_alu 0xfffe
	s_lshr_b32 s70, s70, s9
	s_wait_alu 0xfffe
	s_cmp_ge_i32 s70, s5
	s_cbranch_scc1 .LBB60_15
; %bb.14:                               ;   in Loop: Header=BB60_6 Depth=1
	v_mad_co_u64_u32 v[63:64], null, s70, s20, v[48:49]
	s_mul_i32 s70, s70, s10
	s_wait_alu 0xfffe
	s_sub_co_i32 s2, s2, s70
	s_wait_alu 0xfffe
	s_mul_i32 s2, s2, s17
	s_wait_alu 0xfffe
	v_lshl_add_u32 v63, v63, 1, s2
	s_delay_alu instid0(VALU_DEP_1) | instskip(NEXT) | instid1(VALU_DEP_1)
	v_ashrrev_i32_e32 v64, 31, v63
	v_lshlrev_b64_e32 v[63:64], 2, v[63:64]
	s_delay_alu instid0(VALU_DEP_1) | instskip(SKIP_1) | instid1(VALU_DEP_2)
	v_add_co_u32 v63, vcc_lo, s14, v63
	s_wait_alu 0xfffd
	v_add_co_ci_u32_e64 v64, null, s15, v64, vcc_lo
	global_load_b64 v[63:64], v[63:64], off
	s_wait_loadcnt 0x0
	v_bfe_u32 v60, v63, 16, 1
	v_bfe_u32 v65, v64, 16, 1
	v_or_b32_e32 v66, 0x400000, v63
	v_cmp_u_f32_e32 vcc_lo, v63, v63
	v_or_b32_e32 v67, 0x400000, v64
	v_add3_u32 v60, v60, v63, 0x7fff
	v_add3_u32 v65, v65, v64, 0x7fff
	s_wait_alu 0xfffd
	s_delay_alu instid0(VALU_DEP_2) | instskip(SKIP_3) | instid1(VALU_DEP_3)
	v_cndmask_b32_e32 v60, v60, v66, vcc_lo
	v_cmp_u_f32_e32 vcc_lo, v64, v64
	s_wait_alu 0xfffd
	v_cndmask_b32_e32 v63, v65, v67, vcc_lo
	v_lshrrev_b32_e32 v60, 16, v60
	s_delay_alu instid0(VALU_DEP_2)
	v_lshrrev_b32_e32 v63, 16, v63
.LBB60_15:                              ;   in Loop: Header=BB60_6 Depth=1
	v_dual_mov_b32 v64, 0 :: v_dual_mov_b32 v65, 0
	s_and_not1_b32 vcc_lo, exec_lo, s8
	s_wait_alu 0xfffe
	s_cbranch_vccnz .LBB60_5
; %bb.16:                               ;   in Loop: Header=BB60_6 Depth=1
	s_load_b32 s2, s[30:31], 0xc
	v_dual_mov_b32 v65, 0 :: v_dual_mov_b32 v64, 0
	s_wait_kmcnt 0x0
	s_mul_u64 s[70:71], s[2:3], s[34:35]
	s_wait_alu 0xfffe
	s_add_co_i32 s70, s2, s71
	s_wait_alu 0xfffe
	s_lshr_b32 s70, s70, s9
	s_wait_alu 0xfffe
	s_cmp_ge_i32 s70, s5
	s_cbranch_scc1 .LBB60_5
; %bb.17:                               ;   in Loop: Header=BB60_6 Depth=1
	v_mad_co_u64_u32 v[64:65], null, s70, s20, v[48:49]
	s_mul_i32 s70, s70, s10
	s_wait_alu 0xfffe
	s_sub_co_i32 s2, s2, s70
	s_wait_alu 0xfffe
	s_mul_i32 s2, s2, s17
	s_wait_alu 0xfffe
	v_lshl_add_u32 v64, v64, 1, s2
	s_delay_alu instid0(VALU_DEP_1) | instskip(NEXT) | instid1(VALU_DEP_1)
	v_ashrrev_i32_e32 v65, 31, v64
	v_lshlrev_b64_e32 v[64:65], 2, v[64:65]
	s_delay_alu instid0(VALU_DEP_1) | instskip(SKIP_1) | instid1(VALU_DEP_2)
	v_add_co_u32 v64, vcc_lo, s14, v64
	s_wait_alu 0xfffd
	v_add_co_ci_u32_e64 v65, null, s15, v65, vcc_lo
	global_load_b64 v[64:65], v[64:65], off
	s_wait_loadcnt 0x0
	v_bfe_u32 v66, v64, 16, 1
	v_bfe_u32 v67, v65, 16, 1
	v_or_b32_e32 v68, 0x400000, v64
	v_cmp_u_f32_e32 vcc_lo, v64, v64
	v_or_b32_e32 v69, 0x400000, v65
	v_add3_u32 v66, v66, v64, 0x7fff
	v_add3_u32 v67, v67, v65, 0x7fff
	s_wait_alu 0xfffd
	s_delay_alu instid0(VALU_DEP_2) | instskip(SKIP_3) | instid1(VALU_DEP_3)
	v_cndmask_b32_e32 v64, v66, v68, vcc_lo
	v_cmp_u_f32_e32 vcc_lo, v65, v65
	s_wait_alu 0xfffd
	v_cndmask_b32_e32 v65, v67, v69, vcc_lo
	v_lshrrev_b32_e32 v64, 16, v64
	s_delay_alu instid0(VALU_DEP_2)
	v_lshrrev_b32_e32 v65, 16, v65
	s_branch .LBB60_5
.LBB60_18:
	s_or_b32 exec_lo, exec_lo, s69
.LBB60_19:
	s_delay_alu instid0(SALU_CYCLE_1)
	s_or_b32 exec_lo, exec_lo, s37
	v_lshlrev_b32_e32 v16, 1, v51
	s_load_b64 s[2:3], s[0:1], 0x18
	v_lshl_add_u32 v17, v53, 2, 0
	v_mul_u32_u24_e32 v18, 0x210, v54
	s_cmp_gt_i32 s6, 0
	v_and_b32_e32 v16, 0x7e0, v16
	v_cmp_gt_u32_e64 s0, 4, v52
	s_cselect_b32 s1, -1, 0
	s_barrier_signal -1
	v_add3_u32 v17, v17, v18, v16
	v_add_nc_u32_e32 v16, s36, v52
	s_barrier_wait -1
	global_inv scope:SCOPE_SE
	ds_store_2addr_b32 v17, v8, v9 offset1:1
	ds_store_2addr_b32 v17, v10, v11 offset0:2 offset1:3
	ds_store_2addr_b32 v17, v12, v13 offset0:4 offset1:5
	;; [unrolled: 1-line block ×7, first 2 shown]
	v_cmp_gt_i32_e32 vcc_lo, s33, v16
	s_wait_loadcnt_dscnt 0x0
	s_barrier_signal -1
	s_barrier_wait -1
	global_inv scope:SCOPE_SE
	s_and_b32 s1, s1, vcc_lo
	s_delay_alu instid0(SALU_CYCLE_1) | instskip(NEXT) | instid1(SALU_CYCLE_1)
	s_and_b32 s0, s0, s1
	s_and_saveexec_b32 s1, s0
	s_cbranch_execz .LBB60_22
; %bb.20:
	v_ashrrev_i32_e32 v17, 31, v16
	s_lshl_b64 s[0:1], s[24:25], 2
	s_wait_kmcnt 0x0
	s_add_nc_u64 s[0:1], s[2:3], s[0:1]
	s_delay_alu instid0(VALU_DEP_1) | instskip(NEXT) | instid1(VALU_DEP_1)
	v_lshlrev_b64_e32 v[0:1], 2, v[16:17]
	v_add_co_u32 v0, vcc_lo, s0, v0
	s_wait_alu 0xfffd
	s_delay_alu instid0(VALU_DEP_2) | instskip(SKIP_3) | instid1(VALU_DEP_1)
	v_add_co_ci_u32_e64 v1, null, s1, v1, vcc_lo
	global_load_b32 v0, v[0:1], off
	s_wait_loadcnt 0x0
	v_mul_hi_u32 v1, v0, s11
	v_add_nc_u32_e32 v1, v0, v1
	s_delay_alu instid0(VALU_DEP_1) | instskip(NEXT) | instid1(VALU_DEP_1)
	v_lshrrev_b32_e32 v1, s22, v1
	v_cmp_gt_i32_e32 vcc_lo, s5, v1
	s_and_b32 exec_lo, exec_lo, vcc_lo
	s_cbranch_execz .LBB60_22
; %bb.21:
	v_mul_lo_u32 v6, v1, s23
	v_lshlrev_b32_e32 v2, 2, v51
	v_mul_u32_u24_e32 v3, 0x210, v52
	v_add_nc_u32_e32 v7, s19, v51
	s_delay_alu instid0(VALU_DEP_4) | instskip(SKIP_3) | instid1(VALU_DEP_4)
	v_sub_nc_u32_e32 v0, v0, v6
	v_mul_lo_u32 v6, v1, s21
	v_mov_b32_e32 v1, 0
	v_add3_u32 v4, 0, v2, v3
	v_mul_lo_u32 v0, v0, s18
	ds_load_2addr_b32 v[2:3], v4 offset1:32
	ds_load_2addr_b32 v[4:5], v4 offset0:64 offset1:96
	v_add3_u32 v0, v7, v6, v0
	s_delay_alu instid0(VALU_DEP_1) | instskip(NEXT) | instid1(VALU_DEP_1)
	v_lshlrev_b64_e32 v[0:1], 2, v[0:1]
	v_add_co_u32 v0, vcc_lo, s26, v0
	s_wait_alu 0xfffd
	s_delay_alu instid0(VALU_DEP_2) | instskip(SKIP_2) | instid1(VALU_DEP_1)
	v_add_co_ci_u32_e64 v1, null, s27, v1, vcc_lo
	s_wait_dscnt 0x1
	v_add_f32_e32 v2, 0, v2
	v_add_f32_e32 v2, v2, v3
	s_wait_dscnt 0x0
	s_delay_alu instid0(VALU_DEP_1) | instskip(NEXT) | instid1(VALU_DEP_1)
	v_add_f32_e32 v2, v2, v4
	v_add_f32_e32 v2, v2, v5
	global_store_b32 v[0:1], v2, off
.LBB60_22:
	s_endpgm
	.section	.rodata,"a",@progbits
	.p2align	6, 0x0
	.amdhsa_kernel _ZL13mul_mat_f_idsI15__hip_bfloat162Li32ELi4ELi4EEvPKT_PKfPKiS7_S7_Pfiiiiiiiiiiiiii15HIP_vector_typeIjLj3EESA_
		.amdhsa_group_segment_fixed_size 0
		.amdhsa_private_segment_fixed_size 0
		.amdhsa_kernarg_size 128
		.amdhsa_user_sgpr_count 2
		.amdhsa_user_sgpr_dispatch_ptr 0
		.amdhsa_user_sgpr_queue_ptr 0
		.amdhsa_user_sgpr_kernarg_segment_ptr 1
		.amdhsa_user_sgpr_dispatch_id 0
		.amdhsa_user_sgpr_private_segment_size 0
		.amdhsa_wavefront_size32 1
		.amdhsa_uses_dynamic_stack 0
		.amdhsa_enable_private_segment 0
		.amdhsa_system_sgpr_workgroup_id_x 1
		.amdhsa_system_sgpr_workgroup_id_y 1
		.amdhsa_system_sgpr_workgroup_id_z 1
		.amdhsa_system_sgpr_workgroup_info 0
		.amdhsa_system_vgpr_workitem_id 1
		.amdhsa_next_free_vgpr 74
		.amdhsa_next_free_sgpr 74
		.amdhsa_reserve_vcc 1
		.amdhsa_float_round_mode_32 0
		.amdhsa_float_round_mode_16_64 0
		.amdhsa_float_denorm_mode_32 3
		.amdhsa_float_denorm_mode_16_64 3
		.amdhsa_fp16_overflow 0
		.amdhsa_workgroup_processor_mode 1
		.amdhsa_memory_ordered 1
		.amdhsa_forward_progress 1
		.amdhsa_inst_pref_size 35
		.amdhsa_round_robin_scheduling 0
		.amdhsa_exception_fp_ieee_invalid_op 0
		.amdhsa_exception_fp_denorm_src 0
		.amdhsa_exception_fp_ieee_div_zero 0
		.amdhsa_exception_fp_ieee_overflow 0
		.amdhsa_exception_fp_ieee_underflow 0
		.amdhsa_exception_fp_ieee_inexact 0
		.amdhsa_exception_int_div_zero 0
	.end_amdhsa_kernel
	.section	.text._ZL13mul_mat_f_idsI15__hip_bfloat162Li32ELi4ELi4EEvPKT_PKfPKiS7_S7_Pfiiiiiiiiiiiiii15HIP_vector_typeIjLj3EESA_,"axG",@progbits,_ZL13mul_mat_f_idsI15__hip_bfloat162Li32ELi4ELi4EEvPKT_PKfPKiS7_S7_Pfiiiiiiiiiiiiii15HIP_vector_typeIjLj3EESA_,comdat
.Lfunc_end60:
	.size	_ZL13mul_mat_f_idsI15__hip_bfloat162Li32ELi4ELi4EEvPKT_PKfPKiS7_S7_Pfiiiiiiiiiiiiii15HIP_vector_typeIjLj3EESA_, .Lfunc_end60-_ZL13mul_mat_f_idsI15__hip_bfloat162Li32ELi4ELi4EEvPKT_PKfPKiS7_S7_Pfiiiiiiiiiiiiii15HIP_vector_typeIjLj3EESA_
                                        ; -- End function
	.set _ZL13mul_mat_f_idsI15__hip_bfloat162Li32ELi4ELi4EEvPKT_PKfPKiS7_S7_Pfiiiiiiiiiiiiii15HIP_vector_typeIjLj3EESA_.num_vgpr, 74
	.set _ZL13mul_mat_f_idsI15__hip_bfloat162Li32ELi4ELi4EEvPKT_PKfPKiS7_S7_Pfiiiiiiiiiiiiii15HIP_vector_typeIjLj3EESA_.num_agpr, 0
	.set _ZL13mul_mat_f_idsI15__hip_bfloat162Li32ELi4ELi4EEvPKT_PKfPKiS7_S7_Pfiiiiiiiiiiiiii15HIP_vector_typeIjLj3EESA_.numbered_sgpr, 74
	.set _ZL13mul_mat_f_idsI15__hip_bfloat162Li32ELi4ELi4EEvPKT_PKfPKiS7_S7_Pfiiiiiiiiiiiiii15HIP_vector_typeIjLj3EESA_.num_named_barrier, 0
	.set _ZL13mul_mat_f_idsI15__hip_bfloat162Li32ELi4ELi4EEvPKT_PKfPKiS7_S7_Pfiiiiiiiiiiiiii15HIP_vector_typeIjLj3EESA_.private_seg_size, 0
	.set _ZL13mul_mat_f_idsI15__hip_bfloat162Li32ELi4ELi4EEvPKT_PKfPKiS7_S7_Pfiiiiiiiiiiiiii15HIP_vector_typeIjLj3EESA_.uses_vcc, 1
	.set _ZL13mul_mat_f_idsI15__hip_bfloat162Li32ELi4ELi4EEvPKT_PKfPKiS7_S7_Pfiiiiiiiiiiiiii15HIP_vector_typeIjLj3EESA_.uses_flat_scratch, 0
	.set _ZL13mul_mat_f_idsI15__hip_bfloat162Li32ELi4ELi4EEvPKT_PKfPKiS7_S7_Pfiiiiiiiiiiiiii15HIP_vector_typeIjLj3EESA_.has_dyn_sized_stack, 0
	.set _ZL13mul_mat_f_idsI15__hip_bfloat162Li32ELi4ELi4EEvPKT_PKfPKiS7_S7_Pfiiiiiiiiiiiiii15HIP_vector_typeIjLj3EESA_.has_recursion, 0
	.set _ZL13mul_mat_f_idsI15__hip_bfloat162Li32ELi4ELi4EEvPKT_PKfPKiS7_S7_Pfiiiiiiiiiiiiii15HIP_vector_typeIjLj3EESA_.has_indirect_call, 0
	.section	.AMDGPU.csdata,"",@progbits
; Kernel info:
; codeLenInByte = 4392
; TotalNumSgprs: 76
; NumVgprs: 74
; ScratchSize: 0
; MemoryBound: 0
; FloatMode: 240
; IeeeMode: 1
; LDSByteSize: 0 bytes/workgroup (compile time only)
; SGPRBlocks: 0
; VGPRBlocks: 9
; NumSGPRsForWavesPerEU: 76
; NumVGPRsForWavesPerEU: 74
; Occupancy: 16
; WaveLimiterHint : 1
; COMPUTE_PGM_RSRC2:SCRATCH_EN: 0
; COMPUTE_PGM_RSRC2:USER_SGPR: 2
; COMPUTE_PGM_RSRC2:TRAP_HANDLER: 0
; COMPUTE_PGM_RSRC2:TGID_X_EN: 1
; COMPUTE_PGM_RSRC2:TGID_Y_EN: 1
; COMPUTE_PGM_RSRC2:TGID_Z_EN: 1
; COMPUTE_PGM_RSRC2:TIDIG_COMP_CNT: 1
	.section	.text._ZL9mul_mat_fI15__hip_bfloat162Li32ELi4ELi4ELb1EEvPKT_PKfPKiPfiiiiiiiiiiiiiiii,"axG",@progbits,_ZL9mul_mat_fI15__hip_bfloat162Li32ELi4ELi4ELb1EEvPKT_PKfPKiPfiiiiiiiiiiiiiiii,comdat
	.globl	_ZL9mul_mat_fI15__hip_bfloat162Li32ELi4ELi4ELb1EEvPKT_PKfPKiPfiiiiiiiiiiiiiiii ; -- Begin function _ZL9mul_mat_fI15__hip_bfloat162Li32ELi4ELi4ELb1EEvPKT_PKfPKiPfiiiiiiiiiiiiiiii
	.p2align	8
	.type	_ZL9mul_mat_fI15__hip_bfloat162Li32ELi4ELi4ELb1EEvPKT_PKfPKiPfiiiiiiiiiiiiiiii,@function
_ZL9mul_mat_fI15__hip_bfloat162Li32ELi4ELi4ELb1EEvPKT_PKfPKiPfiiiiiiiiiiiiiiii: ; @_ZL9mul_mat_fI15__hip_bfloat162Li32ELi4ELi4ELb1EEvPKT_PKfPKiPfiiiiiiiiiiiiiiii
; %bb.0:
	s_load_b256 s[4:11], s[0:1], 0x20
	v_bfe_u32 v55, v0, 10, 10
	s_mov_b32 s29, 0
	v_and_b32_e32 v48, 0x3ff, v0
	s_load_b96 s[20:22], s[0:1], 0x54
	s_delay_alu instid0(VALU_DEP_2) | instskip(SKIP_2) | instid1(SALU_CYCLE_1)
	v_mul_i32_i24_e32 v57, 0xfffff704, v55
	s_wait_kmcnt 0x0
	s_add_co_i32 s2, s5, 3
	s_ashr_i32 s3, s2, 31
	s_delay_alu instid0(SALU_CYCLE_1) | instskip(NEXT) | instid1(SALU_CYCLE_1)
	s_lshr_b32 s3, s3, 30
	s_add_co_i32 s2, s2, s3
	s_delay_alu instid0(SALU_CYCLE_1) | instskip(NEXT) | instid1(SALU_CYCLE_1)
	s_ashr_i32 s2, s2, 2
	s_cvt_f32_u32 s3, s2
	s_delay_alu instid0(SALU_CYCLE_3) | instskip(SKIP_1) | instid1(TRANS32_DEP_1)
	v_rcp_iflag_f32_e32 v1, s3
	s_load_b32 s3, s[0:1], 0x64
	v_readfirstlane_b32 s12, v1
	s_mul_f32 s12, s12, 0x4f7ffffe
	s_delay_alu instid0(SALU_CYCLE_3) | instskip(SKIP_1) | instid1(SALU_CYCLE_2)
	s_cvt_u32_f32 s16, s12
	s_sub_co_i32 s12, 0, s2
	s_mul_i32 s12, s12, s16
	s_delay_alu instid0(SALU_CYCLE_1) | instskip(SKIP_4) | instid1(SALU_CYCLE_1)
	s_mul_hi_u32 s17, s16, s12
	s_load_b128 s[12:15], s[0:1], 0x44
	s_add_co_i32 s16, s16, s17
	s_wait_kmcnt 0x0
	s_mul_hi_u32 s16, s3, s16
	s_mul_i32 s17, s16, s2
	s_delay_alu instid0(SALU_CYCLE_1)
	s_sub_co_i32 s3, s3, s17
	s_add_co_i32 s17, s16, 1
	s_wait_alu 0xfffe
	s_sub_co_i32 s18, s3, s2
	s_cmp_ge_u32 s3, s2
	s_cselect_b32 s16, s17, s16
	s_cselect_b32 s3, s18, s3
	s_add_co_i32 s17, s16, 1
	s_wait_alu 0xfffe
	s_cmp_ge_u32 s3, s2
	s_cselect_b32 s18, s17, s16
	s_mov_b32 s17, s29
	s_cvt_f32_u32 s2, s18
	s_abs_i32 s23, s15
	s_and_b32 s16, ttmp7, 0xffff
	s_cvt_f32_u32 s3, s23
	s_wait_alu 0xfffe
	v_rcp_iflag_f32_e32 v1, s2
	s_movk_i32 s2, 0x900
	s_lshr_b32 s24, ttmp7, 16
	v_rcp_iflag_f32_e32 v2, s3
	s_wait_alu 0xfffe
	v_mad_u32_u24 v56, v55, s2, 0x100
	s_delay_alu instid0(TRANS32_DEP_2) | instskip(NEXT) | instid1(TRANS32_DEP_1)
	v_readfirstlane_b32 s3, v1
	v_readfirstlane_b32 s19, v2
	s_mul_f32 s3, s3, 0x4f7ffffe
	s_wait_alu 0xfffe
	s_delay_alu instid0(SALU_CYCLE_2)
	s_cvt_u32_f32 s2, s3
	s_mul_f32 s3, s19, 0x4f7ffffe
	s_sub_co_i32 s19, 0, s18
	s_wait_alu 0xfffe
	s_mul_i32 s19, s19, s2
	s_cvt_u32_f32 s25, s3
	s_mul_hi_u32 s3, s2, s19
	s_sub_co_i32 s19, 0, s23
	s_wait_alu 0xfffe
	s_add_co_i32 s28, s2, s3
	s_mul_i32 s19, s19, s25
	s_mul_u64 s[2:3], s[16:17], s[28:29]
	s_mul_hi_u32 s2, s25, s19
	s_abs_i32 s28, s24
	s_wait_alu 0xfffe
	s_add_co_i32 s30, s25, s2
	s_mov_b32 s2, exec_lo
	v_cmpx_eq_u32_e32 0, v48
; %bb.1:
	v_dual_mov_b32 v2, -1 :: v_dual_add_nc_u32 v1, v56, v57
	ds_store_b32 v1, v2
; %bb.2:
	s_wait_alu 0xfffe
	s_or_b32 exec_lo, exec_lo, s2
	s_mul_i32 s2, s3, s18
	s_add_co_i32 s17, s3, 1
	s_wait_alu 0xfffe
	s_sub_co_i32 s2, s16, s2
	s_mov_b32 s31, s29
	s_wait_alu 0xfffe
	s_sub_co_i32 s19, s2, s18
	s_cmp_ge_u32 s2, s18
	v_mov_b32_e32 v3, 0
	s_cselect_b32 s3, s17, s3
	s_cselect_b32 s2, s19, s2
	s_wait_alu 0xfffe
	s_add_co_i32 s17, s3, 1
	s_cmp_ge_u32 s2, s18
	v_cmp_gt_i32_e64 s2, s6, v48
	s_cselect_b32 s3, s17, s3
	s_wait_alu 0xfffe
	s_lshl_b32 s26, s3, 2
	s_mul_i32 s3, s3, s18
	v_add_nc_u32_e32 v58, s26, v55
	s_wait_alu 0xfffe
	s_sub_co_i32 s33, s16, s3
	s_ashr_i32 s27, s26, 31
	s_delay_alu instid0(VALU_DEP_1)
	v_cmp_gt_i32_e32 vcc_lo, s5, v58
	s_and_b32 s2, vcc_lo, s2
	s_wait_alu 0xfffe
	s_and_saveexec_b32 s3, s2
	s_cbranch_execz .LBB61_8
; %bb.3:
	s_load_b64 s[16:17], s[0:1], 0x10
	v_mul_lo_u32 v2, s11, v55
	s_ashr_i32 s19, s11, 31
	s_mov_b32 s18, s11
	v_mul_lo_u32 v1, v48, s10
	s_mul_u64 s[18:19], s[26:27], s[18:19]
	v_mov_b32_e32 v7, v48
	s_lshl_b64 s[18:19], s[18:19], 2
	s_lshl_b32 s11, s10, 5
	v_ashrrev_i32_e32 v3, 31, v2
	s_mov_b32 s10, 0
	v_add_nc_u32_e32 v4, v56, v57
	s_delay_alu instid0(VALU_DEP_2)
	v_lshlrev_b64_e32 v[5:6], 2, v[2:3]
	v_mov_b32_e32 v3, 0
	s_wait_kmcnt 0x0
	s_add_nc_u64 s[16:17], s[16:17], s[18:19]
	s_delay_alu instid0(VALU_DEP_2) | instid1(SALU_CYCLE_1)
	v_add_co_u32 v5, vcc_lo, s16, v5
	s_delay_alu instid0(VALU_DEP_1)
	v_add_co_ci_u32_e64 v6, null, s17, v6, vcc_lo
	s_branch .LBB61_5
.LBB61_4:                               ;   in Loop: Header=BB61_5 Depth=1
	s_wait_alu 0xfffe
	s_or_b32 exec_lo, exec_lo, s16
	v_add_nc_u32_e32 v7, 32, v7
	s_xor_b32 s16, vcc_lo, -1
	v_add_nc_u32_e32 v1, s11, v1
	s_delay_alu instid0(VALU_DEP_2)
	v_cmp_le_i32_e64 s2, s6, v7
	s_wait_alu 0xfffe
	s_or_b32 s2, s16, s2
	s_wait_alu 0xfffe
	s_and_b32 s2, exec_lo, s2
	s_wait_alu 0xfffe
	s_or_b32 s10, s2, s10
	s_wait_alu 0xfffe
	s_and_not1_b32 exec_lo, exec_lo, s10
	s_cbranch_execz .LBB61_7
.LBB61_5:                               ; =>This Inner Loop Header: Depth=1
	v_ashrrev_i32_e32 v2, 31, v1
	s_mov_b32 s16, exec_lo
	s_delay_alu instid0(VALU_DEP_1) | instskip(NEXT) | instid1(VALU_DEP_1)
	v_lshlrev_b64_e32 v[8:9], 2, v[1:2]
	v_add_co_u32 v8, vcc_lo, v5, v8
	s_wait_alu 0xfffd
	s_delay_alu instid0(VALU_DEP_2)
	v_add_co_ci_u32_e64 v9, null, v6, v9, vcc_lo
	global_load_b32 v2, v[8:9], off
	s_wait_loadcnt 0x0
	v_cmp_ne_u32_e32 vcc_lo, s33, v2
	v_cmpx_eq_u32_e64 s33, v2
	s_cbranch_execz .LBB61_4
; %bb.6:                                ;   in Loop: Header=BB61_5 Depth=1
	v_mov_b32_e32 v3, 1
	ds_store_b32 v4, v7
	s_branch .LBB61_4
.LBB61_7:
	s_or_b32 exec_lo, exec_lo, s10
.LBB61_8:
	s_wait_alu 0xfffe
	s_or_b32 exec_lo, exec_lo, s3
	s_clause 0x1
	s_load_b128 s[16:19], s[0:1], 0x0
	s_load_b64 s[2:3], s[0:1], 0x18
	s_add_nc_u64 s[0:1], s[0:1], 0x60
	v_or_b32_dpp v1, v3, v3 row_shl:1 row_mask:0xf bank_mask:0xf bound_ctrl:1
	s_mul_u64 s[10:11], s[28:29], s[30:31]
	s_load_b64 s[30:31], s[0:1], 0xc
	s_ashr_i32 s6, s15, 31
	s_delay_alu instid0(VALU_DEP_1) | instskip(NEXT) | instid1(VALU_DEP_1)
	v_or_b32_dpp v1, v1, v1 row_shl:2 row_mask:0xf bank_mask:0xf bound_ctrl:1
	v_or_b32_dpp v1, v1, v1 row_shl:4 row_mask:0xf bank_mask:0xf bound_ctrl:1
	s_delay_alu instid0(VALU_DEP_1) | instskip(NEXT) | instid1(VALU_DEP_1)
	v_or_b32_dpp v1, v1, v1 row_shl:8 row_mask:0xf bank_mask:0xf bound_ctrl:1
	v_mov_b32_dpp v1, v1 row_share:0 row_mask:0xf bank_mask:0xf bound_ctrl:1
	s_wait_kmcnt 0x0
	s_lshr_b32 s1, s30, 16
	s_and_b32 s0, s30, 0xffff
	s_and_b32 s15, s31, 0xffff
	s_mul_i32 s10, s1, s0
	v_permlanex16_b32 v2, v1, 0, 0 op_sel:[0,1]
	s_wait_alu 0xfffe
	s_bfe_i32 s10, s10, 0x180000
	s_wait_alu 0xfffe
	s_mul_i32 s10, s10, s15
	s_wait_alu 0xfffe
	s_add_co_i32 s10, s10, 31
	v_or_b32_e32 v2, v2, v1
	s_wait_alu 0xfffe
	s_and_not1_b32 s10, s10, 31
	s_wait_alu 0xfffe
	s_cmp_lg_u32 s10, 32
	s_cbranch_scc0 .LBB61_17
; %bb.9:
	v_bfe_u32 v0, v0, 20, 10
	s_delay_alu instid0(VALU_DEP_1) | instskip(NEXT) | instid1(VALU_DEP_1)
	v_mad_u32_u24 v0, v0, s1, v55
	v_mad_co_u64_u32 v[0:1], null, v0, s0, v[48:49]
	v_mbcnt_lo_u32_b32 v1, -1, 0
	s_mov_b32 s0, exec_lo
	s_delay_alu instid0(VALU_DEP_2) | instskip(NEXT) | instid1(VALU_DEP_1)
	v_lshrrev_b32_e32 v3, 5, v0
	v_or_b32_e32 v3, v1, v3
	s_delay_alu instid0(VALU_DEP_1)
	v_cmpx_eq_u32_e32 0, v3
; %bb.10:
	v_mov_b32_e32 v3, 0
	ds_store_b32 v3, v2
; %bb.11:
	s_wait_alu 0xfffe
	s_or_b32 exec_lo, exec_lo, s0
	v_cmp_eq_u32_e32 vcc_lo, 0, v1
	v_cmp_lt_u32_e64 s0, 31, v0
	s_mov_b32 s1, 0
	s_wait_dscnt 0x0
	s_barrier_signal -1
	s_barrier_wait -1
	s_and_b32 s10, s0, vcc_lo
	global_inv scope:SCOPE_SE
	s_wait_alu 0xfffe
	s_and_saveexec_b32 s0, s10
	s_cbranch_execz .LBB61_16
; %bb.12:
	s_mov_b32 s10, exec_lo
.LBB61_13:                              ; =>This Inner Loop Header: Depth=1
	s_wait_alu 0xfffe
	s_ctz_i32_b32 s15, s10
	s_wait_alu 0xfffe
	v_readlane_b32 s25, v2, s15
	s_lshl_b32 s15, 1, s15
	s_wait_alu 0xfffe
	s_and_not1_b32 s10, s10, s15
	s_or_b32 s1, s1, s25
	s_wait_alu 0xfffe
	s_cmp_lg_u32 s10, 0
	s_cbranch_scc1 .LBB61_13
; %bb.14:
	v_mbcnt_lo_u32_b32 v0, exec_lo, 0
	s_mov_b32 s10, exec_lo
	s_delay_alu instid0(VALU_DEP_1)
	v_cmpx_eq_u32_e32 0, v0
	s_wait_alu 0xfffe
	s_xor_b32 s10, exec_lo, s10
; %bb.15:
	v_dual_mov_b32 v0, 0 :: v_dual_mov_b32 v1, s1
	ds_or_b32 v0, v1
.LBB61_16:
	s_wait_alu 0xfffe
	s_or_b32 exec_lo, exec_lo, s0
	v_mov_b32_e32 v0, 0
	s_wait_loadcnt_dscnt 0x0
	s_barrier_signal -1
	s_barrier_wait -1
	global_inv scope:SCOPE_SE
	ds_load_b32 v2, v0
	s_wait_loadcnt_dscnt 0x0
	s_barrier_signal -1
	s_barrier_wait -1
	global_inv scope:SCOPE_SE
.LBB61_17:
	s_mov_b32 s25, 0
	s_mov_b32 s0, exec_lo
	v_cmpx_ne_u32_e32 0, v2
	s_cbranch_execz .LBB61_44
; %bb.18:
	v_lshlrev_b32_e32 v59, 5, v55
	v_and_b32_e32 v60, 15, v48
	s_mov_b32 s0, exec_lo
	s_delay_alu instid0(VALU_DEP_2) | instskip(NEXT) | instid1(VALU_DEP_1)
	v_add_nc_u32_e32 v62, v59, v48
	v_cmpx_le_i32_e64 s4, v62
	s_wait_alu 0xfffe
	s_xor_b32 s0, exec_lo, s0
; %bb.19:
	v_and_b32_e32 v60, 15, v48
                                        ; implicit-def: $vgpr62
; %bb.20:
	s_wait_alu 0xfffe
	s_or_saveexec_b32 s15, s0
	v_mov_b32_e32 v15, 0
	v_lshlrev_b32_e32 v61, 1, v48
	s_lshl_b32 s1, ttmp9, 5
	s_delay_alu instid0(VALU_DEP_2)
	v_dual_mov_b32 v14, v15 :: v_dual_mov_b32 v13, v15
	v_dual_mov_b32 v12, v15 :: v_dual_mov_b32 v11, v15
	;; [unrolled: 1-line block ×7, first 2 shown]
	v_mov_b32_e32 v0, v15
	s_wait_alu 0xfffe
	s_xor_b32 exec_lo, exec_lo, s15
	s_cbranch_execz .LBB61_40
; %bb.21:
	s_mul_i32 s0, s11, s23
	s_add_co_i32 s29, s11, 1
	s_wait_alu 0xfffe
	s_sub_co_i32 s0, s28, s0
	s_mul_i32 s28, s33, s12
	s_wait_alu 0xfffe
	s_sub_co_i32 s30, s0, s23
	s_cmp_ge_u32 s0, s23
	s_mov_b32 s10, s20
	s_cselect_b32 s11, s29, s11
	s_cselect_b32 s0, s30, s0
	s_wait_alu 0xfffe
	s_add_co_i32 s12, s11, 1
	s_cmp_ge_u32 s0, s23
	s_mul_i32 s30, s7, s1
	s_cselect_b32 s0, s12, s11
	s_ashr_i32 s11, s20, 31
	s_wait_alu 0xfffe
	s_xor_b32 s0, s0, s6
	s_ashr_i32 s29, s28, 31
	s_wait_alu 0xfffe
	s_sub_co_i32 s38, s0, s6
	s_mov_b32 s34, s21
	s_ashr_i32 s39, s38, 31
	s_mov_b32 s36, s8
	s_mul_u64 s[10:11], s[38:39], s[10:11]
	s_ashr_i32 s35, s21, 31
	s_wait_alu 0xfffe
	s_lshl_b64 s[62:63], s[10:11], 2
	s_ashr_i32 s37, s8, 31
	s_ashr_i32 s31, s30, 31
	s_lshl_b64 s[60:61], s[28:29], 2
	s_add_nc_u64 s[20:21], s[16:17], s[62:63]
	s_mul_u64 s[10:11], s[36:37], s[26:27]
	s_mul_u64 s[28:29], s[34:35], s[24:25]
	s_add_nc_u64 s[20:21], s[20:21], s[60:61]
	s_lshl_b64 s[64:65], s[30:31], 2
	s_wait_alu 0xfffe
	s_lshl_b64 s[30:31], s[10:11], 3
	s_add_nc_u64 s[10:11], s[20:21], s[64:65]
	s_lshl_b64 s[20:21], s[28:29], 2
	s_cmp_lt_i32 s26, s5
	v_mul_u32_u24_e32 v0, 0x90, v60
	s_cselect_b32 s12, -1, 0
	s_or_b32 s0, s26, 1
	v_and_b32_e32 v1, 0x3f0, v48
	s_wait_alu 0xfffe
	s_cmp_lt_i32 s0, s5
	s_add_nc_u64 s[18:19], s[18:19], s[20:21]
	s_cselect_b32 s20, -1, 0
	s_or_b32 s0, s26, 2
	s_add_nc_u64 s[62:63], s[62:63], s[64:65]
	v_add3_u32 v64, v56, v0, v1
	v_dual_mov_b32 v65, 0 :: v_dual_lshlrev_b32 v0, 2, v62
	s_wait_alu 0xfffe
	s_cmp_lt_i32 s0, s5
	s_add_nc_u64 s[60:61], s[62:63], s[60:61]
	s_cselect_b32 s21, -1, 0
	s_or_b32 s0, s26, 3
	s_add_nc_u64 s[16:17], s[16:17], s[60:61]
	s_lshl_b32 s23, s8, 2
	s_wait_alu 0xfffe
	s_cmp_lt_i32 s0, s5
	v_add_co_u32 v50, s0, s16, v0
	v_lshl_add_u32 v63, v48, 2, v56
	v_lshl_add_u32 v49, v55, 6, v61
	s_wait_alu 0xf1ff
	v_add_co_ci_u32_e64 v51, null, s17, 0, s0
	v_dual_mov_b32 v66, 0x100 :: v_dual_mov_b32 v1, v65
	v_mov_b32_e32 v0, 0
	v_dual_mov_b32 v2, v65 :: v_dual_mov_b32 v3, v65
	v_dual_mov_b32 v4, v65 :: v_dual_mov_b32 v5, v65
	;; [unrolled: 1-line block ×7, first 2 shown]
	s_cselect_b32 s28, -1, 0
	s_ashr_i32 s67, s7, 31
	s_mov_b32 s66, s7
	s_add_nc_u64 s[18:19], s[18:19], s[30:31]
	s_add_co_i32 s29, s7, s7
	s_mul_i32 s30, s7, 3
	s_lshl_b32 s31, s7, 2
	s_mul_i32 s33, s7, 5
	s_mul_i32 s34, s7, 6
	;; [unrolled: 1-line block ×3, first 2 shown]
	s_lshl_b32 s36, s7, 3
	s_mul_i32 s37, s7, 9
	s_mul_i32 s38, s7, 10
	;; [unrolled: 1-line block ×7, first 2 shown]
	s_lshl_b32 s44, s7, 4
	s_mul_i32 s45, s7, 17
	s_mul_i32 s46, s7, 18
	;; [unrolled: 1-line block ×15, first 2 shown]
	s_lshl_b64 s[6:7], s[66:67], 2
	s_mul_i32 s16, s8, 6
	s_lshl_b32 s17, s8, 1
	s_mov_b32 s8, 0
	s_branch .LBB61_24
.LBB61_22:                              ;   in Loop: Header=BB61_24 Depth=1
	v_mul_lo_u32 v52, v52, s13
	s_delay_alu instid0(VALU_DEP_1) | instskip(NEXT) | instid1(VALU_DEP_1)
	v_add3_u32 v52, v52, s16, v49
	v_ashrrev_i32_e32 v53, 31, v52
	s_delay_alu instid0(VALU_DEP_1) | instskip(NEXT) | instid1(VALU_DEP_1)
	v_lshlrev_b64_e32 v[52:53], 2, v[52:53]
	v_add_co_u32 v52, vcc_lo, s18, v52
	s_wait_alu 0xfffd
	s_delay_alu instid0(VALU_DEP_2)
	v_add_co_ci_u32_e64 v53, null, s19, v53, vcc_lo
	global_load_b64 v[52:53], v[52:53], off
.LBB61_23:                              ;   in Loop: Header=BB61_24 Depth=1
	s_wait_loadcnt 0x0
	s_delay_alu instid0(VALU_DEP_1) | instskip(NEXT) | instid1(VALU_DEP_2)
	v_bfe_u32 v54, v52, 16, 1
	v_bfe_u32 v67, v53, 16, 1
	v_or_b32_e32 v68, 0x400000, v52
	v_cmp_u_f32_e32 vcc_lo, v52, v52
	v_or_b32_e32 v69, 0x400000, v53
	v_add3_u32 v54, v54, v52, 0x7fff
	v_add3_u32 v67, v67, v53, 0x7fff
	ds_store_2addr_b32 v63, v65, v65 offset0:196 offset1:232
	ds_store_b32 v63, v65 offset:2224
	v_add_nc_u32_e32 v62, 0x80, v62
	s_wait_alu 0xfffd
	v_cndmask_b32_e32 v52, v54, v68, vcc_lo
	v_cmp_u_f32_e32 vcc_lo, v53, v53
	v_add_nc_u32_e32 v54, 0x400, v63
	v_add_co_u32 v50, s0, 0x200, v50
	v_add_nc_u32_e32 v49, 0x100, v49
	s_wait_alu 0xfffd
	v_cndmask_b32_e32 v53, v67, v69, vcc_lo
	v_add_nc_u32_e32 v67, 0x600, v63
	v_cmp_le_i32_e32 vcc_lo, s4, v62
	s_wait_alu 0xf1ff
	v_add_co_ci_u32_e64 v51, null, 0, v51, s0
	v_perm_b32 v52, v53, v52, 0x7060302
	ds_store_2addr_b32 v54, v65, v65 offset0:12 offset1:48
	ds_store_2addr_b32 v54, v65, v65 offset0:84 offset1:120
	;; [unrolled: 1-line block ×5, first 2 shown]
	ds_load_b128 v[67:70], v64 offset:64
	ds_load_b128 v[71:74], v64 offset:96
	;; [unrolled: 1-line block ×4, first 2 shown]
	s_or_b32 s8, vcc_lo, s8
	s_wait_dscnt 0x3
	v_wmma_f32_16x16x16_bf16 v[8:15], v[32:35], v[67:70], v[8:15]
	v_wmma_f32_16x16x16_bf16 v[0:7], v[44:47], v[67:70], v[0:7]
	s_wait_dscnt 0x2
	s_delay_alu instid0(VALU_DEP_2) | instskip(NEXT) | instid1(VALU_DEP_2)
	v_wmma_f32_16x16x16_bf16 v[8:15], v[28:31], v[71:74], v[8:15]
	v_wmma_f32_16x16x16_bf16 v[0:7], v[40:43], v[71:74], v[0:7]
	s_wait_dscnt 0x1
	s_delay_alu instid0(VALU_DEP_2) | instskip(NEXT) | instid1(VALU_DEP_2)
	;; [unrolled: 4-line block ×3, first 2 shown]
	v_wmma_f32_16x16x16_bf16 v[8:15], v[16:19], v[79:82], v[8:15]
	v_wmma_f32_16x16x16_bf16 v[0:7], v[20:23], v[79:82], v[0:7]
	s_and_not1_b32 exec_lo, exec_lo, s8
	s_cbranch_execz .LBB61_39
.LBB61_24:                              ; =>This Inner Loop Header: Depth=1
	v_add_nc_u32_e32 v22, s31, v62
	v_add_nc_u32_e32 v16, s29, v62
	s_wait_alu 0xfffe
	v_add_co_u32 v20, vcc_lo, v50, s6
	v_add_nc_u32_e32 v18, s30, v62
	s_wait_alu 0xfffd
	v_add_co_ci_u32_e64 v21, null, s7, v51, vcc_lo
	v_ashrrev_i32_e32 v23, 31, v22
	v_ashrrev_i32_e32 v17, 31, v16
	v_add_nc_u32_e32 v24, s33, v62
	v_ashrrev_i32_e32 v19, 31, v18
	s_clause 0x1
	global_load_b32 v38, v[50:51], off
	global_load_b32 v39, v[20:21], off
	v_lshlrev_b64_e32 v[20:21], 2, v[22:23]
	v_add_nc_u32_e32 v22, s34, v62
	v_lshlrev_b64_e32 v[16:17], 2, v[16:17]
	v_add_nc_u32_e32 v26, s35, v62
	v_ashrrev_i32_e32 v25, 31, v24
	v_lshlrev_b64_e32 v[18:19], 2, v[18:19]
	v_add_nc_u32_e32 v28, s36, v62
	v_ashrrev_i32_e32 v23, 31, v22
	v_add_nc_u32_e32 v30, s37, v62
	v_ashrrev_i32_e32 v27, 31, v26
	v_add_co_u32 v16, vcc_lo, s10, v16
	v_lshlrev_b64_e32 v[24:25], 2, v[24:25]
	v_ashrrev_i32_e32 v29, 31, v28
	s_wait_alu 0xfffd
	v_add_co_ci_u32_e64 v17, null, s11, v17, vcc_lo
	v_add_co_u32 v18, vcc_lo, s10, v18
	v_lshlrev_b64_e32 v[22:23], 2, v[22:23]
	v_ashrrev_i32_e32 v31, 31, v30
	s_wait_alu 0xfffd
	v_add_co_ci_u32_e64 v19, null, s11, v19, vcc_lo
	v_add_co_u32 v20, vcc_lo, s10, v20
	v_lshlrev_b64_e32 v[26:27], 2, v[26:27]
	s_wait_alu 0xfffd
	v_add_co_ci_u32_e64 v21, null, s11, v21, vcc_lo
	v_add_co_u32 v24, vcc_lo, s10, v24
	v_lshlrev_b64_e32 v[28:29], 2, v[28:29]
	;; [unrolled: 4-line block ×3, first 2 shown]
	s_wait_alu 0xfffd
	v_add_co_ci_u32_e64 v23, null, s11, v23, vcc_lo
	v_add_co_u32 v26, vcc_lo, s10, v26
	v_add_nc_u32_e32 v32, s38, v62
	s_wait_alu 0xfffd
	v_add_co_ci_u32_e64 v27, null, s11, v27, vcc_lo
	v_add_co_u32 v28, vcc_lo, s10, v28
	v_add_nc_u32_e32 v34, s39, v62
	s_wait_alu 0xfffd
	v_add_co_ci_u32_e64 v29, null, s11, v29, vcc_lo
	v_add_co_u32 v30, vcc_lo, s10, v30
	v_add_nc_u32_e32 v36, s40, v62
	v_ashrrev_i32_e32 v33, 31, v32
	s_wait_alu 0xfffd
	v_add_co_ci_u32_e64 v31, null, s11, v31, vcc_lo
	s_clause 0x7
	global_load_b32 v40, v[16:17], off
	global_load_b32 v41, v[18:19], off
	;; [unrolled: 1-line block ×8, first 2 shown]
	v_add_nc_u32_e32 v18, s41, v62
	v_ashrrev_i32_e32 v35, 31, v34
	v_add_nc_u32_e32 v24, s42, v62
	v_ashrrev_i32_e32 v37, 31, v36
	v_lshlrev_b64_e32 v[32:33], 2, v[32:33]
	v_add_nc_u32_e32 v26, s43, v62
	v_ashrrev_i32_e32 v19, 31, v18
	v_lshlrev_b64_e32 v[16:17], 2, v[34:35]
	;; [unrolled: 3-line block ×3, first 2 shown]
	v_add_nc_u32_e32 v30, s45, v62
	v_ashrrev_i32_e32 v27, 31, v26
	v_add_co_u32 v20, vcc_lo, s10, v32
	v_lshlrev_b64_e32 v[18:19], 2, v[18:19]
	v_ashrrev_i32_e32 v29, 31, v28
	s_wait_alu 0xfffd
	v_add_co_ci_u32_e64 v21, null, s11, v33, vcc_lo
	v_add_co_u32 v16, vcc_lo, s10, v16
	v_lshlrev_b64_e32 v[24:25], 2, v[24:25]
	v_ashrrev_i32_e32 v31, 31, v30
	s_wait_alu 0xfffd
	v_add_co_ci_u32_e64 v17, null, s11, v17, vcc_lo
	v_add_co_u32 v22, vcc_lo, s10, v22
	v_lshlrev_b64_e32 v[26:27], 2, v[26:27]
	s_wait_alu 0xfffd
	v_add_co_ci_u32_e64 v23, null, s11, v23, vcc_lo
	v_add_co_u32 v18, vcc_lo, s10, v18
	v_lshlrev_b64_e32 v[28:29], 2, v[28:29]
	;; [unrolled: 4-line block ×3, first 2 shown]
	s_wait_alu 0xfffd
	v_add_co_ci_u32_e64 v25, null, s11, v25, vcc_lo
	v_add_co_u32 v26, vcc_lo, s10, v26
	v_add_nc_u32_e32 v32, s46, v62
	s_wait_alu 0xfffd
	v_add_co_ci_u32_e64 v27, null, s11, v27, vcc_lo
	v_add_co_u32 v28, vcc_lo, s10, v28
	v_add_nc_u32_e32 v34, s47, v62
	;; [unrolled: 4-line block ×3, first 2 shown]
	v_ashrrev_i32_e32 v33, 31, v32
	s_wait_alu 0xfffd
	v_add_co_ci_u32_e64 v31, null, s11, v31, vcc_lo
	s_clause 0x7
	global_load_b32 v52, v[20:21], off
	global_load_b32 v53, v[16:17], off
	;; [unrolled: 1-line block ×8, first 2 shown]
	v_add_nc_u32_e32 v18, s49, v62
	v_ashrrev_i32_e32 v35, 31, v34
	v_add_nc_u32_e32 v24, s50, v62
	v_ashrrev_i32_e32 v37, 31, v36
	v_lshlrev_b64_e32 v[32:33], 2, v[32:33]
	v_add_nc_u32_e32 v26, s51, v62
	v_ashrrev_i32_e32 v19, 31, v18
	v_lshlrev_b64_e32 v[16:17], 2, v[34:35]
	;; [unrolled: 3-line block ×3, first 2 shown]
	v_add_nc_u32_e32 v30, s53, v62
	v_ashrrev_i32_e32 v27, 31, v26
	v_add_co_u32 v20, vcc_lo, s10, v32
	v_lshlrev_b64_e32 v[18:19], 2, v[18:19]
	v_ashrrev_i32_e32 v29, 31, v28
	s_wait_alu 0xfffd
	v_add_co_ci_u32_e64 v21, null, s11, v33, vcc_lo
	v_add_co_u32 v16, vcc_lo, s10, v16
	v_lshlrev_b64_e32 v[24:25], 2, v[24:25]
	v_ashrrev_i32_e32 v31, 31, v30
	s_wait_alu 0xfffd
	v_add_co_ci_u32_e64 v17, null, s11, v17, vcc_lo
	v_add_co_u32 v22, vcc_lo, s10, v22
	v_lshlrev_b64_e32 v[26:27], 2, v[26:27]
	s_wait_alu 0xfffd
	v_add_co_ci_u32_e64 v23, null, s11, v23, vcc_lo
	v_add_co_u32 v18, vcc_lo, s10, v18
	v_lshlrev_b64_e32 v[28:29], 2, v[28:29]
	;; [unrolled: 4-line block ×3, first 2 shown]
	s_wait_alu 0xfffd
	v_add_co_ci_u32_e64 v25, null, s11, v25, vcc_lo
	v_add_co_u32 v26, vcc_lo, s10, v26
	v_add_nc_u32_e32 v32, s54, v62
	s_wait_alu 0xfffd
	v_add_co_ci_u32_e64 v27, null, s11, v27, vcc_lo
	v_add_co_u32 v28, vcc_lo, s10, v28
	v_add_nc_u32_e32 v34, s55, v62
	;; [unrolled: 4-line block ×3, first 2 shown]
	v_ashrrev_i32_e32 v33, 31, v32
	s_wait_alu 0xfffd
	v_add_co_ci_u32_e64 v31, null, s11, v31, vcc_lo
	s_clause 0x7
	global_load_b32 v72, v[20:21], off
	global_load_b32 v73, v[16:17], off
	;; [unrolled: 1-line block ×8, first 2 shown]
	v_add_nc_u32_e32 v18, s57, v62
	v_ashrrev_i32_e32 v35, 31, v34
	v_add_nc_u32_e32 v24, s58, v62
	v_ashrrev_i32_e32 v37, 31, v36
	v_lshlrev_b64_e32 v[32:33], 2, v[32:33]
	v_add_nc_u32_e32 v26, s59, v62
	v_ashrrev_i32_e32 v19, 31, v18
	v_lshlrev_b64_e32 v[16:17], 2, v[34:35]
	v_ashrrev_i32_e32 v25, 31, v24
	v_lshlrev_b64_e32 v[22:23], 2, v[36:37]
	v_ashrrev_i32_e32 v27, 31, v26
	v_add_co_u32 v20, vcc_lo, s10, v32
	v_lshlrev_b64_e32 v[18:19], 2, v[18:19]
	s_wait_alu 0xfffd
	v_add_co_ci_u32_e64 v21, null, s11, v33, vcc_lo
	v_add_co_u32 v16, vcc_lo, s10, v16
	v_lshlrev_b64_e32 v[24:25], 2, v[24:25]
	s_wait_alu 0xfffd
	v_add_co_ci_u32_e64 v17, null, s11, v17, vcc_lo
	;; [unrolled: 4-line block ×3, first 2 shown]
	v_add_co_u32 v18, vcc_lo, s10, v18
	s_wait_alu 0xfffd
	v_add_co_ci_u32_e64 v19, null, s11, v19, vcc_lo
	v_add_co_u32 v24, vcc_lo, s10, v24
	s_wait_alu 0xfffd
	v_add_co_ci_u32_e64 v25, null, s11, v25, vcc_lo
	;; [unrolled: 3-line block ×3, first 2 shown]
	s_clause 0x5
	global_load_b32 v20, v[20:21], off
	global_load_b32 v21, v[16:17], off
	;; [unrolled: 1-line block ×6, first 2 shown]
	s_and_not1_b32 vcc_lo, exec_lo, s12
	s_wait_loadcnt 0x1f
	ds_store_b32 v63, v38 offset:64
	s_wait_loadcnt 0x1e
	ds_store_b32 v63, v39 offset:208
	;; [unrolled: 2-line block ×16, first 2 shown]
	ds_load_b128 v[32:35], v64 offset:64
	ds_load_b128 v[28:31], v64 offset:96
	;; [unrolled: 1-line block ×4, first 2 shown]
	s_wait_loadcnt 0xf
	ds_store_b32 v63, v70 offset:64
	s_wait_loadcnt 0xe
	ds_store_b32 v63, v71 offset:208
	;; [unrolled: 2-line block ×16, first 2 shown]
	ds_load_b128 v[44:47], v64 offset:64
	ds_load_b128 v[40:43], v64 offset:96
	;; [unrolled: 1-line block ×4, first 2 shown]
	v_dual_mov_b32 v52, 0 :: v_dual_mov_b32 v53, 0
	s_wait_alu 0xfffe
	s_cbranch_vccnz .LBB61_28
; %bb.25:                               ;   in Loop: Header=BB61_24 Depth=1
	ds_load_b32 v52, v66
	s_wait_dscnt 0x0
	v_cmp_gt_i32_e32 vcc_lo, 0, v52
	s_cbranch_vccnz .LBB61_27
; %bb.26:                               ;   in Loop: Header=BB61_24 Depth=1
	v_mad_co_u64_u32 v[52:53], null, v52, s13, v[49:50]
	s_delay_alu instid0(VALU_DEP_1) | instskip(NEXT) | instid1(VALU_DEP_1)
	v_ashrrev_i32_e32 v53, 31, v52
	v_lshlrev_b64_e32 v[52:53], 2, v[52:53]
	s_delay_alu instid0(VALU_DEP_1) | instskip(SKIP_1) | instid1(VALU_DEP_2)
	v_add_co_u32 v52, vcc_lo, s18, v52
	s_wait_alu 0xfffd
	v_add_co_ci_u32_e64 v53, null, s19, v53, vcc_lo
	global_load_b64 v[52:53], v[52:53], off
	s_branch .LBB61_28
.LBB61_27:                              ;   in Loop: Header=BB61_24 Depth=1
	v_dual_mov_b32 v52, 0 :: v_dual_mov_b32 v53, 0
.LBB61_28:                              ;   in Loop: Header=BB61_24 Depth=1
	s_wait_loadcnt 0x0
	s_delay_alu instid0(VALU_DEP_1) | instskip(NEXT) | instid1(VALU_DEP_2)
	v_bfe_u32 v54, v52, 16, 1
	v_bfe_u32 v67, v53, 16, 1
	v_or_b32_e32 v68, 0x400000, v52
	v_cmp_u_f32_e32 vcc_lo, v52, v52
	v_or_b32_e32 v69, 0x400000, v53
	v_add3_u32 v54, v54, v52, 0x7fff
	v_add3_u32 v67, v67, v53, 0x7fff
	v_mov_b32_e32 v52, 0
	s_wait_alu 0xfffd
	s_delay_alu instid0(VALU_DEP_3) | instskip(SKIP_4) | instid1(VALU_DEP_1)
	v_cndmask_b32_e32 v54, v54, v68, vcc_lo
	v_cmp_u_f32_e32 vcc_lo, v53, v53
	s_wait_alu 0xfffd
	v_cndmask_b32_e32 v53, v67, v69, vcc_lo
	s_and_not1_b32 vcc_lo, exec_lo, s20
	v_perm_b32 v67, v53, v54, 0x7060302
	v_dual_mov_b32 v53, 0 :: v_dual_mov_b32 v54, 0
	ds_store_b32 v63, v67 offset:64
	s_wait_alu 0xfffe
	s_cbranch_vccnz .LBB61_32
; %bb.29:                               ;   in Loop: Header=BB61_24 Depth=1
	ds_load_b32 v53, v66 offset:4
	s_wait_dscnt 0x0
	v_cmp_gt_i32_e32 vcc_lo, 0, v53
	s_cbranch_vccnz .LBB61_31
; %bb.30:                               ;   in Loop: Header=BB61_24 Depth=1
	v_mul_lo_u32 v53, v53, s13
	s_delay_alu instid0(VALU_DEP_1) | instskip(NEXT) | instid1(VALU_DEP_1)
	v_add3_u32 v53, v53, s17, v49
	v_ashrrev_i32_e32 v54, 31, v53
	s_delay_alu instid0(VALU_DEP_1) | instskip(NEXT) | instid1(VALU_DEP_1)
	v_lshlrev_b64_e32 v[53:54], 2, v[53:54]
	v_add_co_u32 v53, vcc_lo, s18, v53
	s_wait_alu 0xfffd
	s_delay_alu instid0(VALU_DEP_2)
	v_add_co_ci_u32_e64 v54, null, s19, v54, vcc_lo
	global_load_b64 v[53:54], v[53:54], off
	s_branch .LBB61_32
.LBB61_31:                              ;   in Loop: Header=BB61_24 Depth=1
	v_dual_mov_b32 v53, 0 :: v_dual_mov_b32 v54, 0
.LBB61_32:                              ;   in Loop: Header=BB61_24 Depth=1
	s_wait_loadcnt 0x0
	s_delay_alu instid0(VALU_DEP_1) | instskip(NEXT) | instid1(VALU_DEP_2)
	v_bfe_u32 v67, v53, 16, 1
	v_bfe_u32 v68, v54, 16, 1
	v_or_b32_e32 v69, 0x400000, v53
	v_cmp_u_f32_e32 vcc_lo, v53, v53
	v_or_b32_e32 v70, 0x400000, v54
	v_add3_u32 v67, v67, v53, 0x7fff
	v_add3_u32 v68, v68, v54, 0x7fff
	s_wait_alu 0xfffd
	s_delay_alu instid0(VALU_DEP_2) | instskip(SKIP_4) | instid1(VALU_DEP_1)
	v_cndmask_b32_e32 v53, v67, v69, vcc_lo
	v_cmp_u_f32_e32 vcc_lo, v54, v54
	s_wait_alu 0xfffd
	v_cndmask_b32_e32 v54, v68, v70, vcc_lo
	s_and_not1_b32 vcc_lo, exec_lo, s21
	v_perm_b32 v54, v54, v53, 0x7060302
	v_mov_b32_e32 v53, 0
	ds_store_b32 v63, v54 offset:208
	s_wait_alu 0xfffe
	s_cbranch_vccnz .LBB61_36
; %bb.33:                               ;   in Loop: Header=BB61_24 Depth=1
	ds_load_b32 v52, v66 offset:8
	s_wait_dscnt 0x0
	v_cmp_gt_i32_e32 vcc_lo, 0, v52
	s_cbranch_vccnz .LBB61_35
; %bb.34:                               ;   in Loop: Header=BB61_24 Depth=1
	v_mul_lo_u32 v52, v52, s13
	s_delay_alu instid0(VALU_DEP_1) | instskip(NEXT) | instid1(VALU_DEP_1)
	v_add3_u32 v52, v52, s23, v49
	v_ashrrev_i32_e32 v53, 31, v52
	s_delay_alu instid0(VALU_DEP_1) | instskip(NEXT) | instid1(VALU_DEP_1)
	v_lshlrev_b64_e32 v[52:53], 2, v[52:53]
	v_add_co_u32 v52, vcc_lo, s18, v52
	s_wait_alu 0xfffd
	s_delay_alu instid0(VALU_DEP_2)
	v_add_co_ci_u32_e64 v53, null, s19, v53, vcc_lo
	global_load_b64 v[52:53], v[52:53], off
	s_branch .LBB61_36
.LBB61_35:                              ;   in Loop: Header=BB61_24 Depth=1
	v_dual_mov_b32 v52, 0 :: v_dual_mov_b32 v53, 0
.LBB61_36:                              ;   in Loop: Header=BB61_24 Depth=1
	s_wait_loadcnt 0x0
	s_delay_alu instid0(VALU_DEP_1) | instskip(NEXT) | instid1(VALU_DEP_2)
	v_bfe_u32 v54, v52, 16, 1
	v_bfe_u32 v67, v53, 16, 1
	v_or_b32_e32 v68, 0x400000, v52
	v_cmp_u_f32_e32 vcc_lo, v52, v52
	v_or_b32_e32 v69, 0x400000, v53
	v_add3_u32 v54, v54, v52, 0x7fff
	v_add3_u32 v67, v67, v53, 0x7fff
	s_wait_alu 0xfffd
	s_delay_alu instid0(VALU_DEP_2) | instskip(SKIP_4) | instid1(VALU_DEP_1)
	v_cndmask_b32_e32 v52, v54, v68, vcc_lo
	v_cmp_u_f32_e32 vcc_lo, v53, v53
	s_wait_alu 0xfffd
	v_cndmask_b32_e32 v53, v67, v69, vcc_lo
	s_and_not1_b32 vcc_lo, exec_lo, s28
	v_perm_b32 v54, v53, v52, 0x7060302
	v_dual_mov_b32 v52, 0 :: v_dual_mov_b32 v53, 0
	ds_store_b32 v63, v54 offset:352
	s_wait_alu 0xfffe
	s_cbranch_vccnz .LBB61_23
; %bb.37:                               ;   in Loop: Header=BB61_24 Depth=1
	ds_load_b32 v52, v66 offset:12
	s_wait_dscnt 0x0
	v_cmp_gt_i32_e32 vcc_lo, 0, v52
	s_cbranch_vccz .LBB61_22
; %bb.38:                               ;   in Loop: Header=BB61_24 Depth=1
	v_dual_mov_b32 v52, 0 :: v_dual_mov_b32 v53, 0
	s_branch .LBB61_23
.LBB61_39:
	s_or_b32 exec_lo, exec_lo, s8
.LBB61_40:
	s_delay_alu instid0(SALU_CYCLE_1)
	s_or_b32 exec_lo, exec_lo, s15
	v_lshl_add_u32 v16, v59, 2, 0x100
	v_mul_u32_u24_e32 v17, 0x210, v60
	v_and_b32_e32 v18, 0x7e0, v61
	s_wait_loadcnt_dscnt 0x0
	s_barrier_signal -1
	s_barrier_wait -1
	global_inv scope:SCOPE_SE
	v_add3_u32 v16, v16, v17, v18
	s_mov_b32 s0, exec_lo
	ds_store_2addr_b32 v16, v8, v9 offset0:16 offset1:17
	ds_store_2addr_b32 v16, v10, v11 offset0:18 offset1:19
	;; [unrolled: 1-line block ×4, first 2 shown]
	v_lshlrev_b32_e32 v8, 2, v48
	v_mul_u32_u24_e32 v9, 0x210, v55
	ds_store_2addr_b32 v16, v0, v1 offset0:32 offset1:33
	ds_store_2addr_b32 v16, v2, v3 offset0:34 offset1:35
	;; [unrolled: 1-line block ×4, first 2 shown]
	s_wait_loadcnt_dscnt 0x0
	s_barrier_signal -1
	s_barrier_wait -1
	v_add3_u32 v0, 0x100, v8, v9
	global_inv scope:SCOPE_SE
	ds_load_2addr_b32 v[2:3], v0 offset0:16 offset1:48
	ds_load_2addr_b32 v[0:1], v0 offset0:80 offset1:112
	v_mov_b32_e32 v4, -1
	v_cmpx_gt_u32_e32 4, v55
; %bb.41:
	v_add_nc_u32_e32 v4, v56, v57
	ds_load_b32 v4, v4
; %bb.42:
	s_wait_alu 0xfffe
	s_or_b32 exec_lo, exec_lo, s0
	v_cmp_gt_i32_e32 vcc_lo, s5, v58
	s_wait_dscnt 0x0
	v_cmp_lt_i32_e64 s0, -1, v4
	s_and_b32 s0, s0, vcc_lo
	s_wait_alu 0xfffe
	s_and_b32 exec_lo, exec_lo, s0
	s_cbranch_execz .LBB61_44
; %bb.43:
	v_mul_lo_u32 v5, s9, v55
	v_mul_lo_u32 v4, v4, s14
	v_add_f32_e32 v2, 0, v2
	v_add_nc_u32_e32 v6, s1, v48
	s_ashr_i32 s1, s22, 31
	s_mov_b32 s0, s22
	s_ashr_i32 s5, s9, 31
	v_add_f32_e32 v7, v2, v3
	v_mov_b32_e32 v3, 0
	v_add3_u32 v2, v6, v5, v4
	s_wait_alu 0xfffe
	s_mul_u64 s[0:1], s[0:1], s[24:25]
	s_mov_b32 s4, s9
	s_wait_alu 0xfffe
	s_lshl_b64 s[0:1], s[0:1], 2
	s_mul_u64 s[4:5], s[26:27], s[4:5]
	v_lshlrev_b64_e32 v[2:3], 2, v[2:3]
	v_add_f32_e32 v0, v7, v0
	s_wait_alu 0xfffe
	s_add_nc_u64 s[0:1], s[2:3], s[0:1]
	s_lshl_b64 s[2:3], s[4:5], 2
	s_wait_alu 0xfffe
	s_add_nc_u64 s[0:1], s[0:1], s[2:3]
	v_add_f32_e32 v4, v0, v1
	s_wait_alu 0xfffe
	v_add_co_u32 v0, vcc_lo, s0, v2
	s_wait_alu 0xfffd
	v_add_co_ci_u32_e64 v1, null, s1, v3, vcc_lo
	global_store_b32 v[0:1], v4, off
.LBB61_44:
	s_endpgm
	.section	.rodata,"a",@progbits
	.p2align	6, 0x0
	.amdhsa_kernel _ZL9mul_mat_fI15__hip_bfloat162Li32ELi4ELi4ELb1EEvPKT_PKfPKiPfiiiiiiiiiiiiiiii
		.amdhsa_group_segment_fixed_size 256
		.amdhsa_private_segment_fixed_size 0
		.amdhsa_kernarg_size 352
		.amdhsa_user_sgpr_count 2
		.amdhsa_user_sgpr_dispatch_ptr 0
		.amdhsa_user_sgpr_queue_ptr 0
		.amdhsa_user_sgpr_kernarg_segment_ptr 1
		.amdhsa_user_sgpr_dispatch_id 0
		.amdhsa_user_sgpr_private_segment_size 0
		.amdhsa_wavefront_size32 1
		.amdhsa_uses_dynamic_stack 0
		.amdhsa_enable_private_segment 0
		.amdhsa_system_sgpr_workgroup_id_x 1
		.amdhsa_system_sgpr_workgroup_id_y 1
		.amdhsa_system_sgpr_workgroup_id_z 1
		.amdhsa_system_sgpr_workgroup_info 0
		.amdhsa_system_vgpr_workitem_id 2
		.amdhsa_next_free_vgpr 83
		.amdhsa_next_free_sgpr 68
		.amdhsa_reserve_vcc 1
		.amdhsa_float_round_mode_32 0
		.amdhsa_float_round_mode_16_64 0
		.amdhsa_float_denorm_mode_32 3
		.amdhsa_float_denorm_mode_16_64 3
		.amdhsa_fp16_overflow 0
		.amdhsa_workgroup_processor_mode 1
		.amdhsa_memory_ordered 1
		.amdhsa_forward_progress 1
		.amdhsa_inst_pref_size 42
		.amdhsa_round_robin_scheduling 0
		.amdhsa_exception_fp_ieee_invalid_op 0
		.amdhsa_exception_fp_denorm_src 0
		.amdhsa_exception_fp_ieee_div_zero 0
		.amdhsa_exception_fp_ieee_overflow 0
		.amdhsa_exception_fp_ieee_underflow 0
		.amdhsa_exception_fp_ieee_inexact 0
		.amdhsa_exception_int_div_zero 0
	.end_amdhsa_kernel
	.section	.text._ZL9mul_mat_fI15__hip_bfloat162Li32ELi4ELi4ELb1EEvPKT_PKfPKiPfiiiiiiiiiiiiiiii,"axG",@progbits,_ZL9mul_mat_fI15__hip_bfloat162Li32ELi4ELi4ELb1EEvPKT_PKfPKiPfiiiiiiiiiiiiiiii,comdat
.Lfunc_end61:
	.size	_ZL9mul_mat_fI15__hip_bfloat162Li32ELi4ELi4ELb1EEvPKT_PKfPKiPfiiiiiiiiiiiiiiii, .Lfunc_end61-_ZL9mul_mat_fI15__hip_bfloat162Li32ELi4ELi4ELb1EEvPKT_PKfPKiPfiiiiiiiiiiiiiiii
                                        ; -- End function
	.set _ZL9mul_mat_fI15__hip_bfloat162Li32ELi4ELi4ELb1EEvPKT_PKfPKiPfiiiiiiiiiiiiiiii.num_vgpr, 83
	.set _ZL9mul_mat_fI15__hip_bfloat162Li32ELi4ELi4ELb1EEvPKT_PKfPKiPfiiiiiiiiiiiiiiii.num_agpr, 0
	.set _ZL9mul_mat_fI15__hip_bfloat162Li32ELi4ELi4ELb1EEvPKT_PKfPKiPfiiiiiiiiiiiiiiii.numbered_sgpr, 68
	.set _ZL9mul_mat_fI15__hip_bfloat162Li32ELi4ELi4ELb1EEvPKT_PKfPKiPfiiiiiiiiiiiiiiii.num_named_barrier, 0
	.set _ZL9mul_mat_fI15__hip_bfloat162Li32ELi4ELi4ELb1EEvPKT_PKfPKiPfiiiiiiiiiiiiiiii.private_seg_size, 0
	.set _ZL9mul_mat_fI15__hip_bfloat162Li32ELi4ELi4ELb1EEvPKT_PKfPKiPfiiiiiiiiiiiiiiii.uses_vcc, 1
	.set _ZL9mul_mat_fI15__hip_bfloat162Li32ELi4ELi4ELb1EEvPKT_PKfPKiPfiiiiiiiiiiiiiiii.uses_flat_scratch, 0
	.set _ZL9mul_mat_fI15__hip_bfloat162Li32ELi4ELi4ELb1EEvPKT_PKfPKiPfiiiiiiiiiiiiiiii.has_dyn_sized_stack, 0
	.set _ZL9mul_mat_fI15__hip_bfloat162Li32ELi4ELi4ELb1EEvPKT_PKfPKiPfiiiiiiiiiiiiiiii.has_recursion, 0
	.set _ZL9mul_mat_fI15__hip_bfloat162Li32ELi4ELi4ELb1EEvPKT_PKfPKiPfiiiiiiiiiiiiiiii.has_indirect_call, 0
	.section	.AMDGPU.csdata,"",@progbits
; Kernel info:
; codeLenInByte = 5360
; TotalNumSgprs: 70
; NumVgprs: 83
; ScratchSize: 0
; MemoryBound: 0
; FloatMode: 240
; IeeeMode: 1
; LDSByteSize: 256 bytes/workgroup (compile time only)
; SGPRBlocks: 0
; VGPRBlocks: 10
; NumSGPRsForWavesPerEU: 70
; NumVGPRsForWavesPerEU: 83
; Occupancy: 16
; WaveLimiterHint : 0
; COMPUTE_PGM_RSRC2:SCRATCH_EN: 0
; COMPUTE_PGM_RSRC2:USER_SGPR: 2
; COMPUTE_PGM_RSRC2:TRAP_HANDLER: 0
; COMPUTE_PGM_RSRC2:TGID_X_EN: 1
; COMPUTE_PGM_RSRC2:TGID_Y_EN: 1
; COMPUTE_PGM_RSRC2:TGID_Z_EN: 1
; COMPUTE_PGM_RSRC2:TIDIG_COMP_CNT: 2
	.section	.text._ZL9mul_mat_fI15__hip_bfloat162Li32ELi4ELi4ELb0EEvPKT_PKfPKiPfiiiiiiiiiiiiiiii,"axG",@progbits,_ZL9mul_mat_fI15__hip_bfloat162Li32ELi4ELi4ELb0EEvPKT_PKfPKiPfiiiiiiiiiiiiiiii,comdat
	.globl	_ZL9mul_mat_fI15__hip_bfloat162Li32ELi4ELi4ELb0EEvPKT_PKfPKiPfiiiiiiiiiiiiiiii ; -- Begin function _ZL9mul_mat_fI15__hip_bfloat162Li32ELi4ELi4ELb0EEvPKT_PKfPKiPfiiiiiiiiiiiiiiii
	.p2align	8
	.type	_ZL9mul_mat_fI15__hip_bfloat162Li32ELi4ELi4ELb0EEvPKT_PKfPKiPfiiiiiiiiiiiiiiii,@function
_ZL9mul_mat_fI15__hip_bfloat162Li32ELi4ELi4ELb0EEvPKT_PKfPKiPfiiiiiiiiiiiiiiii: ; @_ZL9mul_mat_fI15__hip_bfloat162Li32ELi4ELi4ELb0EEvPKT_PKfPKiPfiiiiiiiiiiiiiiii
; %bb.0:
	s_clause 0x1
	s_load_b256 s[4:11], s[0:1], 0x40
	s_load_b32 s21, s[0:1], 0x20
	v_bfe_u32 v37, v0, 10, 10
	v_and_b32_e32 v36, 0x3ff, v0
	s_mov_b32 s15, exec_lo
	s_delay_alu instid0(VALU_DEP_2) | instskip(NEXT) | instid1(VALU_DEP_2)
	v_lshlrev_b32_e32 v38, 5, v37
	v_and_b32_e32 v39, 15, v36
	s_delay_alu instid0(VALU_DEP_2)
	v_add_nc_u32_e32 v41, v38, v36
	s_wait_kmcnt 0x0
	s_abs_i32 s12, s4
	s_abs_i32 s23, s8
	s_cvt_f32_u32 s2, s12
	s_cvt_f32_u32 s3, s23
	s_delay_alu instid0(SALU_CYCLE_2) | instskip(NEXT) | instid1(SALU_CYCLE_2)
	v_rcp_iflag_f32_e32 v0, s2
	v_rcp_iflag_f32_e32 v1, s3
	s_mov_b32 s3, 0
	s_lshr_b32 s2, ttmp7, 16
	s_delay_alu instid0(TRANS32_DEP_2) | instskip(NEXT) | instid1(TRANS32_DEP_1)
	v_readfirstlane_b32 s13, v0
	v_readfirstlane_b32 s14, v1
	v_cmpx_le_i32_e64 s21, v41
	s_xor_b32 s15, exec_lo, s15
; %bb.1:
	v_and_b32_e32 v39, 15, v36
                                        ; implicit-def: $vgpr41
; %bb.2:
	s_or_saveexec_b32 s22, s15
	s_load_b96 s[16:18], s[0:1], 0x2c
	v_dual_mov_b32 v15, 0 :: v_dual_lshlrev_b32 v40, 2, v36
	s_and_b32 s19, ttmp7, 0xffff
	s_lshl_b32 s20, ttmp9, 5
	s_delay_alu instid0(VALU_DEP_1)
	v_dual_mov_b32 v14, v15 :: v_dual_mov_b32 v13, v15
	v_dual_mov_b32 v12, v15 :: v_dual_mov_b32 v11, v15
	v_dual_mov_b32 v10, v15 :: v_dual_mov_b32 v9, v15
	v_dual_mov_b32 v8, v15 :: v_dual_mov_b32 v7, v15
	v_dual_mov_b32 v6, v15 :: v_dual_mov_b32 v5, v15
	v_dual_mov_b32 v4, v15 :: v_dual_mov_b32 v3, v15
	v_dual_mov_b32 v2, v15 :: v_dual_mov_b32 v1, v15
	v_mov_b32_e32 v0, v15
	s_xor_b32 exec_lo, exec_lo, s22
	s_cbranch_execz .LBB62_6
; %bb.3:
	s_mul_f32 s13, s13, 0x4f7ffffe
	s_mul_f32 s14, s14, 0x4f7ffffe
	s_sub_co_i32 s24, 0, s12
	s_sub_co_i32 s25, 0, s23
	s_cvt_u32_f32 s13, s13
	s_cvt_u32_f32 s27, s14
	s_abs_i32 s14, s19
	s_mov_b32 s15, s3
	s_mul_i32 s24, s24, s13
	s_mul_i32 s25, s25, s27
	s_mul_hi_u32 s24, s13, s24
	s_mul_hi_u32 s28, s27, s25
	s_add_co_i32 s24, s13, s24
	s_mov_b32 s25, s3
	s_abs_i32 s26, s2
	s_mul_u64 s[24:25], s[14:15], s[24:25]
	s_ashr_i32 s24, s8, 31
	s_mul_i32 s13, s25, s12
	s_add_co_i32 s28, s27, s28
	s_sub_co_i32 s8, s14, s13
	s_ashr_i32 s4, s4, 31
	s_add_co_i32 s13, s25, 1
	s_sub_co_i32 s14, s8, s12
	s_cmp_ge_u32 s8, s12
	s_mov_b32 s27, s3
	s_cselect_b32 s13, s13, s25
	s_mov_b32 s29, s3
	s_cselect_b32 s8, s14, s8
	s_add_co_i32 s14, s13, 1
	s_mul_u64 s[28:29], s[26:27], s[28:29]
	s_cmp_ge_u32 s8, s12
	s_mul_i32 s12, s29, s23
	s_cselect_b32 s8, s14, s13
	s_sub_co_i32 s25, s26, s12
	s_xor_b32 s8, s8, s4
	s_load_b128 s[12:15], s[0:1], 0x0
	s_sub_co_i32 s26, s8, s4
	s_add_co_i32 s4, s29, 1
	s_sub_co_i32 s8, s25, s23
	s_cmp_ge_u32 s25, s23
	v_mad_u32_u24 v0, 0x900, v37, 0
	s_cselect_b32 s4, s4, s29
	s_cselect_b32 s8, s8, s25
	s_add_co_i32 s25, s4, 1
	s_cmp_ge_u32 s8, s23
	s_mov_b32 s8, s9
	s_cselect_b32 s4, s25, s4
	s_ashr_i32 s9, s9, 31
	s_xor_b32 s4, s4, s24
	v_mul_u32_u24_e32 v1, 0x90, v39
	s_sub_co_i32 s24, s4, s24
	v_and_b32_e32 v2, 0x3f0, v36
	s_ashr_i32 s25, s24, 31
	v_add_nc_u32_e32 v42, v0, v40
	s_mul_u64 s[8:9], s[24:25], s[8:9]
	s_mul_i32 s24, s26, s5
	s_lshl_b64 s[54:55], s[8:9], 2
	s_ashr_i32 s25, s24, 31
	s_wait_kmcnt 0x0
	s_add_nc_u64 s[8:9], s[12:13], s[54:55]
	s_lshl_b64 s[56:57], s[24:25], 2
	s_mul_i32 s24, s16, s20
	v_add3_u32 v43, v0, v1, v2
	s_ashr_i32 s25, s24, 31
	v_dual_mov_b32 v0, 0 :: v_dual_lshlrev_b32 v1, 7, v37
	s_lshl_b64 s[60:61], s[24:25], 2
	s_add_nc_u64 s[8:9], s[8:9], s[56:57]
	s_add_nc_u64 s[56:57], s[56:57], s[60:61]
	s_mov_b32 s4, s10
	s_add_nc_u64 s[54:55], s[56:57], s[54:55]
	s_ashr_i32 s5, s10, 31
	v_add_co_u32 v1, s53, s54, v1
	s_delay_alu instid0(VALU_DEP_1) | instskip(SKIP_2) | instid1(VALU_DEP_3)
	v_add_co_ci_u32_e64 v2, null, s55, 0, s53
	v_dual_mov_b32 v44, 0 :: v_dual_lshlrev_b32 v3, 8, v37
	s_mul_u64 s[4:5], s[4:5], s[2:3]
	v_add_co_u32 v1, vcc_lo, v1, v40
	s_lshl_b64 s[58:59], s[4:5], 2
	v_add_co_ci_u32_e64 v2, null, 0, v2, vcc_lo
	v_add_co_u32 v3, s53, s58, v3
	v_lshlrev_b32_e32 v5, 3, v36
	s_mul_i32 s4, s6, s19
	s_wait_alu 0xf1ff
	v_add_co_ci_u32_e64 v4, null, s59, 0, s53
	v_add_co_u32 v32, vcc_lo, s12, v1
	s_ashr_i32 s5, s4, 31
	s_wait_alu 0xfffd
	v_add_co_ci_u32_e64 v33, null, s13, v2, vcc_lo
	v_add_co_u32 v1, vcc_lo, v3, v5
	s_lshl_b64 s[62:63], s[4:5], 2
	s_wait_alu 0xfffd
	v_add_co_ci_u32_e64 v2, null, 0, v4, vcc_lo
	s_add_nc_u64 s[12:13], s[14:15], s[62:63]
	v_dual_mov_b32 v3, v0 :: v_dual_mov_b32 v4, v0
	s_wait_alu 0xfffe
	v_add_co_u32 v34, vcc_lo, s12, v1
	s_wait_alu 0xfffd
	v_add_co_ci_u32_e64 v35, null, s13, v2, vcc_lo
	v_dual_mov_b32 v1, v0 :: v_dual_mov_b32 v2, v0
	v_dual_mov_b32 v5, v0 :: v_dual_mov_b32 v6, v0
	;; [unrolled: 1-line block ×6, first 2 shown]
	v_mov_b32_e32 v15, v0
	s_add_nc_u64 s[26:27], s[14:15], s[58:59]
	s_ashr_i32 s65, s16, 31
	s_mov_b32 s64, s16
	s_ashr_i32 s67, s17, 31
	s_mov_b32 s66, s17
	s_add_nc_u64 s[4:5], s[8:9], s[60:61]
	s_add_nc_u64 s[8:9], s[26:27], s[62:63]
	s_mov_b32 s6, 0
	s_add_co_i32 s10, s16, s16
	s_add_co_i32 s23, s17, s17
	s_mul_i32 s17, s17, 3
	s_mul_i32 s24, s16, 3
	s_lshl_b32 s25, s16, 2
	s_mul_i32 s26, s16, 5
	s_mul_i32 s27, s16, 6
	;; [unrolled: 1-line block ×3, first 2 shown]
	s_lshl_b32 s29, s16, 3
	s_mul_i32 s30, s16, 9
	s_mul_i32 s31, s16, 10
	;; [unrolled: 1-line block ×7, first 2 shown]
	s_lshl_b32 s38, s16, 4
	s_mul_i32 s39, s16, 17
	s_mul_i32 s40, s16, 18
	;; [unrolled: 1-line block ×15, first 2 shown]
	s_lshl_b64 s[12:13], s[64:65], 2
	s_lshl_b64 s[14:15], s[66:67], 3
.LBB62_4:                               ; =>This Inner Loop Header: Depth=1
	global_load_b32 v16, v[32:33], off
	v_add_nc_u32_e32 v45, s38, v41
	s_delay_alu instid0(VALU_DEP_1) | instskip(NEXT) | instid1(VALU_DEP_1)
	v_ashrrev_i32_e32 v46, 31, v45
	v_lshlrev_b64_e32 v[45:46], 2, v[45:46]
	s_wait_loadcnt 0x0
	ds_store_b32 v42, v16
	s_wait_alu 0xfffe
	v_add_co_u32 v16, vcc_lo, v32, s12
	s_wait_alu 0xfffd
	v_add_co_ci_u32_e64 v17, null, s13, v33, vcc_lo
	global_load_b32 v16, v[16:17], off
	s_wait_loadcnt 0x0
	ds_store_b32 v42, v16 offset:144
	v_add_nc_u32_e32 v16, s10, v41
	s_delay_alu instid0(VALU_DEP_1) | instskip(NEXT) | instid1(VALU_DEP_1)
	v_ashrrev_i32_e32 v17, 31, v16
	v_lshlrev_b64_e32 v[16:17], 2, v[16:17]
	s_delay_alu instid0(VALU_DEP_1) | instskip(SKIP_1) | instid1(VALU_DEP_2)
	v_add_co_u32 v16, vcc_lo, s4, v16
	s_wait_alu 0xfffd
	v_add_co_ci_u32_e64 v17, null, s5, v17, vcc_lo
	global_load_b32 v16, v[16:17], off
	s_wait_loadcnt 0x0
	ds_store_b32 v42, v16 offset:288
	v_add_nc_u32_e32 v16, s24, v41
	s_delay_alu instid0(VALU_DEP_1) | instskip(NEXT) | instid1(VALU_DEP_1)
	v_ashrrev_i32_e32 v17, 31, v16
	v_lshlrev_b64_e32 v[16:17], 2, v[16:17]
	s_delay_alu instid0(VALU_DEP_1) | instskip(SKIP_1) | instid1(VALU_DEP_2)
	;; [unrolled: 11-line block ×14, first 2 shown]
	v_add_co_u32 v16, vcc_lo, s4, v16
	s_wait_alu 0xfffd
	v_add_co_ci_u32_e64 v17, null, s5, v17, vcc_lo
	v_add_co_u32 v45, vcc_lo, s4, v45
	s_wait_alu 0xfffd
	v_add_co_ci_u32_e64 v46, null, s5, v46, vcc_lo
	global_load_b32 v16, v[16:17], off
	s_wait_loadcnt 0x0
	ds_store_b32 v42, v16 offset:2160
	ds_load_b128 v[28:31], v43
	ds_load_b128 v[24:27], v43 offset:32
	ds_load_b128 v[20:23], v43 offset:64
	;; [unrolled: 1-line block ×3, first 2 shown]
	global_load_b32 v45, v[45:46], off
	s_wait_loadcnt 0x0
	ds_store_b32 v42, v45
	v_add_nc_u32_e32 v45, s39, v41
	s_delay_alu instid0(VALU_DEP_1) | instskip(NEXT) | instid1(VALU_DEP_1)
	v_ashrrev_i32_e32 v46, 31, v45
	v_lshlrev_b64_e32 v[45:46], 2, v[45:46]
	s_delay_alu instid0(VALU_DEP_1) | instskip(SKIP_1) | instid1(VALU_DEP_2)
	v_add_co_u32 v45, vcc_lo, s4, v45
	s_wait_alu 0xfffd
	v_add_co_ci_u32_e64 v46, null, s5, v46, vcc_lo
	global_load_b32 v45, v[45:46], off
	s_wait_loadcnt 0x0
	ds_store_b32 v42, v45 offset:144
	v_add_nc_u32_e32 v45, s40, v41
	s_delay_alu instid0(VALU_DEP_1) | instskip(NEXT) | instid1(VALU_DEP_1)
	v_ashrrev_i32_e32 v46, 31, v45
	v_lshlrev_b64_e32 v[45:46], 2, v[45:46]
	s_delay_alu instid0(VALU_DEP_1) | instskip(SKIP_1) | instid1(VALU_DEP_2)
	v_add_co_u32 v45, vcc_lo, s4, v45
	s_wait_alu 0xfffd
	v_add_co_ci_u32_e64 v46, null, s5, v46, vcc_lo
	global_load_b32 v45, v[45:46], off
	s_wait_loadcnt 0x0
	ds_store_b32 v42, v45 offset:288
	v_add_nc_u32_e32 v45, s41, v41
	s_delay_alu instid0(VALU_DEP_1) | instskip(NEXT) | instid1(VALU_DEP_1)
	v_ashrrev_i32_e32 v46, 31, v45
	v_lshlrev_b64_e32 v[45:46], 2, v[45:46]
	s_delay_alu instid0(VALU_DEP_1) | instskip(SKIP_1) | instid1(VALU_DEP_2)
	v_add_co_u32 v45, vcc_lo, s4, v45
	s_wait_alu 0xfffd
	v_add_co_ci_u32_e64 v46, null, s5, v46, vcc_lo
	global_load_b32 v45, v[45:46], off
	s_wait_loadcnt 0x0
	ds_store_b32 v42, v45 offset:432
	v_add_nc_u32_e32 v45, s42, v41
	s_delay_alu instid0(VALU_DEP_1) | instskip(NEXT) | instid1(VALU_DEP_1)
	v_ashrrev_i32_e32 v46, 31, v45
	v_lshlrev_b64_e32 v[45:46], 2, v[45:46]
	s_delay_alu instid0(VALU_DEP_1) | instskip(SKIP_1) | instid1(VALU_DEP_2)
	v_add_co_u32 v45, vcc_lo, s4, v45
	s_wait_alu 0xfffd
	v_add_co_ci_u32_e64 v46, null, s5, v46, vcc_lo
	global_load_b32 v45, v[45:46], off
	s_wait_loadcnt 0x0
	ds_store_b32 v42, v45 offset:576
	v_add_nc_u32_e32 v45, s43, v41
	s_delay_alu instid0(VALU_DEP_1) | instskip(NEXT) | instid1(VALU_DEP_1)
	v_ashrrev_i32_e32 v46, 31, v45
	v_lshlrev_b64_e32 v[45:46], 2, v[45:46]
	s_delay_alu instid0(VALU_DEP_1) | instskip(SKIP_1) | instid1(VALU_DEP_2)
	v_add_co_u32 v45, vcc_lo, s4, v45
	s_wait_alu 0xfffd
	v_add_co_ci_u32_e64 v46, null, s5, v46, vcc_lo
	global_load_b32 v45, v[45:46], off
	s_wait_loadcnt 0x0
	ds_store_b32 v42, v45 offset:720
	v_add_nc_u32_e32 v45, s44, v41
	s_delay_alu instid0(VALU_DEP_1) | instskip(NEXT) | instid1(VALU_DEP_1)
	v_ashrrev_i32_e32 v46, 31, v45
	v_lshlrev_b64_e32 v[45:46], 2, v[45:46]
	s_delay_alu instid0(VALU_DEP_1) | instskip(SKIP_1) | instid1(VALU_DEP_2)
	v_add_co_u32 v45, vcc_lo, s4, v45
	s_wait_alu 0xfffd
	v_add_co_ci_u32_e64 v46, null, s5, v46, vcc_lo
	global_load_b32 v45, v[45:46], off
	s_wait_loadcnt 0x0
	ds_store_b32 v42, v45 offset:864
	v_add_nc_u32_e32 v45, s45, v41
	s_delay_alu instid0(VALU_DEP_1) | instskip(NEXT) | instid1(VALU_DEP_1)
	v_ashrrev_i32_e32 v46, 31, v45
	v_lshlrev_b64_e32 v[45:46], 2, v[45:46]
	s_delay_alu instid0(VALU_DEP_1) | instskip(SKIP_1) | instid1(VALU_DEP_2)
	v_add_co_u32 v45, vcc_lo, s4, v45
	s_wait_alu 0xfffd
	v_add_co_ci_u32_e64 v46, null, s5, v46, vcc_lo
	global_load_b32 v45, v[45:46], off
	s_wait_loadcnt 0x0
	ds_store_b32 v42, v45 offset:1008
	v_add_nc_u32_e32 v45, s46, v41
	s_delay_alu instid0(VALU_DEP_1) | instskip(NEXT) | instid1(VALU_DEP_1)
	v_ashrrev_i32_e32 v46, 31, v45
	v_lshlrev_b64_e32 v[45:46], 2, v[45:46]
	s_delay_alu instid0(VALU_DEP_1) | instskip(SKIP_1) | instid1(VALU_DEP_2)
	v_add_co_u32 v45, vcc_lo, s4, v45
	s_wait_alu 0xfffd
	v_add_co_ci_u32_e64 v46, null, s5, v46, vcc_lo
	global_load_b32 v45, v[45:46], off
	s_wait_loadcnt 0x0
	ds_store_b32 v42, v45 offset:1152
	v_add_nc_u32_e32 v45, s47, v41
	s_delay_alu instid0(VALU_DEP_1) | instskip(NEXT) | instid1(VALU_DEP_1)
	v_ashrrev_i32_e32 v46, 31, v45
	v_lshlrev_b64_e32 v[45:46], 2, v[45:46]
	s_delay_alu instid0(VALU_DEP_1) | instskip(SKIP_1) | instid1(VALU_DEP_2)
	v_add_co_u32 v45, vcc_lo, s4, v45
	s_wait_alu 0xfffd
	v_add_co_ci_u32_e64 v46, null, s5, v46, vcc_lo
	global_load_b32 v45, v[45:46], off
	s_wait_loadcnt 0x0
	ds_store_b32 v42, v45 offset:1296
	v_add_nc_u32_e32 v45, s48, v41
	s_delay_alu instid0(VALU_DEP_1) | instskip(NEXT) | instid1(VALU_DEP_1)
	v_ashrrev_i32_e32 v46, 31, v45
	v_lshlrev_b64_e32 v[45:46], 2, v[45:46]
	s_delay_alu instid0(VALU_DEP_1) | instskip(SKIP_1) | instid1(VALU_DEP_2)
	v_add_co_u32 v45, vcc_lo, s4, v45
	s_wait_alu 0xfffd
	v_add_co_ci_u32_e64 v46, null, s5, v46, vcc_lo
	global_load_b32 v45, v[45:46], off
	s_wait_loadcnt 0x0
	ds_store_b32 v42, v45 offset:1440
	v_add_nc_u32_e32 v45, s49, v41
	s_delay_alu instid0(VALU_DEP_1) | instskip(NEXT) | instid1(VALU_DEP_1)
	v_ashrrev_i32_e32 v46, 31, v45
	v_lshlrev_b64_e32 v[45:46], 2, v[45:46]
	s_delay_alu instid0(VALU_DEP_1) | instskip(SKIP_1) | instid1(VALU_DEP_2)
	v_add_co_u32 v45, vcc_lo, s4, v45
	s_wait_alu 0xfffd
	v_add_co_ci_u32_e64 v46, null, s5, v46, vcc_lo
	global_load_b32 v45, v[45:46], off
	s_wait_loadcnt 0x0
	ds_store_b32 v42, v45 offset:1584
	v_add_nc_u32_e32 v45, s50, v41
	s_delay_alu instid0(VALU_DEP_1) | instskip(NEXT) | instid1(VALU_DEP_1)
	v_ashrrev_i32_e32 v46, 31, v45
	v_lshlrev_b64_e32 v[45:46], 2, v[45:46]
	s_delay_alu instid0(VALU_DEP_1) | instskip(SKIP_1) | instid1(VALU_DEP_2)
	v_add_co_u32 v45, vcc_lo, s4, v45
	s_wait_alu 0xfffd
	v_add_co_ci_u32_e64 v46, null, s5, v46, vcc_lo
	global_load_b32 v45, v[45:46], off
	s_wait_loadcnt 0x0
	ds_store_b32 v42, v45 offset:1728
	v_add_nc_u32_e32 v45, s51, v41
	s_delay_alu instid0(VALU_DEP_1) | instskip(NEXT) | instid1(VALU_DEP_1)
	v_ashrrev_i32_e32 v46, 31, v45
	v_lshlrev_b64_e32 v[45:46], 2, v[45:46]
	s_delay_alu instid0(VALU_DEP_1) | instskip(SKIP_1) | instid1(VALU_DEP_2)
	v_add_co_u32 v45, vcc_lo, s4, v45
	s_wait_alu 0xfffd
	v_add_co_ci_u32_e64 v46, null, s5, v46, vcc_lo
	global_load_b32 v45, v[45:46], off
	s_wait_loadcnt 0x0
	ds_store_b32 v42, v45 offset:1872
	v_add_nc_u32_e32 v45, s52, v41
	s_delay_alu instid0(VALU_DEP_1) | instskip(NEXT) | instid1(VALU_DEP_1)
	v_ashrrev_i32_e32 v46, 31, v45
	v_lshlrev_b64_e32 v[45:46], 2, v[45:46]
	s_delay_alu instid0(VALU_DEP_1) | instskip(SKIP_1) | instid1(VALU_DEP_2)
	v_add_co_u32 v45, vcc_lo, s4, v45
	s_wait_alu 0xfffd
	v_add_co_ci_u32_e64 v46, null, s5, v46, vcc_lo
	global_load_b32 v45, v[45:46], off
	s_wait_loadcnt 0x0
	ds_store_b32 v42, v45 offset:2016
	v_add_nc_u32_e32 v45, s16, v41
	s_delay_alu instid0(VALU_DEP_1) | instskip(NEXT) | instid1(VALU_DEP_1)
	v_ashrrev_i32_e32 v46, 31, v45
	v_lshlrev_b64_e32 v[45:46], 2, v[45:46]
	s_delay_alu instid0(VALU_DEP_1) | instskip(SKIP_1) | instid1(VALU_DEP_2)
	v_add_co_u32 v45, vcc_lo, s4, v45
	s_wait_alu 0xfffd
	v_add_co_ci_u32_e64 v46, null, s5, v46, vcc_lo
	global_load_b32 v45, v[45:46], off
	s_wait_loadcnt 0x0
	ds_store_b32 v42, v45 offset:2160
	ds_load_b128 v[45:48], v43
	ds_load_b128 v[49:52], v43 offset:32
	ds_load_b128 v[53:56], v43 offset:64
	;; [unrolled: 1-line block ×3, first 2 shown]
	global_load_b64 v[61:62], v[34:35], off
	s_wait_loadcnt 0x0
	v_bfe_u32 v63, v61, 16, 1
	v_or_b32_e32 v64, 0x400000, v61
	v_cmp_u_f32_e32 vcc_lo, v61, v61
	s_delay_alu instid0(VALU_DEP_3) | instskip(SKIP_1) | instid1(VALU_DEP_1)
	v_add3_u32 v63, v63, v61, 0x7fff
	s_wait_alu 0xfffd
	v_cndmask_b32_e32 v61, v63, v64, vcc_lo
	v_bfe_u32 v63, v62, 16, 1
	v_or_b32_e32 v64, 0x400000, v62
	v_cmp_u_f32_e32 vcc_lo, v62, v62
	s_delay_alu instid0(VALU_DEP_3) | instskip(SKIP_1) | instid1(VALU_DEP_1)
	v_add3_u32 v63, v63, v62, 0x7fff
	s_wait_alu 0xfffd
	v_cndmask_b32_e32 v62, v63, v64, vcc_lo
	s_delay_alu instid0(VALU_DEP_1)
	v_perm_b32 v61, v62, v61, 0x7060302
	ds_store_b32 v42, v61
	v_add_co_u32 v61, vcc_lo, v34, s14
	s_wait_alu 0xfffd
	v_add_co_ci_u32_e64 v62, null, s15, v35, vcc_lo
	global_load_b64 v[61:62], v[61:62], off
	s_wait_loadcnt 0x0
	v_bfe_u32 v63, v61, 16, 1
	v_or_b32_e32 v64, 0x400000, v61
	v_cmp_u_f32_e32 vcc_lo, v61, v61
	s_delay_alu instid0(VALU_DEP_3) | instskip(SKIP_1) | instid1(VALU_DEP_1)
	v_add3_u32 v63, v63, v61, 0x7fff
	s_wait_alu 0xfffd
	v_cndmask_b32_e32 v61, v63, v64, vcc_lo
	v_bfe_u32 v63, v62, 16, 1
	v_or_b32_e32 v64, 0x400000, v62
	v_cmp_u_f32_e32 vcc_lo, v62, v62
	s_delay_alu instid0(VALU_DEP_3) | instskip(SKIP_1) | instid1(VALU_DEP_1)
	v_add3_u32 v63, v63, v62, 0x7fff
	s_wait_alu 0xfffd
	v_cndmask_b32_e32 v62, v63, v64, vcc_lo
	s_delay_alu instid0(VALU_DEP_1) | instskip(SKIP_2) | instid1(VALU_DEP_1)
	v_perm_b32 v61, v62, v61, 0x7060302
	ds_store_b32 v42, v61 offset:144
	v_add_nc_u32_e32 v61, s23, v41
	v_ashrrev_i32_e32 v62, 31, v61
	s_delay_alu instid0(VALU_DEP_1) | instskip(NEXT) | instid1(VALU_DEP_1)
	v_lshlrev_b64_e32 v[61:62], 3, v[61:62]
	v_add_co_u32 v61, vcc_lo, s8, v61
	s_wait_alu 0xfffd
	s_delay_alu instid0(VALU_DEP_2)
	v_add_co_ci_u32_e64 v62, null, s9, v62, vcc_lo
	global_load_b64 v[61:62], v[61:62], off
	s_wait_loadcnt 0x0
	v_bfe_u32 v63, v61, 16, 1
	v_or_b32_e32 v64, 0x400000, v61
	v_cmp_u_f32_e32 vcc_lo, v61, v61
	s_delay_alu instid0(VALU_DEP_3) | instskip(SKIP_1) | instid1(VALU_DEP_1)
	v_add3_u32 v63, v63, v61, 0x7fff
	s_wait_alu 0xfffd
	v_cndmask_b32_e32 v61, v63, v64, vcc_lo
	v_bfe_u32 v63, v62, 16, 1
	v_or_b32_e32 v64, 0x400000, v62
	v_cmp_u_f32_e32 vcc_lo, v62, v62
	s_delay_alu instid0(VALU_DEP_3) | instskip(SKIP_1) | instid1(VALU_DEP_1)
	v_add3_u32 v63, v63, v62, 0x7fff
	s_wait_alu 0xfffd
	v_cndmask_b32_e32 v62, v63, v64, vcc_lo
	s_delay_alu instid0(VALU_DEP_1) | instskip(SKIP_3) | instid1(VALU_DEP_2)
	v_perm_b32 v61, v62, v61, 0x7060302
	ds_store_b32 v42, v61 offset:288
	v_add_nc_u32_e32 v61, s17, v41
	v_add_nc_u32_e32 v41, 0x80, v41
	v_ashrrev_i32_e32 v62, 31, v61
	s_delay_alu instid0(VALU_DEP_1) | instskip(NEXT) | instid1(VALU_DEP_1)
	v_lshlrev_b64_e32 v[61:62], 3, v[61:62]
	v_add_co_u32 v61, vcc_lo, s8, v61
	s_wait_alu 0xfffd
	s_delay_alu instid0(VALU_DEP_2)
	v_add_co_ci_u32_e64 v62, null, s9, v62, vcc_lo
	global_load_b64 v[61:62], v[61:62], off
	s_wait_loadcnt 0x0
	v_bfe_u32 v63, v61, 16, 1
	v_or_b32_e32 v64, 0x400000, v61
	v_cmp_u_f32_e32 vcc_lo, v61, v61
	s_delay_alu instid0(VALU_DEP_3) | instskip(SKIP_1) | instid1(VALU_DEP_1)
	v_add3_u32 v63, v63, v61, 0x7fff
	s_wait_alu 0xfffd
	v_cndmask_b32_e32 v61, v63, v64, vcc_lo
	v_bfe_u32 v63, v62, 16, 1
	v_or_b32_e32 v64, 0x400000, v62
	v_cmp_u_f32_e32 vcc_lo, v62, v62
	s_delay_alu instid0(VALU_DEP_3) | instskip(SKIP_1) | instid1(VALU_DEP_1)
	v_add3_u32 v63, v63, v62, 0x7fff
	s_wait_alu 0xfffd
	v_cndmask_b32_e32 v62, v63, v64, vcc_lo
	v_add_co_u32 v32, vcc_lo, 0x200, v32
	s_wait_alu 0xfffd
	v_add_co_ci_u32_e64 v33, null, 0, v33, vcc_lo
	s_delay_alu instid0(VALU_DEP_3)
	v_perm_b32 v61, v62, v61, 0x7060302
	ds_store_b32 v42, v61 offset:432
	ds_store_b32 v42, v44 offset:576
	;; [unrolled: 1-line block ×13, first 2 shown]
	ds_load_b128 v[61:64], v43
	ds_load_b128 v[65:68], v43 offset:32
	v_add_co_u32 v34, vcc_lo, 0x400, v34
	s_wait_alu 0xfffd
	v_add_co_ci_u32_e64 v35, null, 0, v35, vcc_lo
	v_cmp_le_i32_e32 vcc_lo, s21, v41
	s_or_b32 s6, vcc_lo, s6
	s_wait_dscnt 0x1
	v_wmma_f32_16x16x16_bf16 v[8:15], v[28:31], v[61:64], v[8:15]
	v_wmma_f32_16x16x16_bf16 v[0:7], v[45:48], v[61:64], v[0:7]
	s_wait_dscnt 0x0
	s_delay_alu instid0(VALU_DEP_2)
	v_wmma_f32_16x16x16_bf16 v[8:15], v[24:27], v[65:68], v[8:15]
	ds_load_b128 v[24:27], v43 offset:64
	v_wmma_f32_16x16x16_bf16 v[0:7], v[49:52], v[65:68], v[0:7]
	s_wait_dscnt 0x0
	v_wmma_f32_16x16x16_bf16 v[8:15], v[20:23], v[24:27], v[8:15]
	ds_load_b128 v[20:23], v43 offset:96
	v_wmma_f32_16x16x16_bf16 v[0:7], v[53:56], v[24:27], v[0:7]
	s_wait_dscnt 0x0
	v_wmma_f32_16x16x16_bf16 v[8:15], v[16:19], v[20:23], v[8:15]
	s_delay_alu instid0(VALU_DEP_2)
	v_wmma_f32_16x16x16_bf16 v[0:7], v[57:60], v[20:23], v[0:7]
	s_and_not1_b32 exec_lo, exec_lo, s6
	s_cbranch_execnz .LBB62_4
; %bb.5:
	s_or_b32 exec_lo, exec_lo, s6
.LBB62_6:
	s_delay_alu instid0(SALU_CYCLE_1) | instskip(SKIP_4) | instid1(VALU_DEP_3)
	s_or_b32 exec_lo, exec_lo, s22
	v_lshlrev_b32_e32 v16, 1, v36
	v_lshl_add_u32 v17, v38, 2, 0
	v_mul_u32_u24_e32 v18, 0x210, v39
	s_barrier_signal -1
	v_and_b32_e32 v16, 0x7e0, v16
	s_barrier_wait -1
	global_inv scope:SCOPE_SE
	s_load_b64 s[0:1], s[0:1], 0x18
	s_ashr_i32 s5, s11, 31
	v_add3_u32 v16, v17, v18, v16
	v_mul_u32_u24_e32 v17, 0x210, v37
	s_mov_b32 s4, s11
	s_mul_i32 s6, s7, s19
	s_wait_alu 0xfffe
	s_mul_u64 s[2:3], s[4:5], s[2:3]
	ds_store_2addr_b32 v16, v8, v9 offset1:1
	ds_store_2addr_b32 v16, v10, v11 offset0:2 offset1:3
	ds_store_2addr_b32 v16, v12, v13 offset0:4 offset1:5
	;; [unrolled: 1-line block ×7, first 2 shown]
	v_add3_u32 v2, 0, v40, v17
	s_wait_loadcnt_dscnt 0x0
	s_barrier_signal -1
	s_barrier_wait -1
	global_inv scope:SCOPE_SE
	ds_load_2addr_b32 v[0:1], v2 offset1:32
	ds_load_2addr_b32 v[2:3], v2 offset0:64 offset1:96
	s_wait_kmcnt 0x0
	v_mul_lo_u32 v4, s18, v37
	v_mov_b32_e32 v5, 0
	s_ashr_i32 s7, s6, 31
	s_wait_alu 0xfffe
	s_lshl_b64 s[2:3], s[2:3], 2
	s_lshl_b64 s[4:5], s[6:7], 2
	s_wait_alu 0xfffe
	s_add_nc_u64 s[0:1], s[0:1], s[2:3]
	v_add3_u32 v4, s20, v36, v4
	s_add_nc_u64 s[0:1], s[0:1], s[4:5]
	s_wait_dscnt 0x1
	v_add_f32_e32 v0, 0, v0
	s_delay_alu instid0(VALU_DEP_1) | instskip(SKIP_1) | instid1(VALU_DEP_1)
	v_add_f32_e32 v0, v0, v1
	s_wait_dscnt 0x0
	v_add_f32_e32 v2, v0, v2
	v_lshlrev_b64_e32 v[0:1], 2, v[4:5]
	s_delay_alu instid0(VALU_DEP_2) | instskip(NEXT) | instid1(VALU_DEP_2)
	v_add_f32_e32 v2, v2, v3
	v_add_co_u32 v0, vcc_lo, s0, v0
	s_wait_alu 0xfffd
	s_delay_alu instid0(VALU_DEP_3)
	v_add_co_ci_u32_e64 v1, null, s1, v1, vcc_lo
	global_store_b32 v[0:1], v2, off
	s_endpgm
	.section	.rodata,"a",@progbits
	.p2align	6, 0x0
	.amdhsa_kernel _ZL9mul_mat_fI15__hip_bfloat162Li32ELi4ELi4ELb0EEvPKT_PKfPKiPfiiiiiiiiiiiiiiii
		.amdhsa_group_segment_fixed_size 0
		.amdhsa_private_segment_fixed_size 0
		.amdhsa_kernarg_size 96
		.amdhsa_user_sgpr_count 2
		.amdhsa_user_sgpr_dispatch_ptr 0
		.amdhsa_user_sgpr_queue_ptr 0
		.amdhsa_user_sgpr_kernarg_segment_ptr 1
		.amdhsa_user_sgpr_dispatch_id 0
		.amdhsa_user_sgpr_private_segment_size 0
		.amdhsa_wavefront_size32 1
		.amdhsa_uses_dynamic_stack 0
		.amdhsa_enable_private_segment 0
		.amdhsa_system_sgpr_workgroup_id_x 1
		.amdhsa_system_sgpr_workgroup_id_y 1
		.amdhsa_system_sgpr_workgroup_id_z 1
		.amdhsa_system_sgpr_workgroup_info 0
		.amdhsa_system_vgpr_workitem_id 1
		.amdhsa_next_free_vgpr 69
		.amdhsa_next_free_sgpr 68
		.amdhsa_reserve_vcc 1
		.amdhsa_float_round_mode_32 0
		.amdhsa_float_round_mode_16_64 0
		.amdhsa_float_denorm_mode_32 3
		.amdhsa_float_denorm_mode_16_64 3
		.amdhsa_fp16_overflow 0
		.amdhsa_workgroup_processor_mode 1
		.amdhsa_memory_ordered 1
		.amdhsa_forward_progress 1
		.amdhsa_inst_pref_size 34
		.amdhsa_round_robin_scheduling 0
		.amdhsa_exception_fp_ieee_invalid_op 0
		.amdhsa_exception_fp_denorm_src 0
		.amdhsa_exception_fp_ieee_div_zero 0
		.amdhsa_exception_fp_ieee_overflow 0
		.amdhsa_exception_fp_ieee_underflow 0
		.amdhsa_exception_fp_ieee_inexact 0
		.amdhsa_exception_int_div_zero 0
	.end_amdhsa_kernel
	.section	.text._ZL9mul_mat_fI15__hip_bfloat162Li32ELi4ELi4ELb0EEvPKT_PKfPKiPfiiiiiiiiiiiiiiii,"axG",@progbits,_ZL9mul_mat_fI15__hip_bfloat162Li32ELi4ELi4ELb0EEvPKT_PKfPKiPfiiiiiiiiiiiiiiii,comdat
.Lfunc_end62:
	.size	_ZL9mul_mat_fI15__hip_bfloat162Li32ELi4ELi4ELb0EEvPKT_PKfPKiPfiiiiiiiiiiiiiiii, .Lfunc_end62-_ZL9mul_mat_fI15__hip_bfloat162Li32ELi4ELi4ELb0EEvPKT_PKfPKiPfiiiiiiiiiiiiiiii
                                        ; -- End function
	.set _ZL9mul_mat_fI15__hip_bfloat162Li32ELi4ELi4ELb0EEvPKT_PKfPKiPfiiiiiiiiiiiiiiii.num_vgpr, 69
	.set _ZL9mul_mat_fI15__hip_bfloat162Li32ELi4ELi4ELb0EEvPKT_PKfPKiPfiiiiiiiiiiiiiiii.num_agpr, 0
	.set _ZL9mul_mat_fI15__hip_bfloat162Li32ELi4ELi4ELb0EEvPKT_PKfPKiPfiiiiiiiiiiiiiiii.numbered_sgpr, 68
	.set _ZL9mul_mat_fI15__hip_bfloat162Li32ELi4ELi4ELb0EEvPKT_PKfPKiPfiiiiiiiiiiiiiiii.num_named_barrier, 0
	.set _ZL9mul_mat_fI15__hip_bfloat162Li32ELi4ELi4ELb0EEvPKT_PKfPKiPfiiiiiiiiiiiiiiii.private_seg_size, 0
	.set _ZL9mul_mat_fI15__hip_bfloat162Li32ELi4ELi4ELb0EEvPKT_PKfPKiPfiiiiiiiiiiiiiiii.uses_vcc, 1
	.set _ZL9mul_mat_fI15__hip_bfloat162Li32ELi4ELi4ELb0EEvPKT_PKfPKiPfiiiiiiiiiiiiiiii.uses_flat_scratch, 0
	.set _ZL9mul_mat_fI15__hip_bfloat162Li32ELi4ELi4ELb0EEvPKT_PKfPKiPfiiiiiiiiiiiiiiii.has_dyn_sized_stack, 0
	.set _ZL9mul_mat_fI15__hip_bfloat162Li32ELi4ELi4ELb0EEvPKT_PKfPKiPfiiiiiiiiiiiiiiii.has_recursion, 0
	.set _ZL9mul_mat_fI15__hip_bfloat162Li32ELi4ELi4ELb0EEvPKT_PKfPKiPfiiiiiiiiiiiiiiii.has_indirect_call, 0
	.section	.AMDGPU.csdata,"",@progbits
; Kernel info:
; codeLenInByte = 4232
; TotalNumSgprs: 70
; NumVgprs: 69
; ScratchSize: 0
; MemoryBound: 0
; FloatMode: 240
; IeeeMode: 1
; LDSByteSize: 0 bytes/workgroup (compile time only)
; SGPRBlocks: 0
; VGPRBlocks: 8
; NumSGPRsForWavesPerEU: 70
; NumVGPRsForWavesPerEU: 69
; Occupancy: 16
; WaveLimiterHint : 0
; COMPUTE_PGM_RSRC2:SCRATCH_EN: 0
; COMPUTE_PGM_RSRC2:USER_SGPR: 2
; COMPUTE_PGM_RSRC2:TRAP_HANDLER: 0
; COMPUTE_PGM_RSRC2:TGID_X_EN: 1
; COMPUTE_PGM_RSRC2:TGID_Y_EN: 1
; COMPUTE_PGM_RSRC2:TGID_Z_EN: 1
; COMPUTE_PGM_RSRC2:TIDIG_COMP_CNT: 1
	.section	.text._ZL13mul_mat_f_idsI15__hip_bfloat162Li32ELi4ELi5EEvPKT_PKfPKiS7_S7_Pfiiiiiiiiiiiiii15HIP_vector_typeIjLj3EESA_,"axG",@progbits,_ZL13mul_mat_f_idsI15__hip_bfloat162Li32ELi4ELi5EEvPKT_PKfPKiS7_S7_Pfiiiiiiiiiiiiii15HIP_vector_typeIjLj3EESA_,comdat
	.globl	_ZL13mul_mat_f_idsI15__hip_bfloat162Li32ELi4ELi5EEvPKT_PKfPKiS7_S7_Pfiiiiiiiiiiiiii15HIP_vector_typeIjLj3EESA_ ; -- Begin function _ZL13mul_mat_f_idsI15__hip_bfloat162Li32ELi4ELi5EEvPKT_PKfPKiS7_S7_Pfiiiiiiiiiiiiii15HIP_vector_typeIjLj3EESA_
	.p2align	8
	.type	_ZL13mul_mat_f_idsI15__hip_bfloat162Li32ELi4ELi5EEvPKT_PKfPKiS7_S7_Pfiiiiiiiiiiiiii15HIP_vector_typeIjLj3EESA_,@function
_ZL13mul_mat_f_idsI15__hip_bfloat162Li32ELi4ELi5EEvPKT_PKfPKiS7_S7_Pfiiiiiiiiiiiiii15HIP_vector_typeIjLj3EESA_: ; @_ZL13mul_mat_f_idsI15__hip_bfloat162Li32ELi4ELi5EEvPKT_PKfPKiS7_S7_Pfiiiiiiiiiiiiii15HIP_vector_typeIjLj3EESA_
; %bb.0:
	s_load_b64 s[4:5], s[0:1], 0x20
	s_and_b32 s2, ttmp7, 0xffff
	s_delay_alu instid0(SALU_CYCLE_1) | instskip(SKIP_4) | instid1(SALU_CYCLE_1)
	s_lshl_b32 s3, s2, 2
	s_wait_kmcnt 0x0
	s_load_b64 s[24:25], s[4:5], s3 offset:0x0
	s_wait_kmcnt 0x0
	s_sub_co_i32 s19, s25, s24
	s_add_co_i32 s3, s19, 3
	s_delay_alu instid0(SALU_CYCLE_1) | instskip(NEXT) | instid1(SALU_CYCLE_1)
	s_ashr_i32 s4, s3, 31
	s_lshr_b32 s4, s4, 30
	s_delay_alu instid0(SALU_CYCLE_1) | instskip(NEXT) | instid1(SALU_CYCLE_1)
	s_add_co_i32 s3, s3, s4
	s_ashr_i32 s4, s3, 2
	s_lshr_b32 s3, ttmp7, 16
	s_delay_alu instid0(SALU_CYCLE_1)
	s_cmp_ge_i32 s3, s4
	s_cbranch_scc1 .LBB63_23
; %bb.1:
	s_clause 0x3
	s_load_b128 s[4:7], s[0:1], 0x30
	s_load_b64 s[20:21], s[0:1], 0x40
	s_load_b128 s[8:11], s[0:1], 0x68
	s_load_b64 s[22:23], s[0:1], 0x78
	v_bfe_u32 v52, v0, 10, 10
	v_and_b32_e32 v51, 0x3ff, v0
	s_ashr_i32 s25, s24, 31
	s_mov_b32 s12, exec_lo
	s_delay_alu instid0(VALU_DEP_2) | instskip(NEXT) | instid1(VALU_DEP_2)
	v_lshlrev_b32_e32 v53, 5, v52
	v_and_b32_e32 v54, 15, v51
	s_delay_alu instid0(VALU_DEP_2) | instskip(SKIP_1) | instid1(VALU_DEP_1)
	v_add_nc_u32_e32 v48, v53, v51
	s_wait_kmcnt 0x0
	v_cmpx_le_i32_e64 s4, v48
	s_xor_b32 s12, exec_lo, s12
; %bb.2:
	v_and_b32_e32 v54, 15, v51
                                        ; implicit-def: $vgpr48
; %bb.3:
	s_or_saveexec_b32 s37, s12
	s_clause 0x1
	s_load_b64 s[26:27], s[0:1], 0x28
	s_load_b96 s[16:18], s[0:1], 0x4c
	v_mov_b32_e32 v7, 0
	s_lshl_b32 s33, ttmp9, 5
	s_lshl_b32 s36, s3, 2
	s_delay_alu instid0(VALU_DEP_1)
	v_dual_mov_b32 v6, v7 :: v_dual_mov_b32 v5, v7
	v_dual_mov_b32 v4, v7 :: v_dual_mov_b32 v3, v7
	;; [unrolled: 1-line block ×7, first 2 shown]
	v_mov_b32_e32 v8, v7
	s_xor_b32 exec_lo, exec_lo, s37
	s_cbranch_execz .LBB63_19
; %bb.4:
	s_clause 0x1
	s_load_b128 s[12:15], s[0:1], 0x0
	s_load_b64 s[28:29], s[0:1], 0x10
	s_wait_kmcnt 0x0
	s_mul_i32 s30, s16, s2
	s_mul_i32 s34, s7, s33
	s_ashr_i32 s31, s30, 31
	s_ashr_i32 s35, s34, 31
	s_lshl_b64 s[38:39], s[24:25], 2
	s_lshl_b64 s[68:69], s[30:31], 2
	;; [unrolled: 1-line block ×3, first 2 shown]
	s_cmp_lt_i32 s36, s19
	v_mad_u32_u24 v0, 0x900, v52, 0
	v_dual_mov_b32 v8, 0 :: v_dual_lshlrev_b32 v1, 2, v51
	v_mul_u32_u24_e32 v2, 0x90, v54
	s_cselect_b32 s16, -1, 0
	s_or_b32 s30, s36, 1
	v_mov_b32_e32 v57, 0
	v_and_b32_e32 v3, 0x3f0, v51
	s_lshl_b32 s2, s36, 2
	s_cmp_lt_i32 s30, s19
	s_add_nc_u64 s[30:31], s[12:13], s[68:69]
	s_add_nc_u64 s[34:35], s[28:29], s[38:39]
	;; [unrolled: 1-line block ×3, first 2 shown]
	s_cselect_b32 s38, -1, 0
	s_or_b32 s30, s36, 2
	v_dual_mov_b32 v10, v57 :: v_dual_add_nc_u32 v55, v0, v1
	v_add3_u32 v56, v0, v2, v3
	v_dual_mov_b32 v9, v57 :: v_dual_lshlrev_b32 v0, 7, v52
	s_mov_b32 s3, 0
	s_cmp_lt_i32 s30, s19
	s_add_nc_u64 s[30:31], s[34:35], s[2:3]
	s_cselect_b32 s39, -1, 0
	s_or_b32 s2, s36, 3
	s_add_nc_u64 s[68:69], s[68:69], s[70:71]
	s_cmp_lt_i32 s2, s19
	v_add_co_u32 v0, s2, s68, v0
	s_delay_alu instid0(VALU_DEP_1) | instskip(SKIP_2) | instid1(VALU_DEP_1)
	v_add_co_ci_u32_e64 v2, null, s69, 0, s2
	s_mov_b32 s34, s8
	v_add_co_u32 v0, vcc_lo, v0, v1
	v_add_co_ci_u32_e64 v1, null, 0, v2, vcc_lo
	s_cselect_b32 s8, -1, 0
	v_add_co_u32 v49, vcc_lo, s12, v0
	s_wait_alu 0xfffd
	v_add_co_ci_u32_e64 v50, null, s13, v1, vcc_lo
	v_dual_mov_b32 v0, 0 :: v_dual_mov_b32 v11, v57
	v_mov_b32_e32 v14, v57
	v_dual_mov_b32 v12, v57 :: v_dual_mov_b32 v13, v57
	v_dual_mov_b32 v2, v57 :: v_dual_mov_b32 v15, v57
	;; [unrolled: 1-line block ×4, first 2 shown]
	v_mov_b32_e32 v5, v57
	v_mov_b32_e32 v7, v57
	s_ashr_i32 s73, s7, 31
	s_mov_b32 s72, s7
	s_mov_b32 s35, s3
	s_add_co_i32 s40, s7, s7
	s_mul_i32 s41, s7, 3
	s_lshl_b32 s42, s7, 2
	s_mul_i32 s43, s7, 5
	s_mul_i32 s44, s7, 6
	;; [unrolled: 1-line block ×3, first 2 shown]
	s_lshl_b32 s46, s7, 3
	s_mul_i32 s47, s7, 9
	s_mul_i32 s48, s7, 10
	;; [unrolled: 1-line block ×7, first 2 shown]
	s_lshl_b32 s54, s7, 4
	s_mul_i32 s55, s7, 17
	s_mul_i32 s56, s7, 18
	s_mul_i32 s57, s7, 19
	s_mul_i32 s58, s7, 20
	s_mul_i32 s59, s7, 21
	s_mul_i32 s60, s7, 22
	s_mul_i32 s61, s7, 23
	s_mul_i32 s62, s7, 24
	s_mul_i32 s63, s7, 25
	s_mul_i32 s64, s7, 26
	s_mul_i32 s65, s7, 27
	s_mul_i32 s66, s7, 28
	s_mul_i32 s67, s7, 29
	s_mul_i32 s68, s7, 30
	s_mul_i32 s7, s7, 31
	s_lshl_b64 s[12:13], s[72:73], 2
	s_mov_b32 s69, 0
	s_branch .LBB63_6
.LBB63_5:                               ;   in Loop: Header=BB63_6 Depth=1
	v_perm_b32 v58, v58, v59, 0x5040100
	v_perm_b32 v59, v61, v62, 0x5040100
	;; [unrolled: 1-line block ×4, first 2 shown]
	v_add_nc_u32_e32 v62, 0x400, v55
	ds_store_2addr_b32 v55, v58, v59 offset1:36
	ds_store_2addr_b32 v55, v60, v61 offset0:72 offset1:108
	ds_store_2addr_b32 v55, v57, v57 offset0:144 offset1:180
	v_add_nc_u32_e32 v58, 0x600, v55
	ds_store_2addr_b32 v55, v57, v57 offset0:216 offset1:252
	ds_store_2addr_b32 v62, v57, v57 offset0:32 offset1:68
	;; [unrolled: 1-line block ×5, first 2 shown]
	ds_load_b128 v[58:61], v56
	ds_load_b128 v[62:65], v56 offset:32
	ds_load_b128 v[66:69], v56 offset:64
	;; [unrolled: 1-line block ×3, first 2 shown]
	v_add_nc_u32_e32 v48, 0xa0, v48
	v_add_co_u32 v49, s2, 0x280, v49
	s_wait_alu 0xf1ff
	v_add_co_ci_u32_e64 v50, null, 0, v50, s2
	s_delay_alu instid0(VALU_DEP_3)
	v_cmp_le_i32_e32 vcc_lo, s4, v48
	s_or_b32 s69, vcc_lo, s69
	s_wait_dscnt 0x3
	v_wmma_f32_16x16x16_bf16 v[8:15], v[32:35], v[58:61], v[8:15]
	v_wmma_f32_16x16x16_bf16 v[0:7], v[44:47], v[58:61], v[0:7]
	s_wait_dscnt 0x2
	s_delay_alu instid0(VALU_DEP_2) | instskip(NEXT) | instid1(VALU_DEP_2)
	v_wmma_f32_16x16x16_bf16 v[8:15], v[28:31], v[62:65], v[8:15]
	v_wmma_f32_16x16x16_bf16 v[0:7], v[40:43], v[62:65], v[0:7]
	s_wait_dscnt 0x1
	s_delay_alu instid0(VALU_DEP_2) | instskip(NEXT) | instid1(VALU_DEP_2)
	;; [unrolled: 4-line block ×3, first 2 shown]
	v_wmma_f32_16x16x16_bf16 v[8:15], v[16:19], v[70:73], v[8:15]
	v_wmma_f32_16x16x16_bf16 v[0:7], v[20:23], v[70:73], v[0:7]
	s_wait_alu 0xfffe
	s_and_not1_b32 exec_lo, exec_lo, s69
	s_cbranch_execz .LBB63_18
.LBB63_6:                               ; =>This Inner Loop Header: Depth=1
	v_add_nc_u32_e32 v22, s42, v48
	v_add_nc_u32_e32 v16, s40, v48
	s_wait_alu 0xfffe
	v_add_co_u32 v20, vcc_lo, v49, s12
	v_add_nc_u32_e32 v18, s41, v48
	s_wait_alu 0xfffd
	v_add_co_ci_u32_e64 v21, null, s13, v50, vcc_lo
	v_ashrrev_i32_e32 v23, 31, v22
	v_ashrrev_i32_e32 v17, 31, v16
	v_add_nc_u32_e32 v24, s43, v48
	v_ashrrev_i32_e32 v19, 31, v18
	s_clause 0x1
	global_load_b32 v38, v[49:50], off
	global_load_b32 v39, v[20:21], off
	v_lshlrev_b64_e32 v[20:21], 2, v[22:23]
	v_add_nc_u32_e32 v22, s44, v48
	v_lshlrev_b64_e32 v[16:17], 2, v[16:17]
	v_add_nc_u32_e32 v26, s45, v48
	v_ashrrev_i32_e32 v25, 31, v24
	v_lshlrev_b64_e32 v[18:19], 2, v[18:19]
	v_add_nc_u32_e32 v28, s46, v48
	v_ashrrev_i32_e32 v23, 31, v22
	v_add_nc_u32_e32 v30, s47, v48
	v_ashrrev_i32_e32 v27, 31, v26
	v_add_co_u32 v16, vcc_lo, s28, v16
	v_lshlrev_b64_e32 v[24:25], 2, v[24:25]
	v_ashrrev_i32_e32 v29, 31, v28
	s_wait_alu 0xfffd
	v_add_co_ci_u32_e64 v17, null, s29, v17, vcc_lo
	v_add_co_u32 v18, vcc_lo, s28, v18
	v_lshlrev_b64_e32 v[22:23], 2, v[22:23]
	v_ashrrev_i32_e32 v31, 31, v30
	s_wait_alu 0xfffd
	v_add_co_ci_u32_e64 v19, null, s29, v19, vcc_lo
	v_add_co_u32 v20, vcc_lo, s28, v20
	v_lshlrev_b64_e32 v[26:27], 2, v[26:27]
	s_wait_alu 0xfffd
	v_add_co_ci_u32_e64 v21, null, s29, v21, vcc_lo
	v_add_co_u32 v24, vcc_lo, s28, v24
	v_lshlrev_b64_e32 v[28:29], 2, v[28:29]
	;; [unrolled: 4-line block ×3, first 2 shown]
	s_wait_alu 0xfffd
	v_add_co_ci_u32_e64 v23, null, s29, v23, vcc_lo
	v_add_co_u32 v26, vcc_lo, s28, v26
	v_add_nc_u32_e32 v32, s48, v48
	s_wait_alu 0xfffd
	v_add_co_ci_u32_e64 v27, null, s29, v27, vcc_lo
	v_add_co_u32 v28, vcc_lo, s28, v28
	v_add_nc_u32_e32 v34, s49, v48
	;; [unrolled: 4-line block ×3, first 2 shown]
	v_ashrrev_i32_e32 v33, 31, v32
	s_wait_alu 0xfffd
	v_add_co_ci_u32_e64 v31, null, s29, v31, vcc_lo
	s_clause 0x7
	global_load_b32 v40, v[16:17], off
	global_load_b32 v41, v[18:19], off
	;; [unrolled: 1-line block ×8, first 2 shown]
	v_add_nc_u32_e32 v18, s51, v48
	v_ashrrev_i32_e32 v35, 31, v34
	v_add_nc_u32_e32 v24, s52, v48
	v_ashrrev_i32_e32 v37, 31, v36
	v_lshlrev_b64_e32 v[32:33], 2, v[32:33]
	v_add_nc_u32_e32 v26, s53, v48
	v_ashrrev_i32_e32 v19, 31, v18
	v_lshlrev_b64_e32 v[16:17], 2, v[34:35]
	;; [unrolled: 3-line block ×3, first 2 shown]
	v_add_nc_u32_e32 v30, s55, v48
	v_ashrrev_i32_e32 v27, 31, v26
	v_add_co_u32 v20, vcc_lo, s28, v32
	v_lshlrev_b64_e32 v[18:19], 2, v[18:19]
	v_ashrrev_i32_e32 v29, 31, v28
	s_wait_alu 0xfffd
	v_add_co_ci_u32_e64 v21, null, s29, v33, vcc_lo
	v_add_co_u32 v16, vcc_lo, s28, v16
	v_lshlrev_b64_e32 v[24:25], 2, v[24:25]
	v_ashrrev_i32_e32 v31, 31, v30
	s_wait_alu 0xfffd
	v_add_co_ci_u32_e64 v17, null, s29, v17, vcc_lo
	v_add_co_u32 v22, vcc_lo, s28, v22
	v_lshlrev_b64_e32 v[26:27], 2, v[26:27]
	s_wait_alu 0xfffd
	v_add_co_ci_u32_e64 v23, null, s29, v23, vcc_lo
	v_add_co_u32 v18, vcc_lo, s28, v18
	v_lshlrev_b64_e32 v[28:29], 2, v[28:29]
	s_wait_alu 0xfffd
	v_add_co_ci_u32_e64 v19, null, s29, v19, vcc_lo
	v_add_co_u32 v24, vcc_lo, s28, v24
	v_lshlrev_b64_e32 v[30:31], 2, v[30:31]
	s_wait_alu 0xfffd
	v_add_co_ci_u32_e64 v25, null, s29, v25, vcc_lo
	v_add_co_u32 v26, vcc_lo, s28, v26
	v_add_nc_u32_e32 v32, s56, v48
	s_wait_alu 0xfffd
	v_add_co_ci_u32_e64 v27, null, s29, v27, vcc_lo
	v_add_co_u32 v28, vcc_lo, s28, v28
	v_add_nc_u32_e32 v34, s57, v48
	;; [unrolled: 4-line block ×3, first 2 shown]
	v_ashrrev_i32_e32 v33, 31, v32
	s_wait_alu 0xfffd
	v_add_co_ci_u32_e64 v31, null, s29, v31, vcc_lo
	s_clause 0x7
	global_load_b32 v58, v[20:21], off
	global_load_b32 v59, v[16:17], off
	;; [unrolled: 1-line block ×8, first 2 shown]
	v_add_nc_u32_e32 v18, s59, v48
	v_ashrrev_i32_e32 v35, 31, v34
	v_add_nc_u32_e32 v24, s60, v48
	v_ashrrev_i32_e32 v37, 31, v36
	v_lshlrev_b64_e32 v[32:33], 2, v[32:33]
	v_add_nc_u32_e32 v26, s61, v48
	v_ashrrev_i32_e32 v19, 31, v18
	v_lshlrev_b64_e32 v[16:17], 2, v[34:35]
	v_add_nc_u32_e32 v28, s62, v48
	v_ashrrev_i32_e32 v25, 31, v24
	v_lshlrev_b64_e32 v[22:23], 2, v[36:37]
	v_add_nc_u32_e32 v30, s63, v48
	v_ashrrev_i32_e32 v27, 31, v26
	v_add_co_u32 v20, vcc_lo, s28, v32
	v_lshlrev_b64_e32 v[18:19], 2, v[18:19]
	v_ashrrev_i32_e32 v29, 31, v28
	s_wait_alu 0xfffd
	v_add_co_ci_u32_e64 v21, null, s29, v33, vcc_lo
	v_add_co_u32 v16, vcc_lo, s28, v16
	v_lshlrev_b64_e32 v[24:25], 2, v[24:25]
	v_ashrrev_i32_e32 v31, 31, v30
	s_wait_alu 0xfffd
	v_add_co_ci_u32_e64 v17, null, s29, v17, vcc_lo
	v_add_co_u32 v22, vcc_lo, s28, v22
	v_lshlrev_b64_e32 v[26:27], 2, v[26:27]
	s_wait_alu 0xfffd
	v_add_co_ci_u32_e64 v23, null, s29, v23, vcc_lo
	v_add_co_u32 v18, vcc_lo, s28, v18
	v_lshlrev_b64_e32 v[28:29], 2, v[28:29]
	;; [unrolled: 4-line block ×3, first 2 shown]
	s_wait_alu 0xfffd
	v_add_co_ci_u32_e64 v25, null, s29, v25, vcc_lo
	v_add_co_u32 v26, vcc_lo, s28, v26
	v_add_nc_u32_e32 v32, s64, v48
	s_wait_alu 0xfffd
	v_add_co_ci_u32_e64 v27, null, s29, v27, vcc_lo
	v_add_co_u32 v28, vcc_lo, s28, v28
	v_add_nc_u32_e32 v34, s65, v48
	s_wait_alu 0xfffd
	v_add_co_ci_u32_e64 v29, null, s29, v29, vcc_lo
	v_add_co_u32 v30, vcc_lo, s28, v30
	v_add_nc_u32_e32 v36, s66, v48
	v_ashrrev_i32_e32 v33, 31, v32
	s_wait_alu 0xfffd
	v_add_co_ci_u32_e64 v31, null, s29, v31, vcc_lo
	s_clause 0x7
	global_load_b32 v66, v[20:21], off
	global_load_b32 v67, v[16:17], off
	;; [unrolled: 1-line block ×8, first 2 shown]
	v_add_nc_u32_e32 v18, s67, v48
	v_ashrrev_i32_e32 v35, 31, v34
	v_add_nc_u32_e32 v24, s68, v48
	v_ashrrev_i32_e32 v37, 31, v36
	v_lshlrev_b64_e32 v[32:33], 2, v[32:33]
	v_add_nc_u32_e32 v26, s7, v48
	v_ashrrev_i32_e32 v19, 31, v18
	v_lshlrev_b64_e32 v[16:17], 2, v[34:35]
	v_ashrrev_i32_e32 v25, 31, v24
	v_lshlrev_b64_e32 v[22:23], 2, v[36:37]
	v_ashrrev_i32_e32 v27, 31, v26
	v_add_co_u32 v20, vcc_lo, s28, v32
	v_lshlrev_b64_e32 v[18:19], 2, v[18:19]
	s_wait_alu 0xfffd
	v_add_co_ci_u32_e64 v21, null, s29, v33, vcc_lo
	v_add_co_u32 v16, vcc_lo, s28, v16
	v_lshlrev_b64_e32 v[24:25], 2, v[24:25]
	s_wait_alu 0xfffd
	v_add_co_ci_u32_e64 v17, null, s29, v17, vcc_lo
	;; [unrolled: 4-line block ×3, first 2 shown]
	v_add_co_u32 v18, vcc_lo, s28, v18
	s_wait_alu 0xfffd
	v_add_co_ci_u32_e64 v19, null, s29, v19, vcc_lo
	v_add_co_u32 v24, vcc_lo, s28, v24
	s_wait_alu 0xfffd
	v_add_co_ci_u32_e64 v25, null, s29, v25, vcc_lo
	;; [unrolled: 3-line block ×3, first 2 shown]
	s_clause 0x5
	global_load_b32 v20, v[20:21], off
	global_load_b32 v21, v[16:17], off
	;; [unrolled: 1-line block ×6, first 2 shown]
	s_and_not1_b32 vcc_lo, exec_lo, s16
	s_wait_loadcnt 0x1f
	ds_store_b32 v55, v38
	s_wait_loadcnt 0x1e
	ds_store_b32 v55, v39 offset:144
	s_wait_loadcnt 0x1d
	ds_store_b32 v55, v40 offset:288
	;; [unrolled: 2-line block ×15, first 2 shown]
	ds_load_b128 v[32:35], v56
	ds_load_b128 v[28:31], v56 offset:32
	ds_load_b128 v[24:27], v56 offset:64
	;; [unrolled: 1-line block ×3, first 2 shown]
	s_wait_loadcnt 0xf
	ds_store_b32 v55, v64
	s_wait_loadcnt 0xe
	ds_store_b32 v55, v65 offset:144
	s_wait_loadcnt 0xd
	ds_store_b32 v55, v66 offset:288
	s_wait_loadcnt 0xc
	ds_store_b32 v55, v67 offset:432
	s_wait_loadcnt 0xb
	ds_store_b32 v55, v68 offset:576
	s_wait_loadcnt 0xa
	ds_store_b32 v55, v69 offset:720
	s_wait_loadcnt 0x9
	ds_store_b32 v55, v70 offset:864
	s_wait_loadcnt 0x8
	ds_store_b32 v55, v71 offset:1008
	s_wait_loadcnt 0x7
	ds_store_b32 v55, v72 offset:1152
	s_wait_loadcnt 0x6
	ds_store_b32 v55, v73 offset:1296
	s_wait_loadcnt 0x5
	ds_store_b32 v55, v20 offset:1440
	s_wait_loadcnt 0x4
	ds_store_b32 v55, v21 offset:1584
	s_wait_loadcnt 0x3
	ds_store_b32 v55, v22 offset:1728
	s_wait_loadcnt 0x2
	ds_store_b32 v55, v23 offset:1872
	s_wait_loadcnt 0x1
	ds_store_b32 v55, v36 offset:2016
	s_wait_loadcnt 0x0
	ds_store_b32 v55, v37 offset:2160
	ds_load_b128 v[44:47], v56
	ds_load_b128 v[40:43], v56 offset:32
	ds_load_b128 v[36:39], v56 offset:64
	;; [unrolled: 1-line block ×3, first 2 shown]
	v_dual_mov_b32 v59, 0 :: v_dual_mov_b32 v58, 0
	s_wait_alu 0xfffe
	s_cbranch_vccnz .LBB63_9
; %bb.7:                                ;   in Loop: Header=BB63_6 Depth=1
	s_load_b32 s2, s[30:31], 0x0
	v_dual_mov_b32 v58, 0 :: v_dual_mov_b32 v59, 0
	s_wait_kmcnt 0x0
	s_mul_u64 s[70:71], s[2:3], s[34:35]
	s_wait_alu 0xfffe
	s_add_co_i32 s70, s2, s71
	s_wait_alu 0xfffe
	s_lshr_b32 s70, s70, s9
	s_wait_alu 0xfffe
	s_cmp_ge_i32 s70, s5
	s_cbranch_scc1 .LBB63_9
; %bb.8:                                ;   in Loop: Header=BB63_6 Depth=1
	v_mad_co_u64_u32 v[58:59], null, s70, s20, v[48:49]
	s_mul_i32 s70, s70, s10
	s_wait_alu 0xfffe
	s_sub_co_i32 s2, s2, s70
	s_wait_alu 0xfffe
	s_mul_i32 s2, s2, s17
	s_wait_alu 0xfffe
	v_lshl_add_u32 v58, v58, 1, s2
	s_delay_alu instid0(VALU_DEP_1) | instskip(NEXT) | instid1(VALU_DEP_1)
	v_ashrrev_i32_e32 v59, 31, v58
	v_lshlrev_b64_e32 v[58:59], 2, v[58:59]
	s_delay_alu instid0(VALU_DEP_1) | instskip(SKIP_1) | instid1(VALU_DEP_2)
	v_add_co_u32 v58, vcc_lo, s14, v58
	s_wait_alu 0xfffd
	v_add_co_ci_u32_e64 v59, null, s15, v59, vcc_lo
	global_load_b64 v[58:59], v[58:59], off
	s_wait_loadcnt 0x0
	v_bfe_u32 v60, v58, 16, 1
	v_bfe_u32 v61, v59, 16, 1
	v_or_b32_e32 v62, 0x400000, v58
	v_cmp_u_f32_e32 vcc_lo, v58, v58
	v_or_b32_e32 v63, 0x400000, v59
	v_add3_u32 v60, v60, v58, 0x7fff
	v_add3_u32 v61, v61, v59, 0x7fff
	s_wait_alu 0xfffd
	s_delay_alu instid0(VALU_DEP_2) | instskip(SKIP_1) | instid1(VALU_DEP_2)
	v_cndmask_b32_e32 v58, v60, v62, vcc_lo
	v_cmp_u_f32_e32 vcc_lo, v59, v59
	v_lshrrev_b32_e32 v59, 16, v58
	s_wait_alu 0xfffd
	v_cndmask_b32_e32 v60, v61, v63, vcc_lo
	s_delay_alu instid0(VALU_DEP_1)
	v_lshrrev_b32_e32 v58, 16, v60
.LBB63_9:                               ;   in Loop: Header=BB63_6 Depth=1
	v_dual_mov_b32 v60, 0 :: v_dual_mov_b32 v61, 0
	v_mov_b32_e32 v62, 0
	s_and_not1_b32 vcc_lo, exec_lo, s38
	s_wait_alu 0xfffe
	s_cbranch_vccnz .LBB63_12
; %bb.10:                               ;   in Loop: Header=BB63_6 Depth=1
	s_load_b32 s2, s[30:31], 0x4
	v_dual_mov_b32 v61, 0 :: v_dual_mov_b32 v62, 0
	s_wait_kmcnt 0x0
	s_mul_u64 s[70:71], s[2:3], s[34:35]
	s_wait_alu 0xfffe
	s_add_co_i32 s70, s2, s71
	s_wait_alu 0xfffe
	s_lshr_b32 s70, s70, s9
	s_wait_alu 0xfffe
	s_cmp_ge_i32 s70, s5
	s_cbranch_scc1 .LBB63_12
; %bb.11:                               ;   in Loop: Header=BB63_6 Depth=1
	v_mad_co_u64_u32 v[61:62], null, s70, s20, v[48:49]
	s_mul_i32 s70, s70, s10
	s_wait_alu 0xfffe
	s_sub_co_i32 s2, s2, s70
	s_wait_alu 0xfffe
	s_mul_i32 s2, s2, s17
	s_wait_alu 0xfffe
	v_lshl_add_u32 v61, v61, 1, s2
	s_delay_alu instid0(VALU_DEP_1) | instskip(NEXT) | instid1(VALU_DEP_1)
	v_ashrrev_i32_e32 v62, 31, v61
	v_lshlrev_b64_e32 v[61:62], 2, v[61:62]
	s_delay_alu instid0(VALU_DEP_1) | instskip(SKIP_1) | instid1(VALU_DEP_2)
	v_add_co_u32 v61, vcc_lo, s14, v61
	s_wait_alu 0xfffd
	v_add_co_ci_u32_e64 v62, null, s15, v62, vcc_lo
	global_load_b64 v[61:62], v[61:62], off
	s_wait_loadcnt 0x0
	v_bfe_u32 v63, v61, 16, 1
	v_bfe_u32 v64, v62, 16, 1
	v_or_b32_e32 v65, 0x400000, v61
	v_cmp_u_f32_e32 vcc_lo, v61, v61
	v_or_b32_e32 v66, 0x400000, v62
	v_add3_u32 v63, v63, v61, 0x7fff
	v_add3_u32 v64, v64, v62, 0x7fff
	s_wait_alu 0xfffd
	s_delay_alu instid0(VALU_DEP_2) | instskip(SKIP_1) | instid1(VALU_DEP_2)
	v_cndmask_b32_e32 v61, v63, v65, vcc_lo
	v_cmp_u_f32_e32 vcc_lo, v62, v62
	v_lshrrev_b32_e32 v62, 16, v61
	s_wait_alu 0xfffd
	v_cndmask_b32_e32 v63, v64, v66, vcc_lo
	s_delay_alu instid0(VALU_DEP_1)
	v_lshrrev_b32_e32 v61, 16, v63
.LBB63_12:                              ;   in Loop: Header=BB63_6 Depth=1
	v_mov_b32_e32 v63, 0
	s_and_not1_b32 vcc_lo, exec_lo, s39
	s_wait_alu 0xfffe
	s_cbranch_vccnz .LBB63_15
; %bb.13:                               ;   in Loop: Header=BB63_6 Depth=1
	s_load_b32 s2, s[30:31], 0x8
	v_dual_mov_b32 v63, 0 :: v_dual_mov_b32 v60, 0
	s_wait_kmcnt 0x0
	s_mul_u64 s[70:71], s[2:3], s[34:35]
	s_wait_alu 0xfffe
	s_add_co_i32 s70, s2, s71
	s_wait_alu 0xfffe
	s_lshr_b32 s70, s70, s9
	s_wait_alu 0xfffe
	s_cmp_ge_i32 s70, s5
	s_cbranch_scc1 .LBB63_15
; %bb.14:                               ;   in Loop: Header=BB63_6 Depth=1
	v_mad_co_u64_u32 v[63:64], null, s70, s20, v[48:49]
	s_mul_i32 s70, s70, s10
	s_wait_alu 0xfffe
	s_sub_co_i32 s2, s2, s70
	s_wait_alu 0xfffe
	s_mul_i32 s2, s2, s17
	s_wait_alu 0xfffe
	v_lshl_add_u32 v63, v63, 1, s2
	s_delay_alu instid0(VALU_DEP_1) | instskip(NEXT) | instid1(VALU_DEP_1)
	v_ashrrev_i32_e32 v64, 31, v63
	v_lshlrev_b64_e32 v[63:64], 2, v[63:64]
	s_delay_alu instid0(VALU_DEP_1) | instskip(SKIP_1) | instid1(VALU_DEP_2)
	v_add_co_u32 v63, vcc_lo, s14, v63
	s_wait_alu 0xfffd
	v_add_co_ci_u32_e64 v64, null, s15, v64, vcc_lo
	global_load_b64 v[63:64], v[63:64], off
	s_wait_loadcnt 0x0
	v_bfe_u32 v60, v63, 16, 1
	v_bfe_u32 v65, v64, 16, 1
	v_or_b32_e32 v66, 0x400000, v63
	v_cmp_u_f32_e32 vcc_lo, v63, v63
	v_or_b32_e32 v67, 0x400000, v64
	v_add3_u32 v60, v60, v63, 0x7fff
	v_add3_u32 v65, v65, v64, 0x7fff
	s_wait_alu 0xfffd
	s_delay_alu instid0(VALU_DEP_2) | instskip(SKIP_3) | instid1(VALU_DEP_3)
	v_cndmask_b32_e32 v60, v60, v66, vcc_lo
	v_cmp_u_f32_e32 vcc_lo, v64, v64
	s_wait_alu 0xfffd
	v_cndmask_b32_e32 v63, v65, v67, vcc_lo
	v_lshrrev_b32_e32 v60, 16, v60
	s_delay_alu instid0(VALU_DEP_2)
	v_lshrrev_b32_e32 v63, 16, v63
.LBB63_15:                              ;   in Loop: Header=BB63_6 Depth=1
	v_dual_mov_b32 v64, 0 :: v_dual_mov_b32 v65, 0
	s_and_not1_b32 vcc_lo, exec_lo, s8
	s_wait_alu 0xfffe
	s_cbranch_vccnz .LBB63_5
; %bb.16:                               ;   in Loop: Header=BB63_6 Depth=1
	s_load_b32 s2, s[30:31], 0xc
	v_dual_mov_b32 v65, 0 :: v_dual_mov_b32 v64, 0
	s_wait_kmcnt 0x0
	s_mul_u64 s[70:71], s[2:3], s[34:35]
	s_wait_alu 0xfffe
	s_add_co_i32 s70, s2, s71
	s_wait_alu 0xfffe
	s_lshr_b32 s70, s70, s9
	s_wait_alu 0xfffe
	s_cmp_ge_i32 s70, s5
	s_cbranch_scc1 .LBB63_5
; %bb.17:                               ;   in Loop: Header=BB63_6 Depth=1
	v_mad_co_u64_u32 v[64:65], null, s70, s20, v[48:49]
	s_mul_i32 s70, s70, s10
	s_wait_alu 0xfffe
	s_sub_co_i32 s2, s2, s70
	s_wait_alu 0xfffe
	s_mul_i32 s2, s2, s17
	s_wait_alu 0xfffe
	v_lshl_add_u32 v64, v64, 1, s2
	s_delay_alu instid0(VALU_DEP_1) | instskip(NEXT) | instid1(VALU_DEP_1)
	v_ashrrev_i32_e32 v65, 31, v64
	v_lshlrev_b64_e32 v[64:65], 2, v[64:65]
	s_delay_alu instid0(VALU_DEP_1) | instskip(SKIP_1) | instid1(VALU_DEP_2)
	v_add_co_u32 v64, vcc_lo, s14, v64
	s_wait_alu 0xfffd
	v_add_co_ci_u32_e64 v65, null, s15, v65, vcc_lo
	global_load_b64 v[64:65], v[64:65], off
	s_wait_loadcnt 0x0
	v_bfe_u32 v66, v64, 16, 1
	v_bfe_u32 v67, v65, 16, 1
	v_or_b32_e32 v68, 0x400000, v64
	v_cmp_u_f32_e32 vcc_lo, v64, v64
	v_or_b32_e32 v69, 0x400000, v65
	v_add3_u32 v66, v66, v64, 0x7fff
	v_add3_u32 v67, v67, v65, 0x7fff
	s_wait_alu 0xfffd
	s_delay_alu instid0(VALU_DEP_2) | instskip(SKIP_3) | instid1(VALU_DEP_3)
	v_cndmask_b32_e32 v64, v66, v68, vcc_lo
	v_cmp_u_f32_e32 vcc_lo, v65, v65
	s_wait_alu 0xfffd
	v_cndmask_b32_e32 v65, v67, v69, vcc_lo
	v_lshrrev_b32_e32 v64, 16, v64
	s_delay_alu instid0(VALU_DEP_2)
	v_lshrrev_b32_e32 v65, 16, v65
	s_branch .LBB63_5
.LBB63_18:
	s_or_b32 exec_lo, exec_lo, s69
.LBB63_19:
	s_delay_alu instid0(SALU_CYCLE_1)
	s_or_b32 exec_lo, exec_lo, s37
	s_load_b64 s[0:1], s[0:1], 0x18
	v_lshlrev_b32_e32 v16, 1, v51
	v_lshl_add_u32 v17, v53, 2, 0
	v_mul_u32_u24_e32 v18, 0x290, v54
	s_barrier_signal -1
	s_delay_alu instid0(VALU_DEP_3)
	v_and_b32_e32 v16, 0x7e0, v16
	s_barrier_wait -1
	global_inv scope:SCOPE_SE
	s_mov_b32 s2, exec_lo
	v_add3_u32 v16, v17, v18, v16
	ds_store_2addr_b32 v16, v8, v9 offset1:1
	ds_store_2addr_b32 v16, v10, v11 offset0:2 offset1:3
	ds_store_2addr_b32 v16, v12, v13 offset0:4 offset1:5
	ds_store_2addr_b32 v16, v14, v15 offset0:6 offset1:7
	ds_store_2addr_b32 v16, v0, v1 offset0:16 offset1:17
	ds_store_2addr_b32 v16, v2, v3 offset0:18 offset1:19
	ds_store_2addr_b32 v16, v4, v5 offset0:20 offset1:21
	ds_store_2addr_b32 v16, v6, v7 offset0:22 offset1:23
	s_wait_loadcnt_dscnt 0x0
	s_barrier_signal -1
	s_barrier_wait -1
	global_inv scope:SCOPE_SE
	v_cmpx_gt_u32_e32 4, v52
	s_cbranch_execz .LBB63_23
; %bb.20:
	v_or_b32_e32 v0, s36, v52
	s_cmp_gt_i32 s6, 0
	s_cselect_b32 s2, -1, 0
	s_delay_alu instid0(VALU_DEP_1)
	v_cmp_gt_i32_e32 vcc_lo, s19, v0
	s_wait_alu 0xfffe
	s_and_b32 s2, s2, vcc_lo
	s_wait_alu 0xfffe
	s_and_b32 exec_lo, exec_lo, s2
	s_cbranch_execz .LBB63_23
; %bb.21:
	v_lshlrev_b32_e32 v0, 2, v0
	s_lshl_b64 s[2:3], s[24:25], 2
	s_wait_kmcnt 0x0
	s_wait_alu 0xfffe
	s_add_nc_u64 s[0:1], s[0:1], s[2:3]
	global_load_b32 v1, v0, s[0:1]
	s_wait_loadcnt 0x0
	v_mul_hi_u32 v0, v1, s11
	s_delay_alu instid0(VALU_DEP_1) | instskip(NEXT) | instid1(VALU_DEP_1)
	v_add_nc_u32_e32 v0, v1, v0
	v_lshrrev_b32_e32 v0, s22, v0
	s_delay_alu instid0(VALU_DEP_1)
	v_cmp_gt_i32_e32 vcc_lo, s5, v0
	s_and_b32 exec_lo, exec_lo, vcc_lo
	s_cbranch_execz .LBB63_23
; %bb.22:
	v_mul_lo_u32 v7, v0, s23
	v_lshlrev_b32_e32 v2, 2, v51
	v_mul_u32_u24_e32 v3, 0x290, v52
	v_mul_lo_u32 v0, v0, s21
	s_delay_alu instid0(VALU_DEP_4) | instskip(NEXT) | instid1(VALU_DEP_1)
	v_sub_nc_u32_e32 v1, v1, v7
	v_mul_lo_u32 v7, v1, s18
	v_mov_b32_e32 v1, 0
	v_add3_u32 v6, 0, v2, v3
	ds_load_2addr_b32 v[2:3], v6 offset1:32
	ds_load_2addr_b32 v[4:5], v6 offset0:64 offset1:96
	ds_load_b32 v6, v6 offset:512
	s_wait_dscnt 0x2
	v_add_f32_e32 v2, 0, v2
	s_delay_alu instid0(VALU_DEP_1) | instskip(SKIP_1) | instid1(VALU_DEP_1)
	v_add_f32_e32 v2, v2, v3
	s_wait_dscnt 0x1
	v_dual_add_f32 v2, v2, v4 :: v_dual_add_nc_u32 v3, s33, v51
	s_delay_alu instid0(VALU_DEP_1) | instskip(NEXT) | instid1(VALU_DEP_2)
	v_add3_u32 v0, v3, v0, v7
	v_add_f32_e32 v2, v2, v5
	s_delay_alu instid0(VALU_DEP_2) | instskip(SKIP_1) | instid1(VALU_DEP_2)
	v_lshlrev_b64_e32 v[0:1], 2, v[0:1]
	s_wait_dscnt 0x0
	v_add_f32_e32 v2, v2, v6
	s_delay_alu instid0(VALU_DEP_2) | instskip(SKIP_1) | instid1(VALU_DEP_3)
	v_add_co_u32 v0, vcc_lo, s26, v0
	s_wait_alu 0xfffd
	v_add_co_ci_u32_e64 v1, null, s27, v1, vcc_lo
	global_store_b32 v[0:1], v2, off
.LBB63_23:
	s_endpgm
	.section	.rodata,"a",@progbits
	.p2align	6, 0x0
	.amdhsa_kernel _ZL13mul_mat_f_idsI15__hip_bfloat162Li32ELi4ELi5EEvPKT_PKfPKiS7_S7_Pfiiiiiiiiiiiiii15HIP_vector_typeIjLj3EESA_
		.amdhsa_group_segment_fixed_size 0
		.amdhsa_private_segment_fixed_size 0
		.amdhsa_kernarg_size 128
		.amdhsa_user_sgpr_count 2
		.amdhsa_user_sgpr_dispatch_ptr 0
		.amdhsa_user_sgpr_queue_ptr 0
		.amdhsa_user_sgpr_kernarg_segment_ptr 1
		.amdhsa_user_sgpr_dispatch_id 0
		.amdhsa_user_sgpr_private_segment_size 0
		.amdhsa_wavefront_size32 1
		.amdhsa_uses_dynamic_stack 0
		.amdhsa_enable_private_segment 0
		.amdhsa_system_sgpr_workgroup_id_x 1
		.amdhsa_system_sgpr_workgroup_id_y 1
		.amdhsa_system_sgpr_workgroup_id_z 1
		.amdhsa_system_sgpr_workgroup_info 0
		.amdhsa_system_vgpr_workitem_id 1
		.amdhsa_next_free_vgpr 74
		.amdhsa_next_free_sgpr 74
		.amdhsa_reserve_vcc 1
		.amdhsa_float_round_mode_32 0
		.amdhsa_float_round_mode_16_64 0
		.amdhsa_float_denorm_mode_32 3
		.amdhsa_float_denorm_mode_16_64 3
		.amdhsa_fp16_overflow 0
		.amdhsa_workgroup_processor_mode 1
		.amdhsa_memory_ordered 1
		.amdhsa_forward_progress 1
		.amdhsa_inst_pref_size 35
		.amdhsa_round_robin_scheduling 0
		.amdhsa_exception_fp_ieee_invalid_op 0
		.amdhsa_exception_fp_denorm_src 0
		.amdhsa_exception_fp_ieee_div_zero 0
		.amdhsa_exception_fp_ieee_overflow 0
		.amdhsa_exception_fp_ieee_underflow 0
		.amdhsa_exception_fp_ieee_inexact 0
		.amdhsa_exception_int_div_zero 0
	.end_amdhsa_kernel
	.section	.text._ZL13mul_mat_f_idsI15__hip_bfloat162Li32ELi4ELi5EEvPKT_PKfPKiS7_S7_Pfiiiiiiiiiiiiii15HIP_vector_typeIjLj3EESA_,"axG",@progbits,_ZL13mul_mat_f_idsI15__hip_bfloat162Li32ELi4ELi5EEvPKT_PKfPKiS7_S7_Pfiiiiiiiiiiiiii15HIP_vector_typeIjLj3EESA_,comdat
.Lfunc_end63:
	.size	_ZL13mul_mat_f_idsI15__hip_bfloat162Li32ELi4ELi5EEvPKT_PKfPKiS7_S7_Pfiiiiiiiiiiiiii15HIP_vector_typeIjLj3EESA_, .Lfunc_end63-_ZL13mul_mat_f_idsI15__hip_bfloat162Li32ELi4ELi5EEvPKT_PKfPKiS7_S7_Pfiiiiiiiiiiiiii15HIP_vector_typeIjLj3EESA_
                                        ; -- End function
	.set _ZL13mul_mat_f_idsI15__hip_bfloat162Li32ELi4ELi5EEvPKT_PKfPKiS7_S7_Pfiiiiiiiiiiiiii15HIP_vector_typeIjLj3EESA_.num_vgpr, 74
	.set _ZL13mul_mat_f_idsI15__hip_bfloat162Li32ELi4ELi5EEvPKT_PKfPKiS7_S7_Pfiiiiiiiiiiiiii15HIP_vector_typeIjLj3EESA_.num_agpr, 0
	.set _ZL13mul_mat_f_idsI15__hip_bfloat162Li32ELi4ELi5EEvPKT_PKfPKiS7_S7_Pfiiiiiiiiiiiiii15HIP_vector_typeIjLj3EESA_.numbered_sgpr, 74
	.set _ZL13mul_mat_f_idsI15__hip_bfloat162Li32ELi4ELi5EEvPKT_PKfPKiS7_S7_Pfiiiiiiiiiiiiii15HIP_vector_typeIjLj3EESA_.num_named_barrier, 0
	.set _ZL13mul_mat_f_idsI15__hip_bfloat162Li32ELi4ELi5EEvPKT_PKfPKiS7_S7_Pfiiiiiiiiiiiiii15HIP_vector_typeIjLj3EESA_.private_seg_size, 0
	.set _ZL13mul_mat_f_idsI15__hip_bfloat162Li32ELi4ELi5EEvPKT_PKfPKiS7_S7_Pfiiiiiiiiiiiiii15HIP_vector_typeIjLj3EESA_.uses_vcc, 1
	.set _ZL13mul_mat_f_idsI15__hip_bfloat162Li32ELi4ELi5EEvPKT_PKfPKiS7_S7_Pfiiiiiiiiiiiiii15HIP_vector_typeIjLj3EESA_.uses_flat_scratch, 0
	.set _ZL13mul_mat_f_idsI15__hip_bfloat162Li32ELi4ELi5EEvPKT_PKfPKiS7_S7_Pfiiiiiiiiiiiiii15HIP_vector_typeIjLj3EESA_.has_dyn_sized_stack, 0
	.set _ZL13mul_mat_f_idsI15__hip_bfloat162Li32ELi4ELi5EEvPKT_PKfPKiS7_S7_Pfiiiiiiiiiiiiii15HIP_vector_typeIjLj3EESA_.has_recursion, 0
	.set _ZL13mul_mat_f_idsI15__hip_bfloat162Li32ELi4ELi5EEvPKT_PKfPKiS7_S7_Pfiiiiiiiiiiiiii15HIP_vector_typeIjLj3EESA_.has_indirect_call, 0
	.section	.AMDGPU.csdata,"",@progbits
; Kernel info:
; codeLenInByte = 4400
; TotalNumSgprs: 76
; NumVgprs: 74
; ScratchSize: 0
; MemoryBound: 0
; FloatMode: 240
; IeeeMode: 1
; LDSByteSize: 0 bytes/workgroup (compile time only)
; SGPRBlocks: 0
; VGPRBlocks: 9
; NumSGPRsForWavesPerEU: 76
; NumVGPRsForWavesPerEU: 74
; Occupancy: 16
; WaveLimiterHint : 1
; COMPUTE_PGM_RSRC2:SCRATCH_EN: 0
; COMPUTE_PGM_RSRC2:USER_SGPR: 2
; COMPUTE_PGM_RSRC2:TRAP_HANDLER: 0
; COMPUTE_PGM_RSRC2:TGID_X_EN: 1
; COMPUTE_PGM_RSRC2:TGID_Y_EN: 1
; COMPUTE_PGM_RSRC2:TGID_Z_EN: 1
; COMPUTE_PGM_RSRC2:TIDIG_COMP_CNT: 1
	.section	.text._ZL9mul_mat_fI15__hip_bfloat162Li32ELi4ELi5ELb1EEvPKT_PKfPKiPfiiiiiiiiiiiiiiii,"axG",@progbits,_ZL9mul_mat_fI15__hip_bfloat162Li32ELi4ELi5ELb1EEvPKT_PKfPKiPfiiiiiiiiiiiiiiii,comdat
	.globl	_ZL9mul_mat_fI15__hip_bfloat162Li32ELi4ELi5ELb1EEvPKT_PKfPKiPfiiiiiiiiiiiiiiii ; -- Begin function _ZL9mul_mat_fI15__hip_bfloat162Li32ELi4ELi5ELb1EEvPKT_PKfPKiPfiiiiiiiiiiiiiiii
	.p2align	8
	.type	_ZL9mul_mat_fI15__hip_bfloat162Li32ELi4ELi5ELb1EEvPKT_PKfPKiPfiiiiiiiiiiiiiiii,@function
_ZL9mul_mat_fI15__hip_bfloat162Li32ELi4ELi5ELb1EEvPKT_PKfPKiPfiiiiiiiiiiiiiiii: ; @_ZL9mul_mat_fI15__hip_bfloat162Li32ELi4ELi5ELb1EEvPKT_PKfPKiPfiiiiiiiiiiiiiiii
; %bb.0:
	s_load_b256 s[4:11], s[0:1], 0x20
	s_mov_b32 s29, 0
	v_bfe_u32 v55, v0, 10, 10
	v_and_b32_e32 v48, 0x3ff, v0
	s_wait_kmcnt 0x0
	s_add_co_i32 s2, s5, 3
	s_delay_alu instid0(SALU_CYCLE_1) | instskip(NEXT) | instid1(SALU_CYCLE_1)
	s_ashr_i32 s3, s2, 31
	s_lshr_b32 s3, s3, 30
	s_delay_alu instid0(SALU_CYCLE_1) | instskip(NEXT) | instid1(SALU_CYCLE_1)
	s_add_co_i32 s2, s2, s3
	s_ashr_i32 s2, s2, 2
	s_delay_alu instid0(SALU_CYCLE_1) | instskip(SKIP_1) | instid1(SALU_CYCLE_2)
	s_cvt_f32_u32 s3, s2
	s_sub_co_i32 s13, 0, s2
	v_rcp_iflag_f32_e32 v1, s3
	s_load_b32 s3, s[0:1], 0x64
	s_delay_alu instid0(TRANS32_DEP_1) | instskip(SKIP_1) | instid1(SALU_CYCLE_3)
	v_readfirstlane_b32 s12, v1
	s_mul_f32 s12, s12, 0x4f7ffffe
	s_cvt_u32_f32 s12, s12
	s_delay_alu instid0(SALU_CYCLE_3) | instskip(NEXT) | instid1(SALU_CYCLE_1)
	s_mul_i32 s13, s13, s12
	s_mul_hi_u32 s13, s12, s13
	s_delay_alu instid0(SALU_CYCLE_1) | instskip(SKIP_4) | instid1(SALU_CYCLE_1)
	s_add_co_i32 s12, s12, s13
	s_wait_kmcnt 0x0
	s_mul_hi_u32 s16, s3, s12
	s_load_b128 s[12:15], s[0:1], 0x44
	s_mul_i32 s17, s16, s2
	s_sub_co_i32 s3, s3, s17
	s_add_co_i32 s17, s16, 1
	s_wait_alu 0xfffe
	s_sub_co_i32 s18, s3, s2
	s_cmp_ge_u32 s3, s2
	s_cselect_b32 s16, s17, s16
	s_cselect_b32 s3, s18, s3
	s_add_co_i32 s17, s16, 1
	s_wait_alu 0xfffe
	s_cmp_ge_u32 s3, s2
	s_mov_b32 s3, s29
	s_cselect_b32 s18, s17, s16
	s_lshr_b32 s24, ttmp7, 16
	s_cvt_f32_u32 s2, s18
	s_wait_alu 0xfffe
	s_delay_alu instid0(SALU_CYCLE_2) | instskip(SKIP_2) | instid1(SALU_CYCLE_1)
	v_rcp_iflag_f32_e32 v1, s2
	s_wait_kmcnt 0x0
	s_abs_i32 s33, s15
	s_cvt_f32_u32 s2, s33
	s_wait_alu 0xfffe
	s_delay_alu instid0(SALU_CYCLE_2) | instskip(NEXT) | instid1(TRANS32_DEP_2)
	v_rcp_iflag_f32_e32 v2, s2
	v_readfirstlane_b32 s2, v1
	s_mul_f32 s2, s2, 0x4f7ffffe
	s_delay_alu instid0(TRANS32_DEP_1) | instskip(SKIP_1) | instid1(SALU_CYCLE_1)
	v_readfirstlane_b32 s16, v2
	s_wait_alu 0xfffe
	s_cvt_u32_f32 s17, s2
	s_sub_co_i32 s2, 0, s18
	s_mul_f32 s16, s16, 0x4f7ffffe
	s_wait_alu 0xfffe
	s_mul_i32 s19, s2, s17
	s_and_b32 s2, ttmp7, 0xffff
	s_mul_hi_u32 s20, s17, s19
	s_cvt_u32_f32 s19, s16
	s_add_co_i32 s28, s17, s20
	s_sub_co_i32 s20, 0, s33
	s_wait_alu 0xfffe
	s_mul_u64 s[16:17], s[2:3], s[28:29]
	s_mul_i32 s20, s20, s19
	s_mov_b32 s16, exec_lo
	s_mul_hi_u32 s3, s19, s20
	v_cmpx_eq_u32_e32 0, v48
; %bb.1:
	v_lshl_add_u32 v1, v55, 2, 0x100
	v_mov_b32_e32 v2, -1
	ds_store_b32 v1, v2
; %bb.2:
	s_or_b32 exec_lo, exec_lo, s16
	s_mul_i32 s16, s17, s18
	s_load_b96 s[20:22], s[0:1], 0x54
	s_add_co_i32 s30, s19, s3
	s_sub_co_i32 s3, s2, s16
	s_abs_i32 s28, s24
	s_add_co_i32 s16, s17, 1
	s_wait_alu 0xfffe
	s_sub_co_i32 s19, s3, s18
	s_cmp_ge_u32 s3, s18
	v_mov_b32_e32 v3, 0
	s_cselect_b32 s16, s16, s17
	s_cselect_b32 s3, s19, s3
	s_add_co_i32 s17, s16, 1
	s_wait_alu 0xfffe
	s_cmp_ge_u32 s3, s18
	s_cselect_b32 s3, s17, s16
	s_add_nc_u64 s[16:17], s[0:1], 0x60
	s_wait_alu 0xfffe
	s_lshl_b32 s26, s3, 2
	s_mul_i32 s3, s3, s18
	v_add_nc_u32_e32 v1, s26, v55
	s_wait_alu 0xfffe
	s_sub_co_i32 s34, s2, s3
	s_ashr_i32 s27, s26, 31
	s_mov_b32 s3, exec_lo
	v_cmpx_gt_i32_e64 s5, v1
	s_cbranch_execz .LBB64_10
; %bb.3:
	v_mov_b32_e32 v3, 0
	s_mov_b32 s18, exec_lo
	v_cmpx_gt_i32_e64 s6, v48
	s_cbranch_execz .LBB64_9
; %bb.4:
	s_load_b64 s[36:37], s[0:1], 0x10
	v_mul_lo_u32 v1, v55, s11
	s_ashr_i32 s39, s11, 31
	s_mov_b32 s38, s11
	v_lshl_add_u32 v4, v55, 2, 0x100
	s_mul_u64 s[38:39], s[26:27], s[38:39]
	v_mov_b32_e32 v3, 0
	s_lshl_b64 s[38:39], s[38:39], 2
	v_mov_b32_e32 v7, v48
	v_ashrrev_i32_e32 v2, 31, v1
	s_lshl_b32 s11, s10, 5
	s_delay_alu instid0(VALU_DEP_1)
	v_lshlrev_b64_e32 v[5:6], 2, v[1:2]
	v_mul_lo_u32 v1, v48, s10
	s_mov_b32 s10, 0
	s_wait_kmcnt 0x0
	s_add_nc_u64 s[36:37], s[36:37], s[38:39]
	s_delay_alu instid0(VALU_DEP_2) | instid1(SALU_CYCLE_1)
	v_add_co_u32 v5, vcc_lo, s36, v5
	s_delay_alu instid0(VALU_DEP_1)
	v_add_co_ci_u32_e64 v6, null, s37, v6, vcc_lo
	s_branch .LBB64_6
.LBB64_5:                               ;   in Loop: Header=BB64_6 Depth=1
	s_or_b32 exec_lo, exec_lo, s19
	v_add_nc_u32_e32 v7, 32, v7
	s_xor_b32 s19, vcc_lo, -1
	s_wait_alu 0xfffe
	v_add_nc_u32_e32 v1, s11, v1
	s_delay_alu instid0(VALU_DEP_2)
	v_cmp_le_i32_e64 s2, s6, v7
	s_or_b32 s2, s19, s2
	s_wait_alu 0xfffe
	s_and_b32 s2, exec_lo, s2
	s_wait_alu 0xfffe
	s_or_b32 s10, s2, s10
	s_wait_alu 0xfffe
	s_and_not1_b32 exec_lo, exec_lo, s10
	s_cbranch_execz .LBB64_8
.LBB64_6:                               ; =>This Inner Loop Header: Depth=1
	s_delay_alu instid0(VALU_DEP_3) | instskip(SKIP_1) | instid1(VALU_DEP_1)
	v_ashrrev_i32_e32 v2, 31, v1
	s_mov_b32 s19, exec_lo
	v_lshlrev_b64_e32 v[8:9], 2, v[1:2]
	s_delay_alu instid0(VALU_DEP_1) | instskip(SKIP_1) | instid1(VALU_DEP_2)
	v_add_co_u32 v8, vcc_lo, v5, v8
	s_wait_alu 0xfffd
	v_add_co_ci_u32_e64 v9, null, v6, v9, vcc_lo
	global_load_b32 v2, v[8:9], off
	s_wait_loadcnt 0x0
	v_cmp_ne_u32_e32 vcc_lo, s34, v2
	v_cmpx_eq_u32_e64 s34, v2
	s_cbranch_execz .LBB64_5
; %bb.7:                                ;   in Loop: Header=BB64_6 Depth=1
	v_mov_b32_e32 v3, 1
	ds_store_b32 v4, v7
	s_branch .LBB64_5
.LBB64_8:
	s_or_b32 exec_lo, exec_lo, s10
.LBB64_9:
	s_delay_alu instid0(SALU_CYCLE_1)
	s_or_b32 exec_lo, exec_lo, s18
.LBB64_10:
	s_wait_alu 0xfffe
	s_or_b32 exec_lo, exec_lo, s3
	v_or_b32_dpp v1, v3, v3 row_shl:1 row_mask:0xf bank_mask:0xf bound_ctrl:1
	s_load_b64 s[10:11], s[16:17], 0xc
	s_mov_b32 s31, s29
	s_delay_alu instid0(VALU_DEP_1) | instskip(NEXT) | instid1(VALU_DEP_1)
	v_or_b32_dpp v1, v1, v1 row_shl:2 row_mask:0xf bank_mask:0xf bound_ctrl:1
	v_or_b32_dpp v1, v1, v1 row_shl:4 row_mask:0xf bank_mask:0xf bound_ctrl:1
	s_delay_alu instid0(VALU_DEP_1) | instskip(NEXT) | instid1(VALU_DEP_1)
	v_or_b32_dpp v1, v1, v1 row_shl:8 row_mask:0xf bank_mask:0xf bound_ctrl:1
	v_mov_b32_dpp v1, v1 row_share:0 row_mask:0xf bank_mask:0xf bound_ctrl:1
	s_wait_kmcnt 0x0
	s_lshr_b32 s3, s10, 16
	s_and_b32 s2, s10, 0xffff
	s_and_b32 s10, s11, 0xffff
	s_wait_alu 0xfffe
	s_mul_i32 s6, s3, s2
	v_permlanex16_b32 v2, v1, 0, 0 op_sel:[0,1]
	s_wait_alu 0xfffe
	s_bfe_i32 s6, s6, 0x180000
	s_wait_alu 0xfffe
	s_mul_i32 s6, s6, s10
	s_wait_alu 0xfffe
	s_add_co_i32 s6, s6, 31
	v_or_b32_e32 v2, v2, v1
	s_wait_alu 0xfffe
	s_and_not1_b32 s6, s6, 31
	s_wait_alu 0xfffe
	s_cmp_lg_u32 s6, 32
	s_cbranch_scc0 .LBB64_19
; %bb.11:
	v_bfe_u32 v0, v0, 20, 10
	s_delay_alu instid0(VALU_DEP_1) | instskip(NEXT) | instid1(VALU_DEP_1)
	v_mad_u32_u24 v0, v0, s3, v55
	v_mad_co_u64_u32 v[0:1], null, v0, s2, v[48:49]
	v_mbcnt_lo_u32_b32 v1, -1, 0
	s_mov_b32 s2, exec_lo
	s_delay_alu instid0(VALU_DEP_2) | instskip(NEXT) | instid1(VALU_DEP_1)
	v_lshrrev_b32_e32 v3, 5, v0
	v_or_b32_e32 v3, v1, v3
	s_delay_alu instid0(VALU_DEP_1)
	v_cmpx_eq_u32_e32 0, v3
; %bb.12:
	v_mov_b32_e32 v3, 0
	ds_store_b32 v3, v2
; %bb.13:
	s_wait_alu 0xfffe
	s_or_b32 exec_lo, exec_lo, s2
	v_cmp_eq_u32_e32 vcc_lo, 0, v1
	v_cmp_lt_u32_e64 s2, 31, v0
	s_mov_b32 s3, 0
	s_wait_dscnt 0x0
	s_barrier_signal -1
	s_barrier_wait -1
	s_and_b32 s6, s2, vcc_lo
	global_inv scope:SCOPE_SE
	s_wait_alu 0xfffe
	s_and_saveexec_b32 s2, s6
	s_cbranch_execz .LBB64_18
; %bb.14:
	s_mov_b32 s6, exec_lo
.LBB64_15:                              ; =>This Inner Loop Header: Depth=1
	s_wait_alu 0xfffe
	s_ctz_i32_b32 s10, s6
	s_wait_alu 0xfffe
	v_readlane_b32 s11, v2, s10
	s_lshl_b32 s10, 1, s10
	s_wait_alu 0xfffe
	s_and_not1_b32 s6, s6, s10
	s_or_b32 s3, s3, s11
	s_wait_alu 0xfffe
	s_cmp_lg_u32 s6, 0
	s_cbranch_scc1 .LBB64_15
; %bb.16:
	v_mbcnt_lo_u32_b32 v0, exec_lo, 0
	s_mov_b32 s6, exec_lo
	s_delay_alu instid0(VALU_DEP_1)
	v_cmpx_eq_u32_e32 0, v0
	s_wait_alu 0xfffe
	s_xor_b32 s6, exec_lo, s6
; %bb.17:
	v_dual_mov_b32 v0, 0 :: v_dual_mov_b32 v1, s3
	ds_or_b32 v0, v1
.LBB64_18:
	s_wait_alu 0xfffe
	s_or_b32 exec_lo, exec_lo, s2
	v_mov_b32_e32 v0, 0
	s_wait_loadcnt_dscnt 0x0
	s_barrier_signal -1
	s_barrier_wait -1
	global_inv scope:SCOPE_SE
	ds_load_b32 v2, v0
	s_wait_loadcnt_dscnt 0x0
	s_barrier_signal -1
	s_barrier_wait -1
	global_inv scope:SCOPE_SE
.LBB64_19:
	s_clause 0x1
	s_load_b128 s[16:19], s[0:1], 0x0
	s_load_b64 s[2:3], s[0:1], 0x18
	s_mul_u64 s[0:1], s[28:29], s[30:31]
	s_ashr_i32 s0, s15, 31
	s_mov_b32 s25, 0
	s_mov_b32 s6, exec_lo
	v_cmpx_ne_u32_e32 0, v2
	s_cbranch_execz .LBB64_45
; %bb.20:
	v_lshlrev_b32_e32 v56, 5, v55
	v_and_b32_e32 v57, 15, v48
	s_mov_b32 s6, exec_lo
	s_delay_alu instid0(VALU_DEP_2) | instskip(NEXT) | instid1(VALU_DEP_1)
	v_add_nc_u32_e32 v59, v56, v48
	v_cmpx_le_i32_e64 s4, v59
	s_wait_alu 0xfffe
	s_xor_b32 s6, exec_lo, s6
; %bb.21:
	v_and_b32_e32 v57, 15, v48
                                        ; implicit-def: $vgpr59
; %bb.22:
	s_wait_alu 0xfffe
	s_or_saveexec_b32 s23, s6
	v_dual_mov_b32 v15, 0 :: v_dual_lshlrev_b32 v58, 1, v48
	s_lshl_b32 s15, ttmp9, 5
	s_delay_alu instid0(VALU_DEP_1)
	v_dual_mov_b32 v14, v15 :: v_dual_mov_b32 v13, v15
	v_dual_mov_b32 v12, v15 :: v_dual_mov_b32 v11, v15
	;; [unrolled: 1-line block ×7, first 2 shown]
	v_mov_b32_e32 v0, v15
	s_xor_b32 exec_lo, exec_lo, s23
	s_cbranch_execz .LBB64_42
; %bb.23:
	s_mul_i32 s6, s1, s33
	s_add_co_i32 s11, s1, 1
	s_wait_alu 0xfffe
	s_sub_co_i32 s6, s28, s6
	s_mov_b32 s10, s20
	s_wait_alu 0xfffe
	s_sub_co_i32 s29, s6, s33
	s_cmp_ge_u32 s6, s33
	s_mul_i32 s28, s34, s12
	s_cselect_b32 s1, s11, s1
	s_cselect_b32 s6, s29, s6
	s_add_co_i32 s11, s1, 1
	s_wait_alu 0xfffe
	s_cmp_ge_u32 s6, s33
	s_mul_i32 s30, s7, s15
	s_cselect_b32 s1, s11, s1
	s_ashr_i32 s11, s20, 31
	s_xor_b32 s1, s1, s0
	s_ashr_i32 s29, s28, 31
	s_sub_co_i32 s0, s1, s0
	s_mov_b32 s34, s21
	s_ashr_i32 s1, s0, 31
	s_mov_b32 s36, s8
	s_wait_alu 0xfffe
	s_mul_u64 s[0:1], s[0:1], s[10:11]
	s_ashr_i32 s31, s30, 31
	s_lshl_b64 s[62:63], s[0:1], 2
	s_ashr_i32 s35, s21, 31
	s_ashr_i32 s37, s8, 31
	s_lshl_b64 s[60:61], s[28:29], 2
	s_wait_kmcnt 0x0
	s_add_nc_u64 s[0:1], s[16:17], s[62:63]
	s_lshl_b64 s[64:65], s[30:31], 2
	s_wait_alu 0xfffe
	s_mul_u64 s[20:21], s[36:37], s[26:27]
	s_add_nc_u64 s[0:1], s[0:1], s[60:61]
	s_mul_u64 s[28:29], s[34:35], s[24:25]
	s_add_nc_u64 s[10:11], s[0:1], s[64:65]
	s_lshl_b64 s[20:21], s[20:21], 3
	s_lshl_b64 s[0:1], s[28:29], 2
	s_movk_i32 s6, 0x900
	s_cmp_lt_i32 s26, s5
	s_wait_alu 0xfffe
	v_mad_u32_u24 v0, v55, s6, 0x100
	s_add_nc_u64 s[18:19], s[18:19], s[0:1]
	s_cselect_b32 s1, -1, 0
	s_or_b32 s0, s26, 1
	v_mul_u32_u24_e32 v1, 0x90, v57
	v_mov_b32_e32 v62, 0
	v_and_b32_e32 v2, 0x3f0, v48
	s_cmp_lt_i32 s0, s5
	s_add_nc_u64 s[62:63], s[62:63], s[64:65]
	s_cselect_b32 s12, -1, 0
	s_or_b32 s0, s26, 2
	v_lshl_add_u32 v60, v48, 2, v0
	v_add3_u32 v61, v0, v1, v2
	v_dual_mov_b32 v63, 0x100 :: v_dual_lshlrev_b32 v0, 2, v59
	s_cmp_lt_i32 s0, s5
	s_add_nc_u64 s[60:61], s[62:63], s[60:61]
	s_add_nc_u64 s[18:19], s[18:19], s[20:21]
	s_cselect_b32 s20, -1, 0
	s_or_b32 s0, s26, 3
	s_add_nc_u64 s[16:17], s[16:17], s[60:61]
	s_lshl_b32 s21, s8, 2
	s_cmp_lt_i32 s0, s5
	v_add_co_u32 v50, s0, s16, v0
	v_lshl_add_u32 v49, v55, 6, v58
	v_add_co_ci_u32_e64 v51, null, s17, 0, s0
	v_dual_mov_b32 v0, 0 :: v_dual_mov_b32 v3, v62
	v_dual_mov_b32 v1, v62 :: v_dual_mov_b32 v2, v62
	;; [unrolled: 1-line block ×8, first 2 shown]
	s_cselect_b32 s28, -1, 0
	s_ashr_i32 s67, s7, 31
	s_mov_b32 s66, s7
	s_add_co_i32 s29, s7, s7
	s_mul_i32 s30, s7, 3
	s_lshl_b32 s31, s7, 2
	s_mul_i32 s33, s7, 5
	s_mul_i32 s34, s7, 6
	;; [unrolled: 1-line block ×3, first 2 shown]
	s_lshl_b32 s36, s7, 3
	s_mul_i32 s37, s7, 9
	s_mul_i32 s38, s7, 10
	;; [unrolled: 1-line block ×7, first 2 shown]
	s_lshl_b32 s44, s7, 4
	s_mul_i32 s45, s7, 17
	s_mul_i32 s46, s7, 18
	;; [unrolled: 1-line block ×15, first 2 shown]
	s_lshl_b64 s[6:7], s[66:67], 2
	s_mul_i32 s16, s8, 6
	s_lshl_b32 s17, s8, 1
	s_mov_b32 s8, 0
	s_branch .LBB64_26
.LBB64_24:                              ;   in Loop: Header=BB64_26 Depth=1
	v_mul_lo_u32 v52, v52, s13
	s_delay_alu instid0(VALU_DEP_1) | instskip(NEXT) | instid1(VALU_DEP_1)
	v_add3_u32 v52, v52, s16, v49
	v_ashrrev_i32_e32 v53, 31, v52
	s_delay_alu instid0(VALU_DEP_1) | instskip(NEXT) | instid1(VALU_DEP_1)
	v_lshlrev_b64_e32 v[52:53], 2, v[52:53]
	v_add_co_u32 v52, vcc_lo, s18, v52
	s_wait_alu 0xfffd
	s_delay_alu instid0(VALU_DEP_2)
	v_add_co_ci_u32_e64 v53, null, s19, v53, vcc_lo
	global_load_b64 v[52:53], v[52:53], off
.LBB64_25:                              ;   in Loop: Header=BB64_26 Depth=1
	s_wait_loadcnt 0x0
	s_delay_alu instid0(VALU_DEP_1) | instskip(NEXT) | instid1(VALU_DEP_2)
	v_bfe_u32 v54, v52, 16, 1
	v_bfe_u32 v64, v53, 16, 1
	v_or_b32_e32 v65, 0x400000, v52
	v_cmp_u_f32_e32 vcc_lo, v52, v52
	v_or_b32_e32 v66, 0x400000, v53
	v_add3_u32 v54, v54, v52, 0x7fff
	v_add3_u32 v64, v64, v53, 0x7fff
	ds_store_2addr_b32 v60, v62, v62 offset0:196 offset1:232
	ds_store_b32 v60, v62 offset:2224
	s_wait_alu 0xfffd
	v_dual_cndmask_b32 v52, v54, v65 :: v_dual_add_nc_u32 v59, 0xa0, v59
	v_cmp_u_f32_e32 vcc_lo, v53, v53
	v_add_nc_u32_e32 v54, 0x400, v60
	v_add_co_u32 v50, s0, 0x280, v50
	v_add_nc_u32_e32 v49, 0x140, v49
	s_wait_alu 0xfffd
	v_dual_cndmask_b32 v53, v64, v66 :: v_dual_add_nc_u32 v64, 0x600, v60
	v_cmp_le_i32_e32 vcc_lo, s4, v59
	s_wait_alu 0xf1ff
	v_add_co_ci_u32_e64 v51, null, 0, v51, s0
	s_delay_alu instid0(VALU_DEP_3)
	v_perm_b32 v52, v53, v52, 0x7060302
	ds_store_2addr_b32 v54, v62, v62 offset0:12 offset1:48
	ds_store_2addr_b32 v54, v62, v62 offset0:84 offset1:120
	;; [unrolled: 1-line block ×5, first 2 shown]
	ds_load_b128 v[64:67], v61 offset:64
	ds_load_b128 v[68:71], v61 offset:96
	ds_load_b128 v[72:75], v61 offset:128
	ds_load_b128 v[76:79], v61 offset:160
	s_or_b32 s8, vcc_lo, s8
	s_wait_dscnt 0x3
	v_wmma_f32_16x16x16_bf16 v[8:15], v[32:35], v[64:67], v[8:15]
	v_wmma_f32_16x16x16_bf16 v[0:7], v[44:47], v[64:67], v[0:7]
	s_wait_dscnt 0x2
	s_delay_alu instid0(VALU_DEP_2) | instskip(NEXT) | instid1(VALU_DEP_2)
	v_wmma_f32_16x16x16_bf16 v[8:15], v[28:31], v[68:71], v[8:15]
	v_wmma_f32_16x16x16_bf16 v[0:7], v[40:43], v[68:71], v[0:7]
	s_wait_dscnt 0x1
	s_delay_alu instid0(VALU_DEP_2) | instskip(NEXT) | instid1(VALU_DEP_2)
	;; [unrolled: 4-line block ×3, first 2 shown]
	v_wmma_f32_16x16x16_bf16 v[8:15], v[16:19], v[76:79], v[8:15]
	v_wmma_f32_16x16x16_bf16 v[0:7], v[20:23], v[76:79], v[0:7]
	s_and_not1_b32 exec_lo, exec_lo, s8
	s_cbranch_execz .LBB64_41
.LBB64_26:                              ; =>This Inner Loop Header: Depth=1
	v_add_nc_u32_e32 v22, s31, v59
	v_add_nc_u32_e32 v16, s29, v59
	s_wait_alu 0xfffe
	v_add_co_u32 v20, vcc_lo, v50, s6
	v_add_nc_u32_e32 v18, s30, v59
	s_wait_alu 0xfffd
	v_add_co_ci_u32_e64 v21, null, s7, v51, vcc_lo
	v_ashrrev_i32_e32 v23, 31, v22
	v_ashrrev_i32_e32 v17, 31, v16
	v_add_nc_u32_e32 v24, s33, v59
	v_ashrrev_i32_e32 v19, 31, v18
	s_clause 0x1
	global_load_b32 v38, v[50:51], off
	global_load_b32 v39, v[20:21], off
	v_lshlrev_b64_e32 v[20:21], 2, v[22:23]
	v_add_nc_u32_e32 v22, s34, v59
	v_lshlrev_b64_e32 v[16:17], 2, v[16:17]
	v_add_nc_u32_e32 v26, s35, v59
	v_ashrrev_i32_e32 v25, 31, v24
	v_lshlrev_b64_e32 v[18:19], 2, v[18:19]
	v_add_nc_u32_e32 v28, s36, v59
	v_ashrrev_i32_e32 v23, 31, v22
	v_add_nc_u32_e32 v30, s37, v59
	v_ashrrev_i32_e32 v27, 31, v26
	v_add_co_u32 v16, vcc_lo, s10, v16
	v_lshlrev_b64_e32 v[24:25], 2, v[24:25]
	v_ashrrev_i32_e32 v29, 31, v28
	s_wait_alu 0xfffd
	v_add_co_ci_u32_e64 v17, null, s11, v17, vcc_lo
	v_add_co_u32 v18, vcc_lo, s10, v18
	v_lshlrev_b64_e32 v[22:23], 2, v[22:23]
	v_ashrrev_i32_e32 v31, 31, v30
	s_wait_alu 0xfffd
	v_add_co_ci_u32_e64 v19, null, s11, v19, vcc_lo
	v_add_co_u32 v20, vcc_lo, s10, v20
	v_lshlrev_b64_e32 v[26:27], 2, v[26:27]
	s_wait_alu 0xfffd
	v_add_co_ci_u32_e64 v21, null, s11, v21, vcc_lo
	v_add_co_u32 v24, vcc_lo, s10, v24
	v_lshlrev_b64_e32 v[28:29], 2, v[28:29]
	;; [unrolled: 4-line block ×3, first 2 shown]
	s_wait_alu 0xfffd
	v_add_co_ci_u32_e64 v23, null, s11, v23, vcc_lo
	v_add_co_u32 v26, vcc_lo, s10, v26
	v_add_nc_u32_e32 v32, s38, v59
	s_wait_alu 0xfffd
	v_add_co_ci_u32_e64 v27, null, s11, v27, vcc_lo
	v_add_co_u32 v28, vcc_lo, s10, v28
	v_add_nc_u32_e32 v34, s39, v59
	s_wait_alu 0xfffd
	v_add_co_ci_u32_e64 v29, null, s11, v29, vcc_lo
	v_add_co_u32 v30, vcc_lo, s10, v30
	v_add_nc_u32_e32 v36, s40, v59
	v_ashrrev_i32_e32 v33, 31, v32
	s_wait_alu 0xfffd
	v_add_co_ci_u32_e64 v31, null, s11, v31, vcc_lo
	s_clause 0x7
	global_load_b32 v40, v[16:17], off
	global_load_b32 v41, v[18:19], off
	;; [unrolled: 1-line block ×8, first 2 shown]
	v_add_nc_u32_e32 v18, s41, v59
	v_ashrrev_i32_e32 v35, 31, v34
	v_add_nc_u32_e32 v24, s42, v59
	v_ashrrev_i32_e32 v37, 31, v36
	v_lshlrev_b64_e32 v[32:33], 2, v[32:33]
	v_add_nc_u32_e32 v26, s43, v59
	v_ashrrev_i32_e32 v19, 31, v18
	v_lshlrev_b64_e32 v[16:17], 2, v[34:35]
	;; [unrolled: 3-line block ×3, first 2 shown]
	v_add_nc_u32_e32 v30, s45, v59
	v_ashrrev_i32_e32 v27, 31, v26
	v_add_co_u32 v20, vcc_lo, s10, v32
	v_lshlrev_b64_e32 v[18:19], 2, v[18:19]
	v_ashrrev_i32_e32 v29, 31, v28
	s_wait_alu 0xfffd
	v_add_co_ci_u32_e64 v21, null, s11, v33, vcc_lo
	v_add_co_u32 v16, vcc_lo, s10, v16
	v_lshlrev_b64_e32 v[24:25], 2, v[24:25]
	v_ashrrev_i32_e32 v31, 31, v30
	s_wait_alu 0xfffd
	v_add_co_ci_u32_e64 v17, null, s11, v17, vcc_lo
	v_add_co_u32 v22, vcc_lo, s10, v22
	v_lshlrev_b64_e32 v[26:27], 2, v[26:27]
	s_wait_alu 0xfffd
	v_add_co_ci_u32_e64 v23, null, s11, v23, vcc_lo
	v_add_co_u32 v18, vcc_lo, s10, v18
	v_lshlrev_b64_e32 v[28:29], 2, v[28:29]
	;; [unrolled: 4-line block ×3, first 2 shown]
	s_wait_alu 0xfffd
	v_add_co_ci_u32_e64 v25, null, s11, v25, vcc_lo
	v_add_co_u32 v26, vcc_lo, s10, v26
	v_add_nc_u32_e32 v32, s46, v59
	s_wait_alu 0xfffd
	v_add_co_ci_u32_e64 v27, null, s11, v27, vcc_lo
	v_add_co_u32 v28, vcc_lo, s10, v28
	v_add_nc_u32_e32 v34, s47, v59
	;; [unrolled: 4-line block ×3, first 2 shown]
	v_ashrrev_i32_e32 v33, 31, v32
	s_wait_alu 0xfffd
	v_add_co_ci_u32_e64 v31, null, s11, v31, vcc_lo
	s_clause 0x7
	global_load_b32 v52, v[20:21], off
	global_load_b32 v53, v[16:17], off
	;; [unrolled: 1-line block ×8, first 2 shown]
	v_add_nc_u32_e32 v18, s49, v59
	v_ashrrev_i32_e32 v35, 31, v34
	v_add_nc_u32_e32 v24, s50, v59
	v_ashrrev_i32_e32 v37, 31, v36
	v_lshlrev_b64_e32 v[32:33], 2, v[32:33]
	v_add_nc_u32_e32 v26, s51, v59
	v_ashrrev_i32_e32 v19, 31, v18
	v_lshlrev_b64_e32 v[16:17], 2, v[34:35]
	;; [unrolled: 3-line block ×3, first 2 shown]
	v_add_nc_u32_e32 v30, s53, v59
	v_ashrrev_i32_e32 v27, 31, v26
	v_add_co_u32 v20, vcc_lo, s10, v32
	v_lshlrev_b64_e32 v[18:19], 2, v[18:19]
	v_ashrrev_i32_e32 v29, 31, v28
	s_wait_alu 0xfffd
	v_add_co_ci_u32_e64 v21, null, s11, v33, vcc_lo
	v_add_co_u32 v16, vcc_lo, s10, v16
	v_lshlrev_b64_e32 v[24:25], 2, v[24:25]
	v_ashrrev_i32_e32 v31, 31, v30
	s_wait_alu 0xfffd
	v_add_co_ci_u32_e64 v17, null, s11, v17, vcc_lo
	v_add_co_u32 v22, vcc_lo, s10, v22
	v_lshlrev_b64_e32 v[26:27], 2, v[26:27]
	s_wait_alu 0xfffd
	v_add_co_ci_u32_e64 v23, null, s11, v23, vcc_lo
	v_add_co_u32 v18, vcc_lo, s10, v18
	v_lshlrev_b64_e32 v[28:29], 2, v[28:29]
	;; [unrolled: 4-line block ×3, first 2 shown]
	s_wait_alu 0xfffd
	v_add_co_ci_u32_e64 v25, null, s11, v25, vcc_lo
	v_add_co_u32 v26, vcc_lo, s10, v26
	v_add_nc_u32_e32 v32, s54, v59
	s_wait_alu 0xfffd
	v_add_co_ci_u32_e64 v27, null, s11, v27, vcc_lo
	v_add_co_u32 v28, vcc_lo, s10, v28
	v_add_nc_u32_e32 v34, s55, v59
	;; [unrolled: 4-line block ×3, first 2 shown]
	v_ashrrev_i32_e32 v33, 31, v32
	s_wait_alu 0xfffd
	v_add_co_ci_u32_e64 v31, null, s11, v31, vcc_lo
	s_clause 0x7
	global_load_b32 v69, v[20:21], off
	global_load_b32 v70, v[16:17], off
	;; [unrolled: 1-line block ×8, first 2 shown]
	v_add_nc_u32_e32 v18, s57, v59
	v_ashrrev_i32_e32 v35, 31, v34
	v_add_nc_u32_e32 v24, s58, v59
	v_ashrrev_i32_e32 v37, 31, v36
	v_lshlrev_b64_e32 v[32:33], 2, v[32:33]
	v_add_nc_u32_e32 v26, s59, v59
	v_ashrrev_i32_e32 v19, 31, v18
	v_lshlrev_b64_e32 v[16:17], 2, v[34:35]
	v_ashrrev_i32_e32 v25, 31, v24
	v_lshlrev_b64_e32 v[22:23], 2, v[36:37]
	v_ashrrev_i32_e32 v27, 31, v26
	v_add_co_u32 v20, vcc_lo, s10, v32
	v_lshlrev_b64_e32 v[18:19], 2, v[18:19]
	s_wait_alu 0xfffd
	v_add_co_ci_u32_e64 v21, null, s11, v33, vcc_lo
	v_add_co_u32 v16, vcc_lo, s10, v16
	v_lshlrev_b64_e32 v[24:25], 2, v[24:25]
	s_wait_alu 0xfffd
	v_add_co_ci_u32_e64 v17, null, s11, v17, vcc_lo
	;; [unrolled: 4-line block ×3, first 2 shown]
	v_add_co_u32 v18, vcc_lo, s10, v18
	s_wait_alu 0xfffd
	v_add_co_ci_u32_e64 v19, null, s11, v19, vcc_lo
	v_add_co_u32 v24, vcc_lo, s10, v24
	s_wait_alu 0xfffd
	v_add_co_ci_u32_e64 v25, null, s11, v25, vcc_lo
	;; [unrolled: 3-line block ×3, first 2 shown]
	s_clause 0x5
	global_load_b32 v20, v[20:21], off
	global_load_b32 v21, v[16:17], off
	;; [unrolled: 1-line block ×6, first 2 shown]
	s_and_not1_b32 vcc_lo, exec_lo, s1
	s_wait_loadcnt 0x1f
	ds_store_b32 v60, v38 offset:64
	s_wait_loadcnt 0x1e
	ds_store_b32 v60, v39 offset:208
	;; [unrolled: 2-line block ×16, first 2 shown]
	ds_load_b128 v[32:35], v61 offset:64
	ds_load_b128 v[28:31], v61 offset:96
	;; [unrolled: 1-line block ×4, first 2 shown]
	s_wait_loadcnt 0xf
	ds_store_b32 v60, v67 offset:64
	s_wait_loadcnt 0xe
	ds_store_b32 v60, v68 offset:208
	;; [unrolled: 2-line block ×16, first 2 shown]
	ds_load_b128 v[44:47], v61 offset:64
	ds_load_b128 v[40:43], v61 offset:96
	;; [unrolled: 1-line block ×4, first 2 shown]
	v_dual_mov_b32 v52, 0 :: v_dual_mov_b32 v53, 0
	s_wait_alu 0xfffe
	s_cbranch_vccnz .LBB64_30
; %bb.27:                               ;   in Loop: Header=BB64_26 Depth=1
	ds_load_b32 v52, v63
	s_wait_dscnt 0x0
	v_cmp_gt_i32_e32 vcc_lo, 0, v52
	s_cbranch_vccnz .LBB64_29
; %bb.28:                               ;   in Loop: Header=BB64_26 Depth=1
	v_mad_co_u64_u32 v[52:53], null, v52, s13, v[49:50]
	s_delay_alu instid0(VALU_DEP_1) | instskip(NEXT) | instid1(VALU_DEP_1)
	v_ashrrev_i32_e32 v53, 31, v52
	v_lshlrev_b64_e32 v[52:53], 2, v[52:53]
	s_delay_alu instid0(VALU_DEP_1) | instskip(SKIP_1) | instid1(VALU_DEP_2)
	v_add_co_u32 v52, vcc_lo, s18, v52
	s_wait_alu 0xfffd
	v_add_co_ci_u32_e64 v53, null, s19, v53, vcc_lo
	global_load_b64 v[52:53], v[52:53], off
	s_branch .LBB64_30
.LBB64_29:                              ;   in Loop: Header=BB64_26 Depth=1
	v_dual_mov_b32 v52, 0 :: v_dual_mov_b32 v53, 0
.LBB64_30:                              ;   in Loop: Header=BB64_26 Depth=1
	s_wait_loadcnt 0x0
	s_delay_alu instid0(VALU_DEP_1) | instskip(NEXT) | instid1(VALU_DEP_2)
	v_bfe_u32 v54, v52, 16, 1
	v_bfe_u32 v64, v53, 16, 1
	v_or_b32_e32 v65, 0x400000, v52
	v_cmp_u_f32_e32 vcc_lo, v52, v52
	v_or_b32_e32 v66, 0x400000, v53
	v_add3_u32 v54, v54, v52, 0x7fff
	v_add3_u32 v64, v64, v53, 0x7fff
	v_mov_b32_e32 v52, 0
	s_wait_alu 0xfffd
	s_delay_alu instid0(VALU_DEP_3) | instskip(SKIP_4) | instid1(VALU_DEP_1)
	v_cndmask_b32_e32 v54, v54, v65, vcc_lo
	v_cmp_u_f32_e32 vcc_lo, v53, v53
	s_wait_alu 0xfffd
	v_cndmask_b32_e32 v53, v64, v66, vcc_lo
	s_and_not1_b32 vcc_lo, exec_lo, s12
	v_perm_b32 v64, v53, v54, 0x7060302
	v_dual_mov_b32 v53, 0 :: v_dual_mov_b32 v54, 0
	ds_store_b32 v60, v64 offset:64
	s_wait_alu 0xfffe
	s_cbranch_vccnz .LBB64_34
; %bb.31:                               ;   in Loop: Header=BB64_26 Depth=1
	ds_load_b32 v53, v63 offset:4
	s_wait_dscnt 0x0
	v_cmp_gt_i32_e32 vcc_lo, 0, v53
	s_cbranch_vccnz .LBB64_33
; %bb.32:                               ;   in Loop: Header=BB64_26 Depth=1
	v_mul_lo_u32 v53, v53, s13
	s_delay_alu instid0(VALU_DEP_1) | instskip(NEXT) | instid1(VALU_DEP_1)
	v_add3_u32 v53, v53, s17, v49
	v_ashrrev_i32_e32 v54, 31, v53
	s_delay_alu instid0(VALU_DEP_1) | instskip(NEXT) | instid1(VALU_DEP_1)
	v_lshlrev_b64_e32 v[53:54], 2, v[53:54]
	v_add_co_u32 v53, vcc_lo, s18, v53
	s_wait_alu 0xfffd
	s_delay_alu instid0(VALU_DEP_2)
	v_add_co_ci_u32_e64 v54, null, s19, v54, vcc_lo
	global_load_b64 v[53:54], v[53:54], off
	s_branch .LBB64_34
.LBB64_33:                              ;   in Loop: Header=BB64_26 Depth=1
	v_dual_mov_b32 v53, 0 :: v_dual_mov_b32 v54, 0
.LBB64_34:                              ;   in Loop: Header=BB64_26 Depth=1
	s_wait_loadcnt 0x0
	s_delay_alu instid0(VALU_DEP_1) | instskip(NEXT) | instid1(VALU_DEP_2)
	v_bfe_u32 v64, v53, 16, 1
	v_bfe_u32 v65, v54, 16, 1
	v_or_b32_e32 v66, 0x400000, v53
	v_cmp_u_f32_e32 vcc_lo, v53, v53
	v_or_b32_e32 v67, 0x400000, v54
	v_add3_u32 v64, v64, v53, 0x7fff
	v_add3_u32 v65, v65, v54, 0x7fff
	s_wait_alu 0xfffd
	s_delay_alu instid0(VALU_DEP_2) | instskip(SKIP_4) | instid1(VALU_DEP_1)
	v_cndmask_b32_e32 v53, v64, v66, vcc_lo
	v_cmp_u_f32_e32 vcc_lo, v54, v54
	s_wait_alu 0xfffd
	v_cndmask_b32_e32 v54, v65, v67, vcc_lo
	s_and_not1_b32 vcc_lo, exec_lo, s20
	v_perm_b32 v54, v54, v53, 0x7060302
	v_mov_b32_e32 v53, 0
	ds_store_b32 v60, v54 offset:208
	s_wait_alu 0xfffe
	s_cbranch_vccnz .LBB64_38
; %bb.35:                               ;   in Loop: Header=BB64_26 Depth=1
	ds_load_b32 v52, v63 offset:8
	s_wait_dscnt 0x0
	v_cmp_gt_i32_e32 vcc_lo, 0, v52
	s_cbranch_vccnz .LBB64_37
; %bb.36:                               ;   in Loop: Header=BB64_26 Depth=1
	v_mul_lo_u32 v52, v52, s13
	s_delay_alu instid0(VALU_DEP_1) | instskip(NEXT) | instid1(VALU_DEP_1)
	v_add3_u32 v52, v52, s21, v49
	v_ashrrev_i32_e32 v53, 31, v52
	s_delay_alu instid0(VALU_DEP_1) | instskip(NEXT) | instid1(VALU_DEP_1)
	v_lshlrev_b64_e32 v[52:53], 2, v[52:53]
	v_add_co_u32 v52, vcc_lo, s18, v52
	s_wait_alu 0xfffd
	s_delay_alu instid0(VALU_DEP_2)
	v_add_co_ci_u32_e64 v53, null, s19, v53, vcc_lo
	global_load_b64 v[52:53], v[52:53], off
	s_branch .LBB64_38
.LBB64_37:                              ;   in Loop: Header=BB64_26 Depth=1
	v_dual_mov_b32 v52, 0 :: v_dual_mov_b32 v53, 0
.LBB64_38:                              ;   in Loop: Header=BB64_26 Depth=1
	s_wait_loadcnt 0x0
	s_delay_alu instid0(VALU_DEP_1) | instskip(NEXT) | instid1(VALU_DEP_2)
	v_bfe_u32 v54, v52, 16, 1
	v_bfe_u32 v64, v53, 16, 1
	v_or_b32_e32 v65, 0x400000, v52
	v_cmp_u_f32_e32 vcc_lo, v52, v52
	v_or_b32_e32 v66, 0x400000, v53
	v_add3_u32 v54, v54, v52, 0x7fff
	v_add3_u32 v64, v64, v53, 0x7fff
	s_wait_alu 0xfffd
	s_delay_alu instid0(VALU_DEP_2) | instskip(SKIP_4) | instid1(VALU_DEP_1)
	v_cndmask_b32_e32 v52, v54, v65, vcc_lo
	v_cmp_u_f32_e32 vcc_lo, v53, v53
	s_wait_alu 0xfffd
	v_cndmask_b32_e32 v53, v64, v66, vcc_lo
	s_and_not1_b32 vcc_lo, exec_lo, s28
	v_perm_b32 v54, v53, v52, 0x7060302
	v_dual_mov_b32 v52, 0 :: v_dual_mov_b32 v53, 0
	ds_store_b32 v60, v54 offset:352
	s_wait_alu 0xfffe
	s_cbranch_vccnz .LBB64_25
; %bb.39:                               ;   in Loop: Header=BB64_26 Depth=1
	ds_load_b32 v52, v63 offset:12
	s_wait_dscnt 0x0
	v_cmp_gt_i32_e32 vcc_lo, 0, v52
	s_cbranch_vccz .LBB64_24
; %bb.40:                               ;   in Loop: Header=BB64_26 Depth=1
	v_dual_mov_b32 v52, 0 :: v_dual_mov_b32 v53, 0
	s_branch .LBB64_25
.LBB64_41:
	s_or_b32 exec_lo, exec_lo, s8
.LBB64_42:
	s_delay_alu instid0(SALU_CYCLE_1)
	s_or_b32 exec_lo, exec_lo, s23
	v_lshl_add_u32 v16, v56, 2, 0x100
	v_mul_u32_u24_e32 v17, 0x290, v57
	v_and_b32_e32 v18, 0x7e0, v58
	v_cmp_gt_u32_e32 vcc_lo, 4, v55
	s_wait_loadcnt_dscnt 0x0
	s_barrier_signal -1
	s_barrier_wait -1
	v_add3_u32 v17, v16, v17, v18
	global_inv scope:SCOPE_SE
	ds_store_2addr_b32 v17, v8, v9 offset0:16 offset1:17
	ds_store_2addr_b32 v17, v10, v11 offset0:18 offset1:19
	;; [unrolled: 1-line block ×8, first 2 shown]
	s_wait_loadcnt_dscnt 0x0
	s_barrier_signal -1
	s_barrier_wait -1
	global_inv scope:SCOPE_SE
	s_and_b32 exec_lo, exec_lo, vcc_lo
	s_cbranch_execz .LBB64_45
; %bb.43:
	v_mad_i32_i24 v0, 0xffffff84, v55, v16
	v_or_b32_e32 v1, s26, v55
	ds_load_b32 v0, v0
	v_cmp_gt_i32_e64 s0, s5, v1
	s_wait_dscnt 0x0
	v_cmp_lt_i32_e32 vcc_lo, -1, v0
	s_and_b32 s0, vcc_lo, s0
	s_wait_alu 0xfffe
	s_and_b32 exec_lo, exec_lo, s0
	s_cbranch_execz .LBB64_45
; %bb.44:
	v_lshlrev_b32_e32 v1, 2, v48
	v_mul_u32_u24_e32 v2, 0x290, v55
	v_mul_lo_u32 v0, v0, s14
	v_mul_lo_u32 v7, v55, s9
	s_ashr_i32 s1, s22, 31
	s_mov_b32 s0, s22
	v_add3_u32 v5, 0x100, v1, v2
	s_ashr_i32 s5, s9, 31
	s_mov_b32 s4, s9
	s_wait_alu 0xfffe
	s_mul_u64 s[0:1], s[0:1], s[24:25]
	ds_load_2addr_b32 v[1:2], v5 offset0:16 offset1:48
	ds_load_2addr_b32 v[3:4], v5 offset0:80 offset1:112
	v_add_nc_u32_e32 v6, s15, v48
	ds_load_b32 v5, v5 offset:576
	s_mul_u64 s[4:5], s[26:27], s[4:5]
	s_wait_alu 0xfffe
	s_lshl_b64 s[0:1], s[0:1], 2
	s_lshl_b64 s[4:5], s[4:5], 2
	s_wait_kmcnt 0x0
	s_wait_alu 0xfffe
	s_add_nc_u64 s[0:1], s[2:3], s[0:1]
	s_wait_alu 0xfffe
	s_add_nc_u64 s[0:1], s[0:1], s[4:5]
	s_wait_dscnt 0x2
	v_add_f32_e32 v1, 0, v1
	v_add3_u32 v0, v6, v7, v0
	s_delay_alu instid0(VALU_DEP_2) | instskip(SKIP_1) | instid1(VALU_DEP_1)
	v_dual_add_f32 v2, v1, v2 :: v_dual_mov_b32 v1, 0
	s_wait_dscnt 0x1
	v_add_f32_e32 v2, v2, v3
	s_delay_alu instid0(VALU_DEP_2) | instskip(NEXT) | instid1(VALU_DEP_2)
	v_lshlrev_b64_e32 v[0:1], 2, v[0:1]
	v_add_f32_e32 v2, v2, v4
	s_wait_alu 0xfffe
	s_delay_alu instid0(VALU_DEP_2) | instskip(SKIP_1) | instid1(VALU_DEP_3)
	v_add_co_u32 v0, vcc_lo, s0, v0
	s_wait_alu 0xfffd
	v_add_co_ci_u32_e64 v1, null, s1, v1, vcc_lo
	s_wait_dscnt 0x0
	v_add_f32_e32 v2, v2, v5
	global_store_b32 v[0:1], v2, off
.LBB64_45:
	s_endpgm
	.section	.rodata,"a",@progbits
	.p2align	6, 0x0
	.amdhsa_kernel _ZL9mul_mat_fI15__hip_bfloat162Li32ELi4ELi5ELb1EEvPKT_PKfPKiPfiiiiiiiiiiiiiiii
		.amdhsa_group_segment_fixed_size 256
		.amdhsa_private_segment_fixed_size 0
		.amdhsa_kernarg_size 352
		.amdhsa_user_sgpr_count 2
		.amdhsa_user_sgpr_dispatch_ptr 0
		.amdhsa_user_sgpr_queue_ptr 0
		.amdhsa_user_sgpr_kernarg_segment_ptr 1
		.amdhsa_user_sgpr_dispatch_id 0
		.amdhsa_user_sgpr_private_segment_size 0
		.amdhsa_wavefront_size32 1
		.amdhsa_uses_dynamic_stack 0
		.amdhsa_enable_private_segment 0
		.amdhsa_system_sgpr_workgroup_id_x 1
		.amdhsa_system_sgpr_workgroup_id_y 1
		.amdhsa_system_sgpr_workgroup_id_z 1
		.amdhsa_system_sgpr_workgroup_info 0
		.amdhsa_system_vgpr_workitem_id 2
		.amdhsa_next_free_vgpr 80
		.amdhsa_next_free_sgpr 68
		.amdhsa_reserve_vcc 1
		.amdhsa_float_round_mode_32 0
		.amdhsa_float_round_mode_16_64 0
		.amdhsa_float_denorm_mode_32 3
		.amdhsa_float_denorm_mode_16_64 3
		.amdhsa_fp16_overflow 0
		.amdhsa_workgroup_processor_mode 1
		.amdhsa_memory_ordered 1
		.amdhsa_forward_progress 1
		.amdhsa_inst_pref_size 43
		.amdhsa_round_robin_scheduling 0
		.amdhsa_exception_fp_ieee_invalid_op 0
		.amdhsa_exception_fp_denorm_src 0
		.amdhsa_exception_fp_ieee_div_zero 0
		.amdhsa_exception_fp_ieee_overflow 0
		.amdhsa_exception_fp_ieee_underflow 0
		.amdhsa_exception_fp_ieee_inexact 0
		.amdhsa_exception_int_div_zero 0
	.end_amdhsa_kernel
	.section	.text._ZL9mul_mat_fI15__hip_bfloat162Li32ELi4ELi5ELb1EEvPKT_PKfPKiPfiiiiiiiiiiiiiiii,"axG",@progbits,_ZL9mul_mat_fI15__hip_bfloat162Li32ELi4ELi5ELb1EEvPKT_PKfPKiPfiiiiiiiiiiiiiiii,comdat
.Lfunc_end64:
	.size	_ZL9mul_mat_fI15__hip_bfloat162Li32ELi4ELi5ELb1EEvPKT_PKfPKiPfiiiiiiiiiiiiiiii, .Lfunc_end64-_ZL9mul_mat_fI15__hip_bfloat162Li32ELi4ELi5ELb1EEvPKT_PKfPKiPfiiiiiiiiiiiiiiii
                                        ; -- End function
	.set _ZL9mul_mat_fI15__hip_bfloat162Li32ELi4ELi5ELb1EEvPKT_PKfPKiPfiiiiiiiiiiiiiiii.num_vgpr, 80
	.set _ZL9mul_mat_fI15__hip_bfloat162Li32ELi4ELi5ELb1EEvPKT_PKfPKiPfiiiiiiiiiiiiiiii.num_agpr, 0
	.set _ZL9mul_mat_fI15__hip_bfloat162Li32ELi4ELi5ELb1EEvPKT_PKfPKiPfiiiiiiiiiiiiiiii.numbered_sgpr, 68
	.set _ZL9mul_mat_fI15__hip_bfloat162Li32ELi4ELi5ELb1EEvPKT_PKfPKiPfiiiiiiiiiiiiiiii.num_named_barrier, 0
	.set _ZL9mul_mat_fI15__hip_bfloat162Li32ELi4ELi5ELb1EEvPKT_PKfPKiPfiiiiiiiiiiiiiiii.private_seg_size, 0
	.set _ZL9mul_mat_fI15__hip_bfloat162Li32ELi4ELi5ELb1EEvPKT_PKfPKiPfiiiiiiiiiiiiiiii.uses_vcc, 1
	.set _ZL9mul_mat_fI15__hip_bfloat162Li32ELi4ELi5ELb1EEvPKT_PKfPKiPfiiiiiiiiiiiiiiii.uses_flat_scratch, 0
	.set _ZL9mul_mat_fI15__hip_bfloat162Li32ELi4ELi5ELb1EEvPKT_PKfPKiPfiiiiiiiiiiiiiiii.has_dyn_sized_stack, 0
	.set _ZL9mul_mat_fI15__hip_bfloat162Li32ELi4ELi5ELb1EEvPKT_PKfPKiPfiiiiiiiiiiiiiiii.has_recursion, 0
	.set _ZL9mul_mat_fI15__hip_bfloat162Li32ELi4ELi5ELb1EEvPKT_PKfPKiPfiiiiiiiiiiiiiiii.has_indirect_call, 0
	.section	.AMDGPU.csdata,"",@progbits
; Kernel info:
; codeLenInByte = 5400
; TotalNumSgprs: 70
; NumVgprs: 80
; ScratchSize: 0
; MemoryBound: 0
; FloatMode: 240
; IeeeMode: 1
; LDSByteSize: 256 bytes/workgroup (compile time only)
; SGPRBlocks: 0
; VGPRBlocks: 9
; NumSGPRsForWavesPerEU: 70
; NumVGPRsForWavesPerEU: 80
; Occupancy: 16
; WaveLimiterHint : 0
; COMPUTE_PGM_RSRC2:SCRATCH_EN: 0
; COMPUTE_PGM_RSRC2:USER_SGPR: 2
; COMPUTE_PGM_RSRC2:TRAP_HANDLER: 0
; COMPUTE_PGM_RSRC2:TGID_X_EN: 1
; COMPUTE_PGM_RSRC2:TGID_Y_EN: 1
; COMPUTE_PGM_RSRC2:TGID_Z_EN: 1
; COMPUTE_PGM_RSRC2:TIDIG_COMP_CNT: 2
	.section	.text._ZL9mul_mat_fI15__hip_bfloat162Li32ELi4ELi5ELb0EEvPKT_PKfPKiPfiiiiiiiiiiiiiiii,"axG",@progbits,_ZL9mul_mat_fI15__hip_bfloat162Li32ELi4ELi5ELb0EEvPKT_PKfPKiPfiiiiiiiiiiiiiiii,comdat
	.globl	_ZL9mul_mat_fI15__hip_bfloat162Li32ELi4ELi5ELb0EEvPKT_PKfPKiPfiiiiiiiiiiiiiiii ; -- Begin function _ZL9mul_mat_fI15__hip_bfloat162Li32ELi4ELi5ELb0EEvPKT_PKfPKiPfiiiiiiiiiiiiiiii
	.p2align	8
	.type	_ZL9mul_mat_fI15__hip_bfloat162Li32ELi4ELi5ELb0EEvPKT_PKfPKiPfiiiiiiiiiiiiiiii,@function
_ZL9mul_mat_fI15__hip_bfloat162Li32ELi4ELi5ELb0EEvPKT_PKfPKiPfiiiiiiiiiiiiiiii: ; @_ZL9mul_mat_fI15__hip_bfloat162Li32ELi4ELi5ELb0EEvPKT_PKfPKiPfiiiiiiiiiiiiiiii
; %bb.0:
	s_clause 0x1
	s_load_b256 s[4:11], s[0:1], 0x40
	s_load_b32 s21, s[0:1], 0x20
	v_bfe_u32 v37, v0, 10, 10
	v_and_b32_e32 v36, 0x3ff, v0
	s_mov_b32 s15, exec_lo
	s_delay_alu instid0(VALU_DEP_2) | instskip(NEXT) | instid1(VALU_DEP_2)
	v_lshlrev_b32_e32 v39, 5, v37
	v_and_b32_e32 v40, 15, v36
	s_delay_alu instid0(VALU_DEP_2)
	v_add_nc_u32_e32 v41, v39, v36
	s_wait_kmcnt 0x0
	s_abs_i32 s12, s4
	s_abs_i32 s23, s8
	s_cvt_f32_u32 s2, s12
	s_cvt_f32_u32 s3, s23
	s_delay_alu instid0(SALU_CYCLE_2) | instskip(NEXT) | instid1(SALU_CYCLE_2)
	v_rcp_iflag_f32_e32 v0, s2
	v_rcp_iflag_f32_e32 v1, s3
	s_mov_b32 s3, 0
	s_lshr_b32 s2, ttmp7, 16
	s_delay_alu instid0(TRANS32_DEP_2) | instskip(NEXT) | instid1(TRANS32_DEP_1)
	v_readfirstlane_b32 s13, v0
	v_readfirstlane_b32 s14, v1
	v_cmpx_le_i32_e64 s21, v41
	s_xor_b32 s15, exec_lo, s15
; %bb.1:
	v_and_b32_e32 v40, 15, v36
                                        ; implicit-def: $vgpr41
; %bb.2:
	s_or_saveexec_b32 s22, s15
	s_load_b96 s[16:18], s[0:1], 0x2c
	v_dual_mov_b32 v15, 0 :: v_dual_lshlrev_b32 v38, 2, v36
	s_and_b32 s19, ttmp7, 0xffff
	s_lshl_b32 s20, ttmp9, 5
	s_delay_alu instid0(VALU_DEP_1)
	v_dual_mov_b32 v14, v15 :: v_dual_mov_b32 v13, v15
	v_dual_mov_b32 v12, v15 :: v_dual_mov_b32 v11, v15
	;; [unrolled: 1-line block ×7, first 2 shown]
	v_mov_b32_e32 v0, v15
	s_xor_b32 exec_lo, exec_lo, s22
	s_cbranch_execz .LBB65_6
; %bb.3:
	s_mul_f32 s13, s13, 0x4f7ffffe
	s_mul_f32 s14, s14, 0x4f7ffffe
	s_sub_co_i32 s24, 0, s12
	s_sub_co_i32 s25, 0, s23
	s_cvt_u32_f32 s13, s13
	s_cvt_u32_f32 s27, s14
	s_abs_i32 s14, s19
	s_mov_b32 s15, s3
	s_mul_i32 s24, s24, s13
	s_mul_i32 s25, s25, s27
	s_mul_hi_u32 s24, s13, s24
	s_mul_hi_u32 s28, s27, s25
	s_add_co_i32 s24, s13, s24
	s_mov_b32 s25, s3
	s_abs_i32 s26, s2
	s_mul_u64 s[24:25], s[14:15], s[24:25]
	s_ashr_i32 s24, s8, 31
	s_mul_i32 s13, s25, s12
	s_add_co_i32 s28, s27, s28
	s_sub_co_i32 s8, s14, s13
	s_ashr_i32 s4, s4, 31
	s_add_co_i32 s13, s25, 1
	s_sub_co_i32 s14, s8, s12
	s_cmp_ge_u32 s8, s12
	s_mov_b32 s27, s3
	s_cselect_b32 s13, s13, s25
	s_mov_b32 s29, s3
	s_cselect_b32 s8, s14, s8
	s_add_co_i32 s14, s13, 1
	s_mul_u64 s[28:29], s[26:27], s[28:29]
	s_cmp_ge_u32 s8, s12
	s_mul_i32 s12, s29, s23
	s_cselect_b32 s8, s14, s13
	s_sub_co_i32 s25, s26, s12
	s_xor_b32 s8, s8, s4
	s_load_b128 s[12:15], s[0:1], 0x0
	s_sub_co_i32 s26, s8, s4
	s_add_co_i32 s4, s29, 1
	s_sub_co_i32 s8, s25, s23
	s_cmp_ge_u32 s25, s23
	v_mad_u32_u24 v0, 0x900, v37, 0
	s_cselect_b32 s4, s4, s29
	s_cselect_b32 s8, s8, s25
	s_add_co_i32 s25, s4, 1
	s_cmp_ge_u32 s8, s23
	s_mov_b32 s8, s9
	s_cselect_b32 s4, s25, s4
	s_ashr_i32 s9, s9, 31
	s_xor_b32 s4, s4, s24
	v_mul_u32_u24_e32 v1, 0x90, v40
	s_sub_co_i32 s24, s4, s24
	v_and_b32_e32 v2, 0x3f0, v36
	s_ashr_i32 s25, s24, 31
	v_add_nc_u32_e32 v42, v0, v38
	s_mul_u64 s[8:9], s[24:25], s[8:9]
	s_mul_i32 s24, s26, s5
	s_lshl_b64 s[54:55], s[8:9], 2
	s_ashr_i32 s25, s24, 31
	s_wait_kmcnt 0x0
	s_add_nc_u64 s[8:9], s[12:13], s[54:55]
	s_lshl_b64 s[56:57], s[24:25], 2
	s_mul_i32 s24, s16, s20
	v_add3_u32 v43, v0, v1, v2
	s_ashr_i32 s25, s24, 31
	v_dual_mov_b32 v0, 0 :: v_dual_lshlrev_b32 v1, 7, v37
	s_lshl_b64 s[60:61], s[24:25], 2
	s_add_nc_u64 s[8:9], s[8:9], s[56:57]
	s_add_nc_u64 s[56:57], s[56:57], s[60:61]
	s_mov_b32 s4, s10
	s_add_nc_u64 s[54:55], s[56:57], s[54:55]
	s_ashr_i32 s5, s10, 31
	v_add_co_u32 v1, s53, s54, v1
	s_delay_alu instid0(VALU_DEP_1) | instskip(SKIP_2) | instid1(VALU_DEP_3)
	v_add_co_ci_u32_e64 v2, null, s55, 0, s53
	v_dual_mov_b32 v44, 0 :: v_dual_lshlrev_b32 v3, 8, v37
	s_mul_u64 s[4:5], s[4:5], s[2:3]
	v_add_co_u32 v1, vcc_lo, v1, v38
	s_lshl_b64 s[58:59], s[4:5], 2
	v_add_co_ci_u32_e64 v2, null, 0, v2, vcc_lo
	v_add_co_u32 v3, s53, s58, v3
	v_lshlrev_b32_e32 v5, 3, v36
	s_mul_i32 s4, s6, s19
	s_wait_alu 0xf1ff
	v_add_co_ci_u32_e64 v4, null, s59, 0, s53
	v_add_co_u32 v32, vcc_lo, s12, v1
	s_ashr_i32 s5, s4, 31
	s_wait_alu 0xfffd
	v_add_co_ci_u32_e64 v33, null, s13, v2, vcc_lo
	v_add_co_u32 v1, vcc_lo, v3, v5
	s_lshl_b64 s[62:63], s[4:5], 2
	s_wait_alu 0xfffd
	v_add_co_ci_u32_e64 v2, null, 0, v4, vcc_lo
	s_add_nc_u64 s[12:13], s[14:15], s[62:63]
	v_dual_mov_b32 v3, v0 :: v_dual_mov_b32 v4, v0
	s_wait_alu 0xfffe
	v_add_co_u32 v34, vcc_lo, s12, v1
	s_wait_alu 0xfffd
	v_add_co_ci_u32_e64 v35, null, s13, v2, vcc_lo
	v_dual_mov_b32 v1, v0 :: v_dual_mov_b32 v2, v0
	v_dual_mov_b32 v5, v0 :: v_dual_mov_b32 v6, v0
	;; [unrolled: 1-line block ×6, first 2 shown]
	v_mov_b32_e32 v15, v0
	s_add_nc_u64 s[26:27], s[14:15], s[58:59]
	s_ashr_i32 s65, s16, 31
	s_mov_b32 s64, s16
	s_ashr_i32 s67, s17, 31
	s_mov_b32 s66, s17
	s_add_nc_u64 s[4:5], s[8:9], s[60:61]
	s_add_nc_u64 s[8:9], s[26:27], s[62:63]
	s_mov_b32 s6, 0
	s_add_co_i32 s10, s16, s16
	s_add_co_i32 s23, s17, s17
	s_mul_i32 s17, s17, 3
	s_mul_i32 s24, s16, 3
	s_lshl_b32 s25, s16, 2
	s_mul_i32 s26, s16, 5
	s_mul_i32 s27, s16, 6
	;; [unrolled: 1-line block ×3, first 2 shown]
	s_lshl_b32 s29, s16, 3
	s_mul_i32 s30, s16, 9
	s_mul_i32 s31, s16, 10
	;; [unrolled: 1-line block ×7, first 2 shown]
	s_lshl_b32 s38, s16, 4
	s_mul_i32 s39, s16, 17
	s_mul_i32 s40, s16, 18
	;; [unrolled: 1-line block ×15, first 2 shown]
	s_lshl_b64 s[12:13], s[64:65], 2
	s_lshl_b64 s[14:15], s[66:67], 3
.LBB65_4:                               ; =>This Inner Loop Header: Depth=1
	global_load_b32 v16, v[32:33], off
	v_add_nc_u32_e32 v45, s38, v41
	s_delay_alu instid0(VALU_DEP_1) | instskip(NEXT) | instid1(VALU_DEP_1)
	v_ashrrev_i32_e32 v46, 31, v45
	v_lshlrev_b64_e32 v[45:46], 2, v[45:46]
	s_wait_loadcnt 0x0
	ds_store_b32 v42, v16
	s_wait_alu 0xfffe
	v_add_co_u32 v16, vcc_lo, v32, s12
	s_wait_alu 0xfffd
	v_add_co_ci_u32_e64 v17, null, s13, v33, vcc_lo
	global_load_b32 v16, v[16:17], off
	s_wait_loadcnt 0x0
	ds_store_b32 v42, v16 offset:144
	v_add_nc_u32_e32 v16, s10, v41
	s_delay_alu instid0(VALU_DEP_1) | instskip(NEXT) | instid1(VALU_DEP_1)
	v_ashrrev_i32_e32 v17, 31, v16
	v_lshlrev_b64_e32 v[16:17], 2, v[16:17]
	s_delay_alu instid0(VALU_DEP_1) | instskip(SKIP_1) | instid1(VALU_DEP_2)
	v_add_co_u32 v16, vcc_lo, s4, v16
	s_wait_alu 0xfffd
	v_add_co_ci_u32_e64 v17, null, s5, v17, vcc_lo
	global_load_b32 v16, v[16:17], off
	s_wait_loadcnt 0x0
	ds_store_b32 v42, v16 offset:288
	v_add_nc_u32_e32 v16, s24, v41
	s_delay_alu instid0(VALU_DEP_1) | instskip(NEXT) | instid1(VALU_DEP_1)
	v_ashrrev_i32_e32 v17, 31, v16
	v_lshlrev_b64_e32 v[16:17], 2, v[16:17]
	s_delay_alu instid0(VALU_DEP_1) | instskip(SKIP_1) | instid1(VALU_DEP_2)
	;; [unrolled: 11-line block ×14, first 2 shown]
	v_add_co_u32 v16, vcc_lo, s4, v16
	s_wait_alu 0xfffd
	v_add_co_ci_u32_e64 v17, null, s5, v17, vcc_lo
	v_add_co_u32 v45, vcc_lo, s4, v45
	s_wait_alu 0xfffd
	v_add_co_ci_u32_e64 v46, null, s5, v46, vcc_lo
	global_load_b32 v16, v[16:17], off
	s_wait_loadcnt 0x0
	ds_store_b32 v42, v16 offset:2160
	ds_load_b128 v[28:31], v43
	ds_load_b128 v[24:27], v43 offset:32
	ds_load_b128 v[20:23], v43 offset:64
	;; [unrolled: 1-line block ×3, first 2 shown]
	global_load_b32 v45, v[45:46], off
	s_wait_loadcnt 0x0
	ds_store_b32 v42, v45
	v_add_nc_u32_e32 v45, s39, v41
	s_delay_alu instid0(VALU_DEP_1) | instskip(NEXT) | instid1(VALU_DEP_1)
	v_ashrrev_i32_e32 v46, 31, v45
	v_lshlrev_b64_e32 v[45:46], 2, v[45:46]
	s_delay_alu instid0(VALU_DEP_1) | instskip(SKIP_1) | instid1(VALU_DEP_2)
	v_add_co_u32 v45, vcc_lo, s4, v45
	s_wait_alu 0xfffd
	v_add_co_ci_u32_e64 v46, null, s5, v46, vcc_lo
	global_load_b32 v45, v[45:46], off
	s_wait_loadcnt 0x0
	ds_store_b32 v42, v45 offset:144
	v_add_nc_u32_e32 v45, s40, v41
	s_delay_alu instid0(VALU_DEP_1) | instskip(NEXT) | instid1(VALU_DEP_1)
	v_ashrrev_i32_e32 v46, 31, v45
	v_lshlrev_b64_e32 v[45:46], 2, v[45:46]
	s_delay_alu instid0(VALU_DEP_1) | instskip(SKIP_1) | instid1(VALU_DEP_2)
	v_add_co_u32 v45, vcc_lo, s4, v45
	s_wait_alu 0xfffd
	v_add_co_ci_u32_e64 v46, null, s5, v46, vcc_lo
	global_load_b32 v45, v[45:46], off
	s_wait_loadcnt 0x0
	ds_store_b32 v42, v45 offset:288
	v_add_nc_u32_e32 v45, s41, v41
	s_delay_alu instid0(VALU_DEP_1) | instskip(NEXT) | instid1(VALU_DEP_1)
	v_ashrrev_i32_e32 v46, 31, v45
	v_lshlrev_b64_e32 v[45:46], 2, v[45:46]
	s_delay_alu instid0(VALU_DEP_1) | instskip(SKIP_1) | instid1(VALU_DEP_2)
	v_add_co_u32 v45, vcc_lo, s4, v45
	s_wait_alu 0xfffd
	v_add_co_ci_u32_e64 v46, null, s5, v46, vcc_lo
	global_load_b32 v45, v[45:46], off
	s_wait_loadcnt 0x0
	ds_store_b32 v42, v45 offset:432
	v_add_nc_u32_e32 v45, s42, v41
	s_delay_alu instid0(VALU_DEP_1) | instskip(NEXT) | instid1(VALU_DEP_1)
	v_ashrrev_i32_e32 v46, 31, v45
	v_lshlrev_b64_e32 v[45:46], 2, v[45:46]
	s_delay_alu instid0(VALU_DEP_1) | instskip(SKIP_1) | instid1(VALU_DEP_2)
	v_add_co_u32 v45, vcc_lo, s4, v45
	s_wait_alu 0xfffd
	v_add_co_ci_u32_e64 v46, null, s5, v46, vcc_lo
	global_load_b32 v45, v[45:46], off
	s_wait_loadcnt 0x0
	ds_store_b32 v42, v45 offset:576
	v_add_nc_u32_e32 v45, s43, v41
	s_delay_alu instid0(VALU_DEP_1) | instskip(NEXT) | instid1(VALU_DEP_1)
	v_ashrrev_i32_e32 v46, 31, v45
	v_lshlrev_b64_e32 v[45:46], 2, v[45:46]
	s_delay_alu instid0(VALU_DEP_1) | instskip(SKIP_1) | instid1(VALU_DEP_2)
	v_add_co_u32 v45, vcc_lo, s4, v45
	s_wait_alu 0xfffd
	v_add_co_ci_u32_e64 v46, null, s5, v46, vcc_lo
	global_load_b32 v45, v[45:46], off
	s_wait_loadcnt 0x0
	ds_store_b32 v42, v45 offset:720
	v_add_nc_u32_e32 v45, s44, v41
	s_delay_alu instid0(VALU_DEP_1) | instskip(NEXT) | instid1(VALU_DEP_1)
	v_ashrrev_i32_e32 v46, 31, v45
	v_lshlrev_b64_e32 v[45:46], 2, v[45:46]
	s_delay_alu instid0(VALU_DEP_1) | instskip(SKIP_1) | instid1(VALU_DEP_2)
	v_add_co_u32 v45, vcc_lo, s4, v45
	s_wait_alu 0xfffd
	v_add_co_ci_u32_e64 v46, null, s5, v46, vcc_lo
	global_load_b32 v45, v[45:46], off
	s_wait_loadcnt 0x0
	ds_store_b32 v42, v45 offset:864
	v_add_nc_u32_e32 v45, s45, v41
	s_delay_alu instid0(VALU_DEP_1) | instskip(NEXT) | instid1(VALU_DEP_1)
	v_ashrrev_i32_e32 v46, 31, v45
	v_lshlrev_b64_e32 v[45:46], 2, v[45:46]
	s_delay_alu instid0(VALU_DEP_1) | instskip(SKIP_1) | instid1(VALU_DEP_2)
	v_add_co_u32 v45, vcc_lo, s4, v45
	s_wait_alu 0xfffd
	v_add_co_ci_u32_e64 v46, null, s5, v46, vcc_lo
	global_load_b32 v45, v[45:46], off
	s_wait_loadcnt 0x0
	ds_store_b32 v42, v45 offset:1008
	v_add_nc_u32_e32 v45, s46, v41
	s_delay_alu instid0(VALU_DEP_1) | instskip(NEXT) | instid1(VALU_DEP_1)
	v_ashrrev_i32_e32 v46, 31, v45
	v_lshlrev_b64_e32 v[45:46], 2, v[45:46]
	s_delay_alu instid0(VALU_DEP_1) | instskip(SKIP_1) | instid1(VALU_DEP_2)
	v_add_co_u32 v45, vcc_lo, s4, v45
	s_wait_alu 0xfffd
	v_add_co_ci_u32_e64 v46, null, s5, v46, vcc_lo
	global_load_b32 v45, v[45:46], off
	s_wait_loadcnt 0x0
	ds_store_b32 v42, v45 offset:1152
	v_add_nc_u32_e32 v45, s47, v41
	s_delay_alu instid0(VALU_DEP_1) | instskip(NEXT) | instid1(VALU_DEP_1)
	v_ashrrev_i32_e32 v46, 31, v45
	v_lshlrev_b64_e32 v[45:46], 2, v[45:46]
	s_delay_alu instid0(VALU_DEP_1) | instskip(SKIP_1) | instid1(VALU_DEP_2)
	v_add_co_u32 v45, vcc_lo, s4, v45
	s_wait_alu 0xfffd
	v_add_co_ci_u32_e64 v46, null, s5, v46, vcc_lo
	global_load_b32 v45, v[45:46], off
	s_wait_loadcnt 0x0
	ds_store_b32 v42, v45 offset:1296
	v_add_nc_u32_e32 v45, s48, v41
	s_delay_alu instid0(VALU_DEP_1) | instskip(NEXT) | instid1(VALU_DEP_1)
	v_ashrrev_i32_e32 v46, 31, v45
	v_lshlrev_b64_e32 v[45:46], 2, v[45:46]
	s_delay_alu instid0(VALU_DEP_1) | instskip(SKIP_1) | instid1(VALU_DEP_2)
	v_add_co_u32 v45, vcc_lo, s4, v45
	s_wait_alu 0xfffd
	v_add_co_ci_u32_e64 v46, null, s5, v46, vcc_lo
	global_load_b32 v45, v[45:46], off
	s_wait_loadcnt 0x0
	ds_store_b32 v42, v45 offset:1440
	v_add_nc_u32_e32 v45, s49, v41
	s_delay_alu instid0(VALU_DEP_1) | instskip(NEXT) | instid1(VALU_DEP_1)
	v_ashrrev_i32_e32 v46, 31, v45
	v_lshlrev_b64_e32 v[45:46], 2, v[45:46]
	s_delay_alu instid0(VALU_DEP_1) | instskip(SKIP_1) | instid1(VALU_DEP_2)
	v_add_co_u32 v45, vcc_lo, s4, v45
	s_wait_alu 0xfffd
	v_add_co_ci_u32_e64 v46, null, s5, v46, vcc_lo
	global_load_b32 v45, v[45:46], off
	s_wait_loadcnt 0x0
	ds_store_b32 v42, v45 offset:1584
	v_add_nc_u32_e32 v45, s50, v41
	s_delay_alu instid0(VALU_DEP_1) | instskip(NEXT) | instid1(VALU_DEP_1)
	v_ashrrev_i32_e32 v46, 31, v45
	v_lshlrev_b64_e32 v[45:46], 2, v[45:46]
	s_delay_alu instid0(VALU_DEP_1) | instskip(SKIP_1) | instid1(VALU_DEP_2)
	v_add_co_u32 v45, vcc_lo, s4, v45
	s_wait_alu 0xfffd
	v_add_co_ci_u32_e64 v46, null, s5, v46, vcc_lo
	global_load_b32 v45, v[45:46], off
	s_wait_loadcnt 0x0
	ds_store_b32 v42, v45 offset:1728
	v_add_nc_u32_e32 v45, s51, v41
	s_delay_alu instid0(VALU_DEP_1) | instskip(NEXT) | instid1(VALU_DEP_1)
	v_ashrrev_i32_e32 v46, 31, v45
	v_lshlrev_b64_e32 v[45:46], 2, v[45:46]
	s_delay_alu instid0(VALU_DEP_1) | instskip(SKIP_1) | instid1(VALU_DEP_2)
	v_add_co_u32 v45, vcc_lo, s4, v45
	s_wait_alu 0xfffd
	v_add_co_ci_u32_e64 v46, null, s5, v46, vcc_lo
	global_load_b32 v45, v[45:46], off
	s_wait_loadcnt 0x0
	ds_store_b32 v42, v45 offset:1872
	v_add_nc_u32_e32 v45, s52, v41
	s_delay_alu instid0(VALU_DEP_1) | instskip(NEXT) | instid1(VALU_DEP_1)
	v_ashrrev_i32_e32 v46, 31, v45
	v_lshlrev_b64_e32 v[45:46], 2, v[45:46]
	s_delay_alu instid0(VALU_DEP_1) | instskip(SKIP_1) | instid1(VALU_DEP_2)
	v_add_co_u32 v45, vcc_lo, s4, v45
	s_wait_alu 0xfffd
	v_add_co_ci_u32_e64 v46, null, s5, v46, vcc_lo
	global_load_b32 v45, v[45:46], off
	s_wait_loadcnt 0x0
	ds_store_b32 v42, v45 offset:2016
	v_add_nc_u32_e32 v45, s16, v41
	s_delay_alu instid0(VALU_DEP_1) | instskip(NEXT) | instid1(VALU_DEP_1)
	v_ashrrev_i32_e32 v46, 31, v45
	v_lshlrev_b64_e32 v[45:46], 2, v[45:46]
	s_delay_alu instid0(VALU_DEP_1) | instskip(SKIP_1) | instid1(VALU_DEP_2)
	v_add_co_u32 v45, vcc_lo, s4, v45
	s_wait_alu 0xfffd
	v_add_co_ci_u32_e64 v46, null, s5, v46, vcc_lo
	global_load_b32 v45, v[45:46], off
	s_wait_loadcnt 0x0
	ds_store_b32 v42, v45 offset:2160
	ds_load_b128 v[45:48], v43
	ds_load_b128 v[49:52], v43 offset:32
	ds_load_b128 v[53:56], v43 offset:64
	;; [unrolled: 1-line block ×3, first 2 shown]
	global_load_b64 v[61:62], v[34:35], off
	s_wait_loadcnt 0x0
	v_bfe_u32 v63, v61, 16, 1
	v_or_b32_e32 v64, 0x400000, v61
	v_cmp_u_f32_e32 vcc_lo, v61, v61
	s_delay_alu instid0(VALU_DEP_3) | instskip(SKIP_1) | instid1(VALU_DEP_1)
	v_add3_u32 v63, v63, v61, 0x7fff
	s_wait_alu 0xfffd
	v_cndmask_b32_e32 v61, v63, v64, vcc_lo
	v_bfe_u32 v63, v62, 16, 1
	v_or_b32_e32 v64, 0x400000, v62
	v_cmp_u_f32_e32 vcc_lo, v62, v62
	s_delay_alu instid0(VALU_DEP_3) | instskip(SKIP_1) | instid1(VALU_DEP_1)
	v_add3_u32 v63, v63, v62, 0x7fff
	s_wait_alu 0xfffd
	v_cndmask_b32_e32 v62, v63, v64, vcc_lo
	s_delay_alu instid0(VALU_DEP_1)
	v_perm_b32 v61, v62, v61, 0x7060302
	ds_store_b32 v42, v61
	v_add_co_u32 v61, vcc_lo, v34, s14
	s_wait_alu 0xfffd
	v_add_co_ci_u32_e64 v62, null, s15, v35, vcc_lo
	global_load_b64 v[61:62], v[61:62], off
	s_wait_loadcnt 0x0
	v_bfe_u32 v63, v61, 16, 1
	v_or_b32_e32 v64, 0x400000, v61
	v_cmp_u_f32_e32 vcc_lo, v61, v61
	s_delay_alu instid0(VALU_DEP_3) | instskip(SKIP_1) | instid1(VALU_DEP_1)
	v_add3_u32 v63, v63, v61, 0x7fff
	s_wait_alu 0xfffd
	v_cndmask_b32_e32 v61, v63, v64, vcc_lo
	v_bfe_u32 v63, v62, 16, 1
	v_or_b32_e32 v64, 0x400000, v62
	v_cmp_u_f32_e32 vcc_lo, v62, v62
	s_delay_alu instid0(VALU_DEP_3) | instskip(SKIP_1) | instid1(VALU_DEP_1)
	v_add3_u32 v63, v63, v62, 0x7fff
	s_wait_alu 0xfffd
	v_cndmask_b32_e32 v62, v63, v64, vcc_lo
	s_delay_alu instid0(VALU_DEP_1) | instskip(SKIP_2) | instid1(VALU_DEP_1)
	v_perm_b32 v61, v62, v61, 0x7060302
	ds_store_b32 v42, v61 offset:144
	v_add_nc_u32_e32 v61, s23, v41
	v_ashrrev_i32_e32 v62, 31, v61
	s_delay_alu instid0(VALU_DEP_1) | instskip(NEXT) | instid1(VALU_DEP_1)
	v_lshlrev_b64_e32 v[61:62], 3, v[61:62]
	v_add_co_u32 v61, vcc_lo, s8, v61
	s_wait_alu 0xfffd
	s_delay_alu instid0(VALU_DEP_2)
	v_add_co_ci_u32_e64 v62, null, s9, v62, vcc_lo
	global_load_b64 v[61:62], v[61:62], off
	s_wait_loadcnt 0x0
	v_bfe_u32 v63, v61, 16, 1
	v_or_b32_e32 v64, 0x400000, v61
	v_cmp_u_f32_e32 vcc_lo, v61, v61
	s_delay_alu instid0(VALU_DEP_3) | instskip(SKIP_1) | instid1(VALU_DEP_1)
	v_add3_u32 v63, v63, v61, 0x7fff
	s_wait_alu 0xfffd
	v_cndmask_b32_e32 v61, v63, v64, vcc_lo
	v_bfe_u32 v63, v62, 16, 1
	v_or_b32_e32 v64, 0x400000, v62
	v_cmp_u_f32_e32 vcc_lo, v62, v62
	s_delay_alu instid0(VALU_DEP_3) | instskip(SKIP_1) | instid1(VALU_DEP_1)
	v_add3_u32 v63, v63, v62, 0x7fff
	s_wait_alu 0xfffd
	v_cndmask_b32_e32 v62, v63, v64, vcc_lo
	s_delay_alu instid0(VALU_DEP_1) | instskip(SKIP_3) | instid1(VALU_DEP_2)
	v_perm_b32 v61, v62, v61, 0x7060302
	ds_store_b32 v42, v61 offset:288
	v_add_nc_u32_e32 v61, s17, v41
	v_add_nc_u32_e32 v41, 0xa0, v41
	v_ashrrev_i32_e32 v62, 31, v61
	s_delay_alu instid0(VALU_DEP_1) | instskip(NEXT) | instid1(VALU_DEP_1)
	v_lshlrev_b64_e32 v[61:62], 3, v[61:62]
	v_add_co_u32 v61, vcc_lo, s8, v61
	s_wait_alu 0xfffd
	s_delay_alu instid0(VALU_DEP_2)
	v_add_co_ci_u32_e64 v62, null, s9, v62, vcc_lo
	global_load_b64 v[61:62], v[61:62], off
	s_wait_loadcnt 0x0
	v_bfe_u32 v63, v61, 16, 1
	v_or_b32_e32 v64, 0x400000, v61
	v_cmp_u_f32_e32 vcc_lo, v61, v61
	s_delay_alu instid0(VALU_DEP_3) | instskip(SKIP_1) | instid1(VALU_DEP_1)
	v_add3_u32 v63, v63, v61, 0x7fff
	s_wait_alu 0xfffd
	v_cndmask_b32_e32 v61, v63, v64, vcc_lo
	v_bfe_u32 v63, v62, 16, 1
	v_or_b32_e32 v64, 0x400000, v62
	v_cmp_u_f32_e32 vcc_lo, v62, v62
	s_delay_alu instid0(VALU_DEP_3) | instskip(SKIP_1) | instid1(VALU_DEP_1)
	v_add3_u32 v63, v63, v62, 0x7fff
	s_wait_alu 0xfffd
	v_cndmask_b32_e32 v62, v63, v64, vcc_lo
	v_add_co_u32 v32, vcc_lo, 0x280, v32
	s_wait_alu 0xfffd
	v_add_co_ci_u32_e64 v33, null, 0, v33, vcc_lo
	s_delay_alu instid0(VALU_DEP_3)
	v_perm_b32 v61, v62, v61, 0x7060302
	ds_store_b32 v42, v61 offset:432
	ds_store_b32 v42, v44 offset:576
	ds_store_b32 v42, v44 offset:720
	ds_store_b32 v42, v44 offset:864
	ds_store_b32 v42, v44 offset:1008
	ds_store_b32 v42, v44 offset:1152
	ds_store_b32 v42, v44 offset:1296
	ds_store_b32 v42, v44 offset:1440
	ds_store_b32 v42, v44 offset:1584
	ds_store_b32 v42, v44 offset:1728
	ds_store_b32 v42, v44 offset:1872
	ds_store_b32 v42, v44 offset:2016
	ds_store_b32 v42, v44 offset:2160
	ds_load_b128 v[61:64], v43
	ds_load_b128 v[65:68], v43 offset:32
	v_add_co_u32 v34, vcc_lo, 0x500, v34
	s_wait_alu 0xfffd
	v_add_co_ci_u32_e64 v35, null, 0, v35, vcc_lo
	v_cmp_le_i32_e32 vcc_lo, s21, v41
	s_or_b32 s6, vcc_lo, s6
	s_wait_dscnt 0x1
	v_wmma_f32_16x16x16_bf16 v[8:15], v[28:31], v[61:64], v[8:15]
	v_wmma_f32_16x16x16_bf16 v[0:7], v[45:48], v[61:64], v[0:7]
	s_wait_dscnt 0x0
	s_delay_alu instid0(VALU_DEP_2)
	v_wmma_f32_16x16x16_bf16 v[8:15], v[24:27], v[65:68], v[8:15]
	ds_load_b128 v[24:27], v43 offset:64
	v_wmma_f32_16x16x16_bf16 v[0:7], v[49:52], v[65:68], v[0:7]
	s_wait_dscnt 0x0
	v_wmma_f32_16x16x16_bf16 v[8:15], v[20:23], v[24:27], v[8:15]
	ds_load_b128 v[20:23], v43 offset:96
	v_wmma_f32_16x16x16_bf16 v[0:7], v[53:56], v[24:27], v[0:7]
	s_wait_dscnt 0x0
	v_wmma_f32_16x16x16_bf16 v[8:15], v[16:19], v[20:23], v[8:15]
	s_delay_alu instid0(VALU_DEP_2)
	v_wmma_f32_16x16x16_bf16 v[0:7], v[57:60], v[20:23], v[0:7]
	s_and_not1_b32 exec_lo, exec_lo, s6
	s_cbranch_execnz .LBB65_4
; %bb.5:
	s_or_b32 exec_lo, exec_lo, s6
.LBB65_6:
	s_delay_alu instid0(SALU_CYCLE_1)
	s_or_b32 exec_lo, exec_lo, s22
	s_load_b64 s[0:1], s[0:1], 0x18
	v_lshlrev_b32_e32 v16, 1, v36
	v_lshl_add_u32 v17, v39, 2, 0
	v_mul_u32_u24_e32 v18, 0x290, v40
	s_barrier_signal -1
	s_delay_alu instid0(VALU_DEP_3)
	v_and_b32_e32 v16, 0x7e0, v16
	s_barrier_wait -1
	global_inv scope:SCOPE_SE
	s_mov_b32 s4, exec_lo
	v_add3_u32 v16, v17, v18, v16
	ds_store_2addr_b32 v16, v8, v9 offset1:1
	ds_store_2addr_b32 v16, v10, v11 offset0:2 offset1:3
	ds_store_2addr_b32 v16, v12, v13 offset0:4 offset1:5
	;; [unrolled: 1-line block ×7, first 2 shown]
	s_wait_loadcnt_dscnt 0x0
	s_barrier_signal -1
	s_barrier_wait -1
	global_inv scope:SCOPE_SE
	v_cmpx_gt_u32_e32 4, v37
	s_cbranch_execz .LBB65_8
; %bb.7:
	v_mul_u32_u24_e32 v0, 0x290, v37
	s_wait_kmcnt 0x0
	v_mul_lo_u32 v5, v37, s18
	s_ashr_i32 s5, s11, 31
	s_mov_b32 s4, s11
	s_mul_i32 s6, s7, s19
	v_add3_u32 v4, 0, v38, v0
	s_wait_alu 0xfffe
	s_mul_u64 s[2:3], s[4:5], s[2:3]
	s_ashr_i32 s7, s6, 31
	s_wait_alu 0xfffe
	s_lshl_b64 s[2:3], s[2:3], 2
	s_lshl_b64 s[4:5], s[6:7], 2
	ds_load_2addr_b32 v[0:1], v4 offset1:32
	ds_load_2addr_b32 v[2:3], v4 offset0:64 offset1:96
	ds_load_b32 v4, v4 offset:512
	s_wait_alu 0xfffe
	s_add_nc_u64 s[0:1], s[0:1], s[2:3]
	s_delay_alu instid0(SALU_CYCLE_1) | instskip(SKIP_2) | instid1(VALU_DEP_1)
	s_add_nc_u64 s[0:1], s[0:1], s[4:5]
	s_wait_dscnt 0x2
	v_add_f32_e32 v0, 0, v0
	v_dual_add_f32 v0, v0, v1 :: v_dual_mov_b32 v1, 0
	s_wait_dscnt 0x1
	s_delay_alu instid0(VALU_DEP_1) | instskip(SKIP_1) | instid1(VALU_DEP_2)
	v_add_f32_e32 v2, v0, v2
	v_add3_u32 v0, s20, v36, v5
	v_add_f32_e32 v2, v2, v3
	s_delay_alu instid0(VALU_DEP_2) | instskip(SKIP_1) | instid1(VALU_DEP_2)
	v_lshlrev_b64_e32 v[0:1], 2, v[0:1]
	s_wait_dscnt 0x0
	v_add_f32_e32 v2, v2, v4
	s_delay_alu instid0(VALU_DEP_2) | instskip(SKIP_1) | instid1(VALU_DEP_3)
	v_add_co_u32 v0, vcc_lo, s0, v0
	s_wait_alu 0xfffd
	v_add_co_ci_u32_e64 v1, null, s1, v1, vcc_lo
	global_store_b32 v[0:1], v2, off
.LBB65_8:
	s_endpgm
	.section	.rodata,"a",@progbits
	.p2align	6, 0x0
	.amdhsa_kernel _ZL9mul_mat_fI15__hip_bfloat162Li32ELi4ELi5ELb0EEvPKT_PKfPKiPfiiiiiiiiiiiiiiii
		.amdhsa_group_segment_fixed_size 0
		.amdhsa_private_segment_fixed_size 0
		.amdhsa_kernarg_size 96
		.amdhsa_user_sgpr_count 2
		.amdhsa_user_sgpr_dispatch_ptr 0
		.amdhsa_user_sgpr_queue_ptr 0
		.amdhsa_user_sgpr_kernarg_segment_ptr 1
		.amdhsa_user_sgpr_dispatch_id 0
		.amdhsa_user_sgpr_private_segment_size 0
		.amdhsa_wavefront_size32 1
		.amdhsa_uses_dynamic_stack 0
		.amdhsa_enable_private_segment 0
		.amdhsa_system_sgpr_workgroup_id_x 1
		.amdhsa_system_sgpr_workgroup_id_y 1
		.amdhsa_system_sgpr_workgroup_id_z 1
		.amdhsa_system_sgpr_workgroup_info 0
		.amdhsa_system_vgpr_workitem_id 1
		.amdhsa_next_free_vgpr 69
		.amdhsa_next_free_sgpr 68
		.amdhsa_reserve_vcc 1
		.amdhsa_float_round_mode_32 0
		.amdhsa_float_round_mode_16_64 0
		.amdhsa_float_denorm_mode_32 3
		.amdhsa_float_denorm_mode_16_64 3
		.amdhsa_fp16_overflow 0
		.amdhsa_workgroup_processor_mode 1
		.amdhsa_memory_ordered 1
		.amdhsa_forward_progress 1
		.amdhsa_inst_pref_size 34
		.amdhsa_round_robin_scheduling 0
		.amdhsa_exception_fp_ieee_invalid_op 0
		.amdhsa_exception_fp_denorm_src 0
		.amdhsa_exception_fp_ieee_div_zero 0
		.amdhsa_exception_fp_ieee_overflow 0
		.amdhsa_exception_fp_ieee_underflow 0
		.amdhsa_exception_fp_ieee_inexact 0
		.amdhsa_exception_int_div_zero 0
	.end_amdhsa_kernel
	.section	.text._ZL9mul_mat_fI15__hip_bfloat162Li32ELi4ELi5ELb0EEvPKT_PKfPKiPfiiiiiiiiiiiiiiii,"axG",@progbits,_ZL9mul_mat_fI15__hip_bfloat162Li32ELi4ELi5ELb0EEvPKT_PKfPKiPfiiiiiiiiiiiiiiii,comdat
.Lfunc_end65:
	.size	_ZL9mul_mat_fI15__hip_bfloat162Li32ELi4ELi5ELb0EEvPKT_PKfPKiPfiiiiiiiiiiiiiiii, .Lfunc_end65-_ZL9mul_mat_fI15__hip_bfloat162Li32ELi4ELi5ELb0EEvPKT_PKfPKiPfiiiiiiiiiiiiiiii
                                        ; -- End function
	.set _ZL9mul_mat_fI15__hip_bfloat162Li32ELi4ELi5ELb0EEvPKT_PKfPKiPfiiiiiiiiiiiiiiii.num_vgpr, 69
	.set _ZL9mul_mat_fI15__hip_bfloat162Li32ELi4ELi5ELb0EEvPKT_PKfPKiPfiiiiiiiiiiiiiiii.num_agpr, 0
	.set _ZL9mul_mat_fI15__hip_bfloat162Li32ELi4ELi5ELb0EEvPKT_PKfPKiPfiiiiiiiiiiiiiiii.numbered_sgpr, 68
	.set _ZL9mul_mat_fI15__hip_bfloat162Li32ELi4ELi5ELb0EEvPKT_PKfPKiPfiiiiiiiiiiiiiiii.num_named_barrier, 0
	.set _ZL9mul_mat_fI15__hip_bfloat162Li32ELi4ELi5ELb0EEvPKT_PKfPKiPfiiiiiiiiiiiiiiii.private_seg_size, 0
	.set _ZL9mul_mat_fI15__hip_bfloat162Li32ELi4ELi5ELb0EEvPKT_PKfPKiPfiiiiiiiiiiiiiiii.uses_vcc, 1
	.set _ZL9mul_mat_fI15__hip_bfloat162Li32ELi4ELi5ELb0EEvPKT_PKfPKiPfiiiiiiiiiiiiiiii.uses_flat_scratch, 0
	.set _ZL9mul_mat_fI15__hip_bfloat162Li32ELi4ELi5ELb0EEvPKT_PKfPKiPfiiiiiiiiiiiiiiii.has_dyn_sized_stack, 0
	.set _ZL9mul_mat_fI15__hip_bfloat162Li32ELi4ELi5ELb0EEvPKT_PKfPKiPfiiiiiiiiiiiiiiii.has_recursion, 0
	.set _ZL9mul_mat_fI15__hip_bfloat162Li32ELi4ELi5ELb0EEvPKT_PKfPKiPfiiiiiiiiiiiiiiii.has_indirect_call, 0
	.section	.AMDGPU.csdata,"",@progbits
; Kernel info:
; codeLenInByte = 4268
; TotalNumSgprs: 70
; NumVgprs: 69
; ScratchSize: 0
; MemoryBound: 0
; FloatMode: 240
; IeeeMode: 1
; LDSByteSize: 0 bytes/workgroup (compile time only)
; SGPRBlocks: 0
; VGPRBlocks: 8
; NumSGPRsForWavesPerEU: 70
; NumVGPRsForWavesPerEU: 69
; Occupancy: 16
; WaveLimiterHint : 0
; COMPUTE_PGM_RSRC2:SCRATCH_EN: 0
; COMPUTE_PGM_RSRC2:USER_SGPR: 2
; COMPUTE_PGM_RSRC2:TRAP_HANDLER: 0
; COMPUTE_PGM_RSRC2:TGID_X_EN: 1
; COMPUTE_PGM_RSRC2:TGID_Y_EN: 1
; COMPUTE_PGM_RSRC2:TGID_Z_EN: 1
; COMPUTE_PGM_RSRC2:TIDIG_COMP_CNT: 1
	.section	.text._ZL13mul_mat_f_idsI15__hip_bfloat162Li32ELi4ELi6EEvPKT_PKfPKiS7_S7_Pfiiiiiiiiiiiiii15HIP_vector_typeIjLj3EESA_,"axG",@progbits,_ZL13mul_mat_f_idsI15__hip_bfloat162Li32ELi4ELi6EEvPKT_PKfPKiS7_S7_Pfiiiiiiiiiiiiii15HIP_vector_typeIjLj3EESA_,comdat
	.globl	_ZL13mul_mat_f_idsI15__hip_bfloat162Li32ELi4ELi6EEvPKT_PKfPKiS7_S7_Pfiiiiiiiiiiiiii15HIP_vector_typeIjLj3EESA_ ; -- Begin function _ZL13mul_mat_f_idsI15__hip_bfloat162Li32ELi4ELi6EEvPKT_PKfPKiS7_S7_Pfiiiiiiiiiiiiii15HIP_vector_typeIjLj3EESA_
	.p2align	8
	.type	_ZL13mul_mat_f_idsI15__hip_bfloat162Li32ELi4ELi6EEvPKT_PKfPKiS7_S7_Pfiiiiiiiiiiiiii15HIP_vector_typeIjLj3EESA_,@function
_ZL13mul_mat_f_idsI15__hip_bfloat162Li32ELi4ELi6EEvPKT_PKfPKiS7_S7_Pfiiiiiiiiiiiiii15HIP_vector_typeIjLj3EESA_: ; @_ZL13mul_mat_f_idsI15__hip_bfloat162Li32ELi4ELi6EEvPKT_PKfPKiS7_S7_Pfiiiiiiiiiiiiii15HIP_vector_typeIjLj3EESA_
; %bb.0:
	s_load_b64 s[4:5], s[0:1], 0x20
	s_and_b32 s2, ttmp7, 0xffff
	s_delay_alu instid0(SALU_CYCLE_1) | instskip(SKIP_4) | instid1(SALU_CYCLE_1)
	s_lshl_b32 s3, s2, 2
	s_wait_kmcnt 0x0
	s_load_b64 s[24:25], s[4:5], s3 offset:0x0
	s_wait_kmcnt 0x0
	s_sub_co_i32 s19, s25, s24
	s_add_co_i32 s3, s19, 3
	s_delay_alu instid0(SALU_CYCLE_1) | instskip(NEXT) | instid1(SALU_CYCLE_1)
	s_ashr_i32 s4, s3, 31
	s_lshr_b32 s4, s4, 30
	s_delay_alu instid0(SALU_CYCLE_1) | instskip(NEXT) | instid1(SALU_CYCLE_1)
	s_add_co_i32 s3, s3, s4
	s_ashr_i32 s4, s3, 2
	s_lshr_b32 s3, ttmp7, 16
	s_delay_alu instid0(SALU_CYCLE_1)
	s_cmp_ge_i32 s3, s4
	s_cbranch_scc1 .LBB66_23
; %bb.1:
	s_clause 0x3
	s_load_b128 s[4:7], s[0:1], 0x30
	s_load_b64 s[20:21], s[0:1], 0x40
	s_load_b128 s[8:11], s[0:1], 0x68
	s_load_b64 s[22:23], s[0:1], 0x78
	v_bfe_u32 v52, v0, 10, 10
	v_and_b32_e32 v51, 0x3ff, v0
	s_ashr_i32 s25, s24, 31
	s_mov_b32 s12, exec_lo
	s_delay_alu instid0(VALU_DEP_2) | instskip(NEXT) | instid1(VALU_DEP_2)
	v_lshlrev_b32_e32 v53, 5, v52
	v_and_b32_e32 v54, 15, v51
	s_delay_alu instid0(VALU_DEP_2) | instskip(SKIP_1) | instid1(VALU_DEP_1)
	v_add_nc_u32_e32 v48, v53, v51
	s_wait_kmcnt 0x0
	v_cmpx_le_i32_e64 s4, v48
	s_xor_b32 s12, exec_lo, s12
; %bb.2:
	v_and_b32_e32 v54, 15, v51
                                        ; implicit-def: $vgpr48
; %bb.3:
	s_or_saveexec_b32 s37, s12
	s_clause 0x1
	s_load_b64 s[26:27], s[0:1], 0x28
	s_load_b96 s[16:18], s[0:1], 0x4c
	v_mov_b32_e32 v7, 0
	s_lshl_b32 s33, ttmp9, 5
	s_lshl_b32 s36, s3, 2
	s_delay_alu instid0(VALU_DEP_1)
	v_dual_mov_b32 v6, v7 :: v_dual_mov_b32 v5, v7
	v_dual_mov_b32 v4, v7 :: v_dual_mov_b32 v3, v7
	;; [unrolled: 1-line block ×7, first 2 shown]
	v_mov_b32_e32 v8, v7
	s_xor_b32 exec_lo, exec_lo, s37
	s_cbranch_execz .LBB66_19
; %bb.4:
	s_clause 0x1
	s_load_b128 s[12:15], s[0:1], 0x0
	s_load_b64 s[28:29], s[0:1], 0x10
	s_wait_kmcnt 0x0
	s_mul_i32 s30, s16, s2
	s_mul_i32 s34, s7, s33
	s_ashr_i32 s31, s30, 31
	s_ashr_i32 s35, s34, 31
	s_lshl_b64 s[38:39], s[24:25], 2
	s_lshl_b64 s[68:69], s[30:31], 2
	;; [unrolled: 1-line block ×3, first 2 shown]
	s_cmp_lt_i32 s36, s19
	v_mad_u32_u24 v0, 0x900, v52, 0
	v_dual_mov_b32 v8, 0 :: v_dual_lshlrev_b32 v1, 2, v51
	v_mul_u32_u24_e32 v2, 0x90, v54
	s_cselect_b32 s16, -1, 0
	s_or_b32 s30, s36, 1
	v_mov_b32_e32 v57, 0
	v_and_b32_e32 v3, 0x3f0, v51
	s_lshl_b32 s2, s36, 2
	s_cmp_lt_i32 s30, s19
	s_add_nc_u64 s[30:31], s[12:13], s[68:69]
	s_add_nc_u64 s[34:35], s[28:29], s[38:39]
	s_add_nc_u64 s[28:29], s[30:31], s[70:71]
	s_cselect_b32 s38, -1, 0
	s_or_b32 s30, s36, 2
	v_dual_mov_b32 v10, v57 :: v_dual_add_nc_u32 v55, v0, v1
	v_add3_u32 v56, v0, v2, v3
	v_dual_mov_b32 v9, v57 :: v_dual_lshlrev_b32 v0, 7, v52
	s_mov_b32 s3, 0
	s_cmp_lt_i32 s30, s19
	s_add_nc_u64 s[30:31], s[34:35], s[2:3]
	s_cselect_b32 s39, -1, 0
	s_or_b32 s2, s36, 3
	s_add_nc_u64 s[68:69], s[68:69], s[70:71]
	s_cmp_lt_i32 s2, s19
	v_add_co_u32 v0, s2, s68, v0
	s_delay_alu instid0(VALU_DEP_1) | instskip(SKIP_2) | instid1(VALU_DEP_1)
	v_add_co_ci_u32_e64 v2, null, s69, 0, s2
	s_mov_b32 s34, s8
	v_add_co_u32 v0, vcc_lo, v0, v1
	v_add_co_ci_u32_e64 v1, null, 0, v2, vcc_lo
	s_cselect_b32 s8, -1, 0
	v_add_co_u32 v49, vcc_lo, s12, v0
	s_wait_alu 0xfffd
	v_add_co_ci_u32_e64 v50, null, s13, v1, vcc_lo
	v_dual_mov_b32 v0, 0 :: v_dual_mov_b32 v11, v57
	v_mov_b32_e32 v14, v57
	v_dual_mov_b32 v12, v57 :: v_dual_mov_b32 v13, v57
	v_dual_mov_b32 v2, v57 :: v_dual_mov_b32 v15, v57
	;; [unrolled: 1-line block ×4, first 2 shown]
	v_mov_b32_e32 v5, v57
	v_mov_b32_e32 v7, v57
	s_ashr_i32 s73, s7, 31
	s_mov_b32 s72, s7
	s_mov_b32 s35, s3
	s_add_co_i32 s40, s7, s7
	s_mul_i32 s41, s7, 3
	s_lshl_b32 s42, s7, 2
	s_mul_i32 s43, s7, 5
	s_mul_i32 s44, s7, 6
	s_mul_i32 s45, s7, 7
	s_lshl_b32 s46, s7, 3
	s_mul_i32 s47, s7, 9
	s_mul_i32 s48, s7, 10
	;; [unrolled: 1-line block ×7, first 2 shown]
	s_lshl_b32 s54, s7, 4
	s_mul_i32 s55, s7, 17
	s_mul_i32 s56, s7, 18
	s_mul_i32 s57, s7, 19
	s_mul_i32 s58, s7, 20
	s_mul_i32 s59, s7, 21
	s_mul_i32 s60, s7, 22
	s_mul_i32 s61, s7, 23
	s_mul_i32 s62, s7, 24
	s_mul_i32 s63, s7, 25
	s_mul_i32 s64, s7, 26
	s_mul_i32 s65, s7, 27
	s_mul_i32 s66, s7, 28
	s_mul_i32 s67, s7, 29
	s_mul_i32 s68, s7, 30
	s_mul_i32 s7, s7, 31
	s_lshl_b64 s[12:13], s[72:73], 2
	s_mov_b32 s69, 0
	s_branch .LBB66_6
.LBB66_5:                               ;   in Loop: Header=BB66_6 Depth=1
	v_perm_b32 v58, v58, v59, 0x5040100
	v_perm_b32 v59, v61, v62, 0x5040100
	;; [unrolled: 1-line block ×4, first 2 shown]
	v_add_nc_u32_e32 v62, 0x400, v55
	ds_store_2addr_b32 v55, v58, v59 offset1:36
	ds_store_2addr_b32 v55, v60, v61 offset0:72 offset1:108
	ds_store_2addr_b32 v55, v57, v57 offset0:144 offset1:180
	v_add_nc_u32_e32 v58, 0x600, v55
	ds_store_2addr_b32 v55, v57, v57 offset0:216 offset1:252
	ds_store_2addr_b32 v62, v57, v57 offset0:32 offset1:68
	;; [unrolled: 1-line block ×5, first 2 shown]
	ds_load_b128 v[58:61], v56
	ds_load_b128 v[62:65], v56 offset:32
	ds_load_b128 v[66:69], v56 offset:64
	;; [unrolled: 1-line block ×3, first 2 shown]
	v_add_nc_u32_e32 v48, 0xc0, v48
	v_add_co_u32 v49, s2, 0x300, v49
	s_wait_alu 0xf1ff
	v_add_co_ci_u32_e64 v50, null, 0, v50, s2
	s_delay_alu instid0(VALU_DEP_3)
	v_cmp_le_i32_e32 vcc_lo, s4, v48
	s_or_b32 s69, vcc_lo, s69
	s_wait_dscnt 0x3
	v_wmma_f32_16x16x16_bf16 v[8:15], v[32:35], v[58:61], v[8:15]
	v_wmma_f32_16x16x16_bf16 v[0:7], v[44:47], v[58:61], v[0:7]
	s_wait_dscnt 0x2
	s_delay_alu instid0(VALU_DEP_2) | instskip(NEXT) | instid1(VALU_DEP_2)
	v_wmma_f32_16x16x16_bf16 v[8:15], v[28:31], v[62:65], v[8:15]
	v_wmma_f32_16x16x16_bf16 v[0:7], v[40:43], v[62:65], v[0:7]
	s_wait_dscnt 0x1
	s_delay_alu instid0(VALU_DEP_2) | instskip(NEXT) | instid1(VALU_DEP_2)
	;; [unrolled: 4-line block ×3, first 2 shown]
	v_wmma_f32_16x16x16_bf16 v[8:15], v[16:19], v[70:73], v[8:15]
	v_wmma_f32_16x16x16_bf16 v[0:7], v[20:23], v[70:73], v[0:7]
	s_wait_alu 0xfffe
	s_and_not1_b32 exec_lo, exec_lo, s69
	s_cbranch_execz .LBB66_18
.LBB66_6:                               ; =>This Inner Loop Header: Depth=1
	v_add_nc_u32_e32 v22, s42, v48
	v_add_nc_u32_e32 v16, s40, v48
	s_wait_alu 0xfffe
	v_add_co_u32 v20, vcc_lo, v49, s12
	v_add_nc_u32_e32 v18, s41, v48
	s_wait_alu 0xfffd
	v_add_co_ci_u32_e64 v21, null, s13, v50, vcc_lo
	v_ashrrev_i32_e32 v23, 31, v22
	v_ashrrev_i32_e32 v17, 31, v16
	v_add_nc_u32_e32 v24, s43, v48
	v_ashrrev_i32_e32 v19, 31, v18
	s_clause 0x1
	global_load_b32 v38, v[49:50], off
	global_load_b32 v39, v[20:21], off
	v_lshlrev_b64_e32 v[20:21], 2, v[22:23]
	v_add_nc_u32_e32 v22, s44, v48
	v_lshlrev_b64_e32 v[16:17], 2, v[16:17]
	v_add_nc_u32_e32 v26, s45, v48
	v_ashrrev_i32_e32 v25, 31, v24
	v_lshlrev_b64_e32 v[18:19], 2, v[18:19]
	v_add_nc_u32_e32 v28, s46, v48
	v_ashrrev_i32_e32 v23, 31, v22
	v_add_nc_u32_e32 v30, s47, v48
	v_ashrrev_i32_e32 v27, 31, v26
	v_add_co_u32 v16, vcc_lo, s28, v16
	v_lshlrev_b64_e32 v[24:25], 2, v[24:25]
	v_ashrrev_i32_e32 v29, 31, v28
	s_wait_alu 0xfffd
	v_add_co_ci_u32_e64 v17, null, s29, v17, vcc_lo
	v_add_co_u32 v18, vcc_lo, s28, v18
	v_lshlrev_b64_e32 v[22:23], 2, v[22:23]
	v_ashrrev_i32_e32 v31, 31, v30
	s_wait_alu 0xfffd
	v_add_co_ci_u32_e64 v19, null, s29, v19, vcc_lo
	v_add_co_u32 v20, vcc_lo, s28, v20
	v_lshlrev_b64_e32 v[26:27], 2, v[26:27]
	s_wait_alu 0xfffd
	v_add_co_ci_u32_e64 v21, null, s29, v21, vcc_lo
	v_add_co_u32 v24, vcc_lo, s28, v24
	v_lshlrev_b64_e32 v[28:29], 2, v[28:29]
	;; [unrolled: 4-line block ×3, first 2 shown]
	s_wait_alu 0xfffd
	v_add_co_ci_u32_e64 v23, null, s29, v23, vcc_lo
	v_add_co_u32 v26, vcc_lo, s28, v26
	v_add_nc_u32_e32 v32, s48, v48
	s_wait_alu 0xfffd
	v_add_co_ci_u32_e64 v27, null, s29, v27, vcc_lo
	v_add_co_u32 v28, vcc_lo, s28, v28
	v_add_nc_u32_e32 v34, s49, v48
	s_wait_alu 0xfffd
	v_add_co_ci_u32_e64 v29, null, s29, v29, vcc_lo
	v_add_co_u32 v30, vcc_lo, s28, v30
	v_add_nc_u32_e32 v36, s50, v48
	v_ashrrev_i32_e32 v33, 31, v32
	s_wait_alu 0xfffd
	v_add_co_ci_u32_e64 v31, null, s29, v31, vcc_lo
	s_clause 0x7
	global_load_b32 v40, v[16:17], off
	global_load_b32 v41, v[18:19], off
	;; [unrolled: 1-line block ×8, first 2 shown]
	v_add_nc_u32_e32 v18, s51, v48
	v_ashrrev_i32_e32 v35, 31, v34
	v_add_nc_u32_e32 v24, s52, v48
	v_ashrrev_i32_e32 v37, 31, v36
	v_lshlrev_b64_e32 v[32:33], 2, v[32:33]
	v_add_nc_u32_e32 v26, s53, v48
	v_ashrrev_i32_e32 v19, 31, v18
	v_lshlrev_b64_e32 v[16:17], 2, v[34:35]
	;; [unrolled: 3-line block ×3, first 2 shown]
	v_add_nc_u32_e32 v30, s55, v48
	v_ashrrev_i32_e32 v27, 31, v26
	v_add_co_u32 v20, vcc_lo, s28, v32
	v_lshlrev_b64_e32 v[18:19], 2, v[18:19]
	v_ashrrev_i32_e32 v29, 31, v28
	s_wait_alu 0xfffd
	v_add_co_ci_u32_e64 v21, null, s29, v33, vcc_lo
	v_add_co_u32 v16, vcc_lo, s28, v16
	v_lshlrev_b64_e32 v[24:25], 2, v[24:25]
	v_ashrrev_i32_e32 v31, 31, v30
	s_wait_alu 0xfffd
	v_add_co_ci_u32_e64 v17, null, s29, v17, vcc_lo
	v_add_co_u32 v22, vcc_lo, s28, v22
	v_lshlrev_b64_e32 v[26:27], 2, v[26:27]
	s_wait_alu 0xfffd
	v_add_co_ci_u32_e64 v23, null, s29, v23, vcc_lo
	v_add_co_u32 v18, vcc_lo, s28, v18
	v_lshlrev_b64_e32 v[28:29], 2, v[28:29]
	;; [unrolled: 4-line block ×3, first 2 shown]
	s_wait_alu 0xfffd
	v_add_co_ci_u32_e64 v25, null, s29, v25, vcc_lo
	v_add_co_u32 v26, vcc_lo, s28, v26
	v_add_nc_u32_e32 v32, s56, v48
	s_wait_alu 0xfffd
	v_add_co_ci_u32_e64 v27, null, s29, v27, vcc_lo
	v_add_co_u32 v28, vcc_lo, s28, v28
	v_add_nc_u32_e32 v34, s57, v48
	;; [unrolled: 4-line block ×3, first 2 shown]
	v_ashrrev_i32_e32 v33, 31, v32
	s_wait_alu 0xfffd
	v_add_co_ci_u32_e64 v31, null, s29, v31, vcc_lo
	s_clause 0x7
	global_load_b32 v58, v[20:21], off
	global_load_b32 v59, v[16:17], off
	;; [unrolled: 1-line block ×8, first 2 shown]
	v_add_nc_u32_e32 v18, s59, v48
	v_ashrrev_i32_e32 v35, 31, v34
	v_add_nc_u32_e32 v24, s60, v48
	v_ashrrev_i32_e32 v37, 31, v36
	v_lshlrev_b64_e32 v[32:33], 2, v[32:33]
	v_add_nc_u32_e32 v26, s61, v48
	v_ashrrev_i32_e32 v19, 31, v18
	v_lshlrev_b64_e32 v[16:17], 2, v[34:35]
	v_add_nc_u32_e32 v28, s62, v48
	v_ashrrev_i32_e32 v25, 31, v24
	v_lshlrev_b64_e32 v[22:23], 2, v[36:37]
	v_add_nc_u32_e32 v30, s63, v48
	v_ashrrev_i32_e32 v27, 31, v26
	v_add_co_u32 v20, vcc_lo, s28, v32
	v_lshlrev_b64_e32 v[18:19], 2, v[18:19]
	v_ashrrev_i32_e32 v29, 31, v28
	s_wait_alu 0xfffd
	v_add_co_ci_u32_e64 v21, null, s29, v33, vcc_lo
	v_add_co_u32 v16, vcc_lo, s28, v16
	v_lshlrev_b64_e32 v[24:25], 2, v[24:25]
	v_ashrrev_i32_e32 v31, 31, v30
	s_wait_alu 0xfffd
	v_add_co_ci_u32_e64 v17, null, s29, v17, vcc_lo
	v_add_co_u32 v22, vcc_lo, s28, v22
	v_lshlrev_b64_e32 v[26:27], 2, v[26:27]
	s_wait_alu 0xfffd
	v_add_co_ci_u32_e64 v23, null, s29, v23, vcc_lo
	v_add_co_u32 v18, vcc_lo, s28, v18
	v_lshlrev_b64_e32 v[28:29], 2, v[28:29]
	;; [unrolled: 4-line block ×3, first 2 shown]
	s_wait_alu 0xfffd
	v_add_co_ci_u32_e64 v25, null, s29, v25, vcc_lo
	v_add_co_u32 v26, vcc_lo, s28, v26
	v_add_nc_u32_e32 v32, s64, v48
	s_wait_alu 0xfffd
	v_add_co_ci_u32_e64 v27, null, s29, v27, vcc_lo
	v_add_co_u32 v28, vcc_lo, s28, v28
	v_add_nc_u32_e32 v34, s65, v48
	;; [unrolled: 4-line block ×3, first 2 shown]
	v_ashrrev_i32_e32 v33, 31, v32
	s_wait_alu 0xfffd
	v_add_co_ci_u32_e64 v31, null, s29, v31, vcc_lo
	s_clause 0x7
	global_load_b32 v66, v[20:21], off
	global_load_b32 v67, v[16:17], off
	;; [unrolled: 1-line block ×8, first 2 shown]
	v_add_nc_u32_e32 v18, s67, v48
	v_ashrrev_i32_e32 v35, 31, v34
	v_add_nc_u32_e32 v24, s68, v48
	v_ashrrev_i32_e32 v37, 31, v36
	v_lshlrev_b64_e32 v[32:33], 2, v[32:33]
	v_add_nc_u32_e32 v26, s7, v48
	v_ashrrev_i32_e32 v19, 31, v18
	v_lshlrev_b64_e32 v[16:17], 2, v[34:35]
	v_ashrrev_i32_e32 v25, 31, v24
	v_lshlrev_b64_e32 v[22:23], 2, v[36:37]
	v_ashrrev_i32_e32 v27, 31, v26
	v_add_co_u32 v20, vcc_lo, s28, v32
	v_lshlrev_b64_e32 v[18:19], 2, v[18:19]
	s_wait_alu 0xfffd
	v_add_co_ci_u32_e64 v21, null, s29, v33, vcc_lo
	v_add_co_u32 v16, vcc_lo, s28, v16
	v_lshlrev_b64_e32 v[24:25], 2, v[24:25]
	s_wait_alu 0xfffd
	v_add_co_ci_u32_e64 v17, null, s29, v17, vcc_lo
	;; [unrolled: 4-line block ×3, first 2 shown]
	v_add_co_u32 v18, vcc_lo, s28, v18
	s_wait_alu 0xfffd
	v_add_co_ci_u32_e64 v19, null, s29, v19, vcc_lo
	v_add_co_u32 v24, vcc_lo, s28, v24
	s_wait_alu 0xfffd
	v_add_co_ci_u32_e64 v25, null, s29, v25, vcc_lo
	;; [unrolled: 3-line block ×3, first 2 shown]
	s_clause 0x5
	global_load_b32 v20, v[20:21], off
	global_load_b32 v21, v[16:17], off
	;; [unrolled: 1-line block ×6, first 2 shown]
	s_and_not1_b32 vcc_lo, exec_lo, s16
	s_wait_loadcnt 0x1f
	ds_store_b32 v55, v38
	s_wait_loadcnt 0x1e
	ds_store_b32 v55, v39 offset:144
	s_wait_loadcnt 0x1d
	ds_store_b32 v55, v40 offset:288
	;; [unrolled: 2-line block ×15, first 2 shown]
	ds_load_b128 v[32:35], v56
	ds_load_b128 v[28:31], v56 offset:32
	ds_load_b128 v[24:27], v56 offset:64
	;; [unrolled: 1-line block ×3, first 2 shown]
	s_wait_loadcnt 0xf
	ds_store_b32 v55, v64
	s_wait_loadcnt 0xe
	ds_store_b32 v55, v65 offset:144
	s_wait_loadcnt 0xd
	ds_store_b32 v55, v66 offset:288
	;; [unrolled: 2-line block ×15, first 2 shown]
	ds_load_b128 v[44:47], v56
	ds_load_b128 v[40:43], v56 offset:32
	ds_load_b128 v[36:39], v56 offset:64
	;; [unrolled: 1-line block ×3, first 2 shown]
	v_dual_mov_b32 v59, 0 :: v_dual_mov_b32 v58, 0
	s_wait_alu 0xfffe
	s_cbranch_vccnz .LBB66_9
; %bb.7:                                ;   in Loop: Header=BB66_6 Depth=1
	s_load_b32 s2, s[30:31], 0x0
	v_dual_mov_b32 v58, 0 :: v_dual_mov_b32 v59, 0
	s_wait_kmcnt 0x0
	s_mul_u64 s[70:71], s[2:3], s[34:35]
	s_wait_alu 0xfffe
	s_add_co_i32 s70, s2, s71
	s_wait_alu 0xfffe
	s_lshr_b32 s70, s70, s9
	s_wait_alu 0xfffe
	s_cmp_ge_i32 s70, s5
	s_cbranch_scc1 .LBB66_9
; %bb.8:                                ;   in Loop: Header=BB66_6 Depth=1
	v_mad_co_u64_u32 v[58:59], null, s70, s20, v[48:49]
	s_mul_i32 s70, s70, s10
	s_wait_alu 0xfffe
	s_sub_co_i32 s2, s2, s70
	s_wait_alu 0xfffe
	s_mul_i32 s2, s2, s17
	s_wait_alu 0xfffe
	v_lshl_add_u32 v58, v58, 1, s2
	s_delay_alu instid0(VALU_DEP_1) | instskip(NEXT) | instid1(VALU_DEP_1)
	v_ashrrev_i32_e32 v59, 31, v58
	v_lshlrev_b64_e32 v[58:59], 2, v[58:59]
	s_delay_alu instid0(VALU_DEP_1) | instskip(SKIP_1) | instid1(VALU_DEP_2)
	v_add_co_u32 v58, vcc_lo, s14, v58
	s_wait_alu 0xfffd
	v_add_co_ci_u32_e64 v59, null, s15, v59, vcc_lo
	global_load_b64 v[58:59], v[58:59], off
	s_wait_loadcnt 0x0
	v_bfe_u32 v60, v58, 16, 1
	v_bfe_u32 v61, v59, 16, 1
	v_or_b32_e32 v62, 0x400000, v58
	v_cmp_u_f32_e32 vcc_lo, v58, v58
	v_or_b32_e32 v63, 0x400000, v59
	v_add3_u32 v60, v60, v58, 0x7fff
	v_add3_u32 v61, v61, v59, 0x7fff
	s_wait_alu 0xfffd
	s_delay_alu instid0(VALU_DEP_2) | instskip(SKIP_1) | instid1(VALU_DEP_2)
	v_cndmask_b32_e32 v58, v60, v62, vcc_lo
	v_cmp_u_f32_e32 vcc_lo, v59, v59
	v_lshrrev_b32_e32 v59, 16, v58
	s_wait_alu 0xfffd
	v_cndmask_b32_e32 v60, v61, v63, vcc_lo
	s_delay_alu instid0(VALU_DEP_1)
	v_lshrrev_b32_e32 v58, 16, v60
.LBB66_9:                               ;   in Loop: Header=BB66_6 Depth=1
	v_dual_mov_b32 v60, 0 :: v_dual_mov_b32 v61, 0
	v_mov_b32_e32 v62, 0
	s_and_not1_b32 vcc_lo, exec_lo, s38
	s_wait_alu 0xfffe
	s_cbranch_vccnz .LBB66_12
; %bb.10:                               ;   in Loop: Header=BB66_6 Depth=1
	s_load_b32 s2, s[30:31], 0x4
	v_dual_mov_b32 v61, 0 :: v_dual_mov_b32 v62, 0
	s_wait_kmcnt 0x0
	s_mul_u64 s[70:71], s[2:3], s[34:35]
	s_wait_alu 0xfffe
	s_add_co_i32 s70, s2, s71
	s_wait_alu 0xfffe
	s_lshr_b32 s70, s70, s9
	s_wait_alu 0xfffe
	s_cmp_ge_i32 s70, s5
	s_cbranch_scc1 .LBB66_12
; %bb.11:                               ;   in Loop: Header=BB66_6 Depth=1
	v_mad_co_u64_u32 v[61:62], null, s70, s20, v[48:49]
	s_mul_i32 s70, s70, s10
	s_wait_alu 0xfffe
	s_sub_co_i32 s2, s2, s70
	s_wait_alu 0xfffe
	s_mul_i32 s2, s2, s17
	s_wait_alu 0xfffe
	v_lshl_add_u32 v61, v61, 1, s2
	s_delay_alu instid0(VALU_DEP_1) | instskip(NEXT) | instid1(VALU_DEP_1)
	v_ashrrev_i32_e32 v62, 31, v61
	v_lshlrev_b64_e32 v[61:62], 2, v[61:62]
	s_delay_alu instid0(VALU_DEP_1) | instskip(SKIP_1) | instid1(VALU_DEP_2)
	v_add_co_u32 v61, vcc_lo, s14, v61
	s_wait_alu 0xfffd
	v_add_co_ci_u32_e64 v62, null, s15, v62, vcc_lo
	global_load_b64 v[61:62], v[61:62], off
	s_wait_loadcnt 0x0
	v_bfe_u32 v63, v61, 16, 1
	v_bfe_u32 v64, v62, 16, 1
	v_or_b32_e32 v65, 0x400000, v61
	v_cmp_u_f32_e32 vcc_lo, v61, v61
	v_or_b32_e32 v66, 0x400000, v62
	v_add3_u32 v63, v63, v61, 0x7fff
	v_add3_u32 v64, v64, v62, 0x7fff
	s_wait_alu 0xfffd
	s_delay_alu instid0(VALU_DEP_2) | instskip(SKIP_1) | instid1(VALU_DEP_2)
	v_cndmask_b32_e32 v61, v63, v65, vcc_lo
	v_cmp_u_f32_e32 vcc_lo, v62, v62
	v_lshrrev_b32_e32 v62, 16, v61
	s_wait_alu 0xfffd
	v_cndmask_b32_e32 v63, v64, v66, vcc_lo
	s_delay_alu instid0(VALU_DEP_1)
	v_lshrrev_b32_e32 v61, 16, v63
.LBB66_12:                              ;   in Loop: Header=BB66_6 Depth=1
	v_mov_b32_e32 v63, 0
	s_and_not1_b32 vcc_lo, exec_lo, s39
	s_wait_alu 0xfffe
	s_cbranch_vccnz .LBB66_15
; %bb.13:                               ;   in Loop: Header=BB66_6 Depth=1
	s_load_b32 s2, s[30:31], 0x8
	v_dual_mov_b32 v63, 0 :: v_dual_mov_b32 v60, 0
	s_wait_kmcnt 0x0
	s_mul_u64 s[70:71], s[2:3], s[34:35]
	s_wait_alu 0xfffe
	s_add_co_i32 s70, s2, s71
	s_wait_alu 0xfffe
	s_lshr_b32 s70, s70, s9
	s_wait_alu 0xfffe
	s_cmp_ge_i32 s70, s5
	s_cbranch_scc1 .LBB66_15
; %bb.14:                               ;   in Loop: Header=BB66_6 Depth=1
	v_mad_co_u64_u32 v[63:64], null, s70, s20, v[48:49]
	s_mul_i32 s70, s70, s10
	s_wait_alu 0xfffe
	s_sub_co_i32 s2, s2, s70
	s_wait_alu 0xfffe
	s_mul_i32 s2, s2, s17
	s_wait_alu 0xfffe
	v_lshl_add_u32 v63, v63, 1, s2
	s_delay_alu instid0(VALU_DEP_1) | instskip(NEXT) | instid1(VALU_DEP_1)
	v_ashrrev_i32_e32 v64, 31, v63
	v_lshlrev_b64_e32 v[63:64], 2, v[63:64]
	s_delay_alu instid0(VALU_DEP_1) | instskip(SKIP_1) | instid1(VALU_DEP_2)
	v_add_co_u32 v63, vcc_lo, s14, v63
	s_wait_alu 0xfffd
	v_add_co_ci_u32_e64 v64, null, s15, v64, vcc_lo
	global_load_b64 v[63:64], v[63:64], off
	s_wait_loadcnt 0x0
	v_bfe_u32 v60, v63, 16, 1
	v_bfe_u32 v65, v64, 16, 1
	v_or_b32_e32 v66, 0x400000, v63
	v_cmp_u_f32_e32 vcc_lo, v63, v63
	v_or_b32_e32 v67, 0x400000, v64
	v_add3_u32 v60, v60, v63, 0x7fff
	v_add3_u32 v65, v65, v64, 0x7fff
	s_wait_alu 0xfffd
	s_delay_alu instid0(VALU_DEP_2) | instskip(SKIP_3) | instid1(VALU_DEP_3)
	v_cndmask_b32_e32 v60, v60, v66, vcc_lo
	v_cmp_u_f32_e32 vcc_lo, v64, v64
	s_wait_alu 0xfffd
	v_cndmask_b32_e32 v63, v65, v67, vcc_lo
	v_lshrrev_b32_e32 v60, 16, v60
	s_delay_alu instid0(VALU_DEP_2)
	v_lshrrev_b32_e32 v63, 16, v63
.LBB66_15:                              ;   in Loop: Header=BB66_6 Depth=1
	v_dual_mov_b32 v64, 0 :: v_dual_mov_b32 v65, 0
	s_and_not1_b32 vcc_lo, exec_lo, s8
	s_wait_alu 0xfffe
	s_cbranch_vccnz .LBB66_5
; %bb.16:                               ;   in Loop: Header=BB66_6 Depth=1
	s_load_b32 s2, s[30:31], 0xc
	v_dual_mov_b32 v65, 0 :: v_dual_mov_b32 v64, 0
	s_wait_kmcnt 0x0
	s_mul_u64 s[70:71], s[2:3], s[34:35]
	s_wait_alu 0xfffe
	s_add_co_i32 s70, s2, s71
	s_wait_alu 0xfffe
	s_lshr_b32 s70, s70, s9
	s_wait_alu 0xfffe
	s_cmp_ge_i32 s70, s5
	s_cbranch_scc1 .LBB66_5
; %bb.17:                               ;   in Loop: Header=BB66_6 Depth=1
	v_mad_co_u64_u32 v[64:65], null, s70, s20, v[48:49]
	s_mul_i32 s70, s70, s10
	s_wait_alu 0xfffe
	s_sub_co_i32 s2, s2, s70
	s_wait_alu 0xfffe
	s_mul_i32 s2, s2, s17
	s_wait_alu 0xfffe
	v_lshl_add_u32 v64, v64, 1, s2
	s_delay_alu instid0(VALU_DEP_1) | instskip(NEXT) | instid1(VALU_DEP_1)
	v_ashrrev_i32_e32 v65, 31, v64
	v_lshlrev_b64_e32 v[64:65], 2, v[64:65]
	s_delay_alu instid0(VALU_DEP_1) | instskip(SKIP_1) | instid1(VALU_DEP_2)
	v_add_co_u32 v64, vcc_lo, s14, v64
	s_wait_alu 0xfffd
	v_add_co_ci_u32_e64 v65, null, s15, v65, vcc_lo
	global_load_b64 v[64:65], v[64:65], off
	s_wait_loadcnt 0x0
	v_bfe_u32 v66, v64, 16, 1
	v_bfe_u32 v67, v65, 16, 1
	v_or_b32_e32 v68, 0x400000, v64
	v_cmp_u_f32_e32 vcc_lo, v64, v64
	v_or_b32_e32 v69, 0x400000, v65
	v_add3_u32 v66, v66, v64, 0x7fff
	v_add3_u32 v67, v67, v65, 0x7fff
	s_wait_alu 0xfffd
	s_delay_alu instid0(VALU_DEP_2) | instskip(SKIP_3) | instid1(VALU_DEP_3)
	v_cndmask_b32_e32 v64, v66, v68, vcc_lo
	v_cmp_u_f32_e32 vcc_lo, v65, v65
	s_wait_alu 0xfffd
	v_cndmask_b32_e32 v65, v67, v69, vcc_lo
	v_lshrrev_b32_e32 v64, 16, v64
	s_delay_alu instid0(VALU_DEP_2)
	v_lshrrev_b32_e32 v65, 16, v65
	s_branch .LBB66_5
.LBB66_18:
	s_or_b32 exec_lo, exec_lo, s69
.LBB66_19:
	s_delay_alu instid0(SALU_CYCLE_1)
	s_or_b32 exec_lo, exec_lo, s37
	s_load_b64 s[0:1], s[0:1], 0x18
	v_lshlrev_b32_e32 v16, 1, v51
	v_lshl_add_u32 v17, v53, 2, 0
	v_mul_u32_u24_e32 v18, 0x310, v54
	s_barrier_signal -1
	s_delay_alu instid0(VALU_DEP_3)
	v_and_b32_e32 v16, 0x7e0, v16
	s_barrier_wait -1
	global_inv scope:SCOPE_SE
	s_mov_b32 s2, exec_lo
	v_add3_u32 v16, v17, v18, v16
	ds_store_2addr_b32 v16, v8, v9 offset1:1
	ds_store_2addr_b32 v16, v10, v11 offset0:2 offset1:3
	ds_store_2addr_b32 v16, v12, v13 offset0:4 offset1:5
	;; [unrolled: 1-line block ×7, first 2 shown]
	s_wait_loadcnt_dscnt 0x0
	s_barrier_signal -1
	s_barrier_wait -1
	global_inv scope:SCOPE_SE
	v_cmpx_gt_u32_e32 4, v52
	s_cbranch_execz .LBB66_23
; %bb.20:
	v_or_b32_e32 v0, s36, v52
	s_cmp_gt_i32 s6, 0
	s_cselect_b32 s2, -1, 0
	s_delay_alu instid0(VALU_DEP_1)
	v_cmp_gt_i32_e32 vcc_lo, s19, v0
	s_wait_alu 0xfffe
	s_and_b32 s2, s2, vcc_lo
	s_wait_alu 0xfffe
	s_and_b32 exec_lo, exec_lo, s2
	s_cbranch_execz .LBB66_23
; %bb.21:
	v_lshlrev_b32_e32 v0, 2, v0
	s_lshl_b64 s[2:3], s[24:25], 2
	s_wait_kmcnt 0x0
	s_wait_alu 0xfffe
	s_add_nc_u64 s[0:1], s[0:1], s[2:3]
	global_load_b32 v0, v0, s[0:1]
	s_wait_loadcnt 0x0
	v_mul_hi_u32 v1, v0, s11
	s_delay_alu instid0(VALU_DEP_1) | instskip(NEXT) | instid1(VALU_DEP_1)
	v_add_nc_u32_e32 v1, v0, v1
	v_lshrrev_b32_e32 v1, s22, v1
	s_delay_alu instid0(VALU_DEP_1)
	v_cmp_gt_i32_e32 vcc_lo, s5, v1
	s_and_b32 exec_lo, exec_lo, vcc_lo
	s_cbranch_execz .LBB66_23
; %bb.22:
	v_lshlrev_b32_e32 v2, 2, v51
	v_mul_u32_u24_e32 v3, 0x310, v52
	v_mul_lo_u32 v8, v1, s23
	s_delay_alu instid0(VALU_DEP_2)
	v_add3_u32 v6, 0, v2, v3
	ds_load_2addr_b32 v[2:3], v6 offset1:32
	ds_load_2addr_b32 v[4:5], v6 offset0:64 offset1:96
	v_sub_nc_u32_e32 v0, v0, v8
	ds_load_2addr_b32 v[6:7], v6 offset0:128 offset1:160
	v_mul_lo_u32 v0, v0, s18
	s_wait_dscnt 0x2
	v_add_f32_e32 v2, 0, v2
	s_delay_alu instid0(VALU_DEP_1) | instskip(SKIP_2) | instid1(VALU_DEP_2)
	v_add_f32_e32 v2, v2, v3
	v_mul_lo_u32 v3, v1, s21
	s_wait_dscnt 0x1
	v_dual_mov_b32 v1, 0 :: v_dual_add_f32 v2, v2, v4
	v_add_nc_u32_e32 v4, s33, v51
	s_delay_alu instid0(VALU_DEP_2) | instskip(NEXT) | instid1(VALU_DEP_2)
	v_add_f32_e32 v2, v2, v5
	v_add3_u32 v0, v4, v3, v0
	s_wait_dscnt 0x0
	s_delay_alu instid0(VALU_DEP_2) | instskip(NEXT) | instid1(VALU_DEP_2)
	v_add_f32_e32 v2, v2, v6
	v_lshlrev_b64_e32 v[0:1], 2, v[0:1]
	s_delay_alu instid0(VALU_DEP_2) | instskip(NEXT) | instid1(VALU_DEP_2)
	v_add_f32_e32 v2, v2, v7
	v_add_co_u32 v0, vcc_lo, s26, v0
	s_wait_alu 0xfffd
	s_delay_alu instid0(VALU_DEP_3)
	v_add_co_ci_u32_e64 v1, null, s27, v1, vcc_lo
	global_store_b32 v[0:1], v2, off
.LBB66_23:
	s_endpgm
	.section	.rodata,"a",@progbits
	.p2align	6, 0x0
	.amdhsa_kernel _ZL13mul_mat_f_idsI15__hip_bfloat162Li32ELi4ELi6EEvPKT_PKfPKiS7_S7_Pfiiiiiiiiiiiiii15HIP_vector_typeIjLj3EESA_
		.amdhsa_group_segment_fixed_size 0
		.amdhsa_private_segment_fixed_size 0
		.amdhsa_kernarg_size 128
		.amdhsa_user_sgpr_count 2
		.amdhsa_user_sgpr_dispatch_ptr 0
		.amdhsa_user_sgpr_queue_ptr 0
		.amdhsa_user_sgpr_kernarg_segment_ptr 1
		.amdhsa_user_sgpr_dispatch_id 0
		.amdhsa_user_sgpr_private_segment_size 0
		.amdhsa_wavefront_size32 1
		.amdhsa_uses_dynamic_stack 0
		.amdhsa_enable_private_segment 0
		.amdhsa_system_sgpr_workgroup_id_x 1
		.amdhsa_system_sgpr_workgroup_id_y 1
		.amdhsa_system_sgpr_workgroup_id_z 1
		.amdhsa_system_sgpr_workgroup_info 0
		.amdhsa_system_vgpr_workitem_id 1
		.amdhsa_next_free_vgpr 74
		.amdhsa_next_free_sgpr 74
		.amdhsa_reserve_vcc 1
		.amdhsa_float_round_mode_32 0
		.amdhsa_float_round_mode_16_64 0
		.amdhsa_float_denorm_mode_32 3
		.amdhsa_float_denorm_mode_16_64 3
		.amdhsa_fp16_overflow 0
		.amdhsa_workgroup_processor_mode 1
		.amdhsa_memory_ordered 1
		.amdhsa_forward_progress 1
		.amdhsa_inst_pref_size 35
		.amdhsa_round_robin_scheduling 0
		.amdhsa_exception_fp_ieee_invalid_op 0
		.amdhsa_exception_fp_denorm_src 0
		.amdhsa_exception_fp_ieee_div_zero 0
		.amdhsa_exception_fp_ieee_overflow 0
		.amdhsa_exception_fp_ieee_underflow 0
		.amdhsa_exception_fp_ieee_inexact 0
		.amdhsa_exception_int_div_zero 0
	.end_amdhsa_kernel
	.section	.text._ZL13mul_mat_f_idsI15__hip_bfloat162Li32ELi4ELi6EEvPKT_PKfPKiS7_S7_Pfiiiiiiiiiiiiii15HIP_vector_typeIjLj3EESA_,"axG",@progbits,_ZL13mul_mat_f_idsI15__hip_bfloat162Li32ELi4ELi6EEvPKT_PKfPKiS7_S7_Pfiiiiiiiiiiiiii15HIP_vector_typeIjLj3EESA_,comdat
.Lfunc_end66:
	.size	_ZL13mul_mat_f_idsI15__hip_bfloat162Li32ELi4ELi6EEvPKT_PKfPKiS7_S7_Pfiiiiiiiiiiiiii15HIP_vector_typeIjLj3EESA_, .Lfunc_end66-_ZL13mul_mat_f_idsI15__hip_bfloat162Li32ELi4ELi6EEvPKT_PKfPKiS7_S7_Pfiiiiiiiiiiiiii15HIP_vector_typeIjLj3EESA_
                                        ; -- End function
	.set _ZL13mul_mat_f_idsI15__hip_bfloat162Li32ELi4ELi6EEvPKT_PKfPKiS7_S7_Pfiiiiiiiiiiiiii15HIP_vector_typeIjLj3EESA_.num_vgpr, 74
	.set _ZL13mul_mat_f_idsI15__hip_bfloat162Li32ELi4ELi6EEvPKT_PKfPKiS7_S7_Pfiiiiiiiiiiiiii15HIP_vector_typeIjLj3EESA_.num_agpr, 0
	.set _ZL13mul_mat_f_idsI15__hip_bfloat162Li32ELi4ELi6EEvPKT_PKfPKiS7_S7_Pfiiiiiiiiiiiiii15HIP_vector_typeIjLj3EESA_.numbered_sgpr, 74
	.set _ZL13mul_mat_f_idsI15__hip_bfloat162Li32ELi4ELi6EEvPKT_PKfPKiS7_S7_Pfiiiiiiiiiiiiii15HIP_vector_typeIjLj3EESA_.num_named_barrier, 0
	.set _ZL13mul_mat_f_idsI15__hip_bfloat162Li32ELi4ELi6EEvPKT_PKfPKiS7_S7_Pfiiiiiiiiiiiiii15HIP_vector_typeIjLj3EESA_.private_seg_size, 0
	.set _ZL13mul_mat_f_idsI15__hip_bfloat162Li32ELi4ELi6EEvPKT_PKfPKiS7_S7_Pfiiiiiiiiiiiiii15HIP_vector_typeIjLj3EESA_.uses_vcc, 1
	.set _ZL13mul_mat_f_idsI15__hip_bfloat162Li32ELi4ELi6EEvPKT_PKfPKiS7_S7_Pfiiiiiiiiiiiiii15HIP_vector_typeIjLj3EESA_.uses_flat_scratch, 0
	.set _ZL13mul_mat_f_idsI15__hip_bfloat162Li32ELi4ELi6EEvPKT_PKfPKiS7_S7_Pfiiiiiiiiiiiiii15HIP_vector_typeIjLj3EESA_.has_dyn_sized_stack, 0
	.set _ZL13mul_mat_f_idsI15__hip_bfloat162Li32ELi4ELi6EEvPKT_PKfPKiS7_S7_Pfiiiiiiiiiiiiii15HIP_vector_typeIjLj3EESA_.has_recursion, 0
	.set _ZL13mul_mat_f_idsI15__hip_bfloat162Li32ELi4ELi6EEvPKT_PKfPKiS7_S7_Pfiiiiiiiiiiiiii15HIP_vector_typeIjLj3EESA_.has_indirect_call, 0
	.section	.AMDGPU.csdata,"",@progbits
; Kernel info:
; codeLenInByte = 4408
; TotalNumSgprs: 76
; NumVgprs: 74
; ScratchSize: 0
; MemoryBound: 0
; FloatMode: 240
; IeeeMode: 1
; LDSByteSize: 0 bytes/workgroup (compile time only)
; SGPRBlocks: 0
; VGPRBlocks: 9
; NumSGPRsForWavesPerEU: 76
; NumVGPRsForWavesPerEU: 74
; Occupancy: 16
; WaveLimiterHint : 1
; COMPUTE_PGM_RSRC2:SCRATCH_EN: 0
; COMPUTE_PGM_RSRC2:USER_SGPR: 2
; COMPUTE_PGM_RSRC2:TRAP_HANDLER: 0
; COMPUTE_PGM_RSRC2:TGID_X_EN: 1
; COMPUTE_PGM_RSRC2:TGID_Y_EN: 1
; COMPUTE_PGM_RSRC2:TGID_Z_EN: 1
; COMPUTE_PGM_RSRC2:TIDIG_COMP_CNT: 1
	.section	.text._ZL9mul_mat_fI15__hip_bfloat162Li32ELi4ELi6ELb1EEvPKT_PKfPKiPfiiiiiiiiiiiiiiii,"axG",@progbits,_ZL9mul_mat_fI15__hip_bfloat162Li32ELi4ELi6ELb1EEvPKT_PKfPKiPfiiiiiiiiiiiiiiii,comdat
	.globl	_ZL9mul_mat_fI15__hip_bfloat162Li32ELi4ELi6ELb1EEvPKT_PKfPKiPfiiiiiiiiiiiiiiii ; -- Begin function _ZL9mul_mat_fI15__hip_bfloat162Li32ELi4ELi6ELb1EEvPKT_PKfPKiPfiiiiiiiiiiiiiiii
	.p2align	8
	.type	_ZL9mul_mat_fI15__hip_bfloat162Li32ELi4ELi6ELb1EEvPKT_PKfPKiPfiiiiiiiiiiiiiiii,@function
_ZL9mul_mat_fI15__hip_bfloat162Li32ELi4ELi6ELb1EEvPKT_PKfPKiPfiiiiiiiiiiiiiiii: ; @_ZL9mul_mat_fI15__hip_bfloat162Li32ELi4ELi6ELb1EEvPKT_PKfPKiPfiiiiiiiiiiiiiiii
; %bb.0:
	s_load_b256 s[4:11], s[0:1], 0x20
	s_mov_b32 s29, 0
	v_bfe_u32 v55, v0, 10, 10
	v_and_b32_e32 v48, 0x3ff, v0
	s_wait_kmcnt 0x0
	s_add_co_i32 s2, s5, 3
	s_delay_alu instid0(SALU_CYCLE_1) | instskip(NEXT) | instid1(SALU_CYCLE_1)
	s_ashr_i32 s3, s2, 31
	s_lshr_b32 s3, s3, 30
	s_delay_alu instid0(SALU_CYCLE_1) | instskip(NEXT) | instid1(SALU_CYCLE_1)
	s_add_co_i32 s2, s2, s3
	s_ashr_i32 s2, s2, 2
	s_delay_alu instid0(SALU_CYCLE_1) | instskip(SKIP_1) | instid1(SALU_CYCLE_2)
	s_cvt_f32_u32 s3, s2
	s_sub_co_i32 s13, 0, s2
	v_rcp_iflag_f32_e32 v1, s3
	s_load_b32 s3, s[0:1], 0x64
	s_delay_alu instid0(TRANS32_DEP_1) | instskip(SKIP_1) | instid1(SALU_CYCLE_3)
	v_readfirstlane_b32 s12, v1
	s_mul_f32 s12, s12, 0x4f7ffffe
	s_cvt_u32_f32 s12, s12
	s_delay_alu instid0(SALU_CYCLE_3) | instskip(NEXT) | instid1(SALU_CYCLE_1)
	s_mul_i32 s13, s13, s12
	s_mul_hi_u32 s13, s12, s13
	s_delay_alu instid0(SALU_CYCLE_1) | instskip(SKIP_4) | instid1(SALU_CYCLE_1)
	s_add_co_i32 s12, s12, s13
	s_wait_kmcnt 0x0
	s_mul_hi_u32 s16, s3, s12
	s_load_b128 s[12:15], s[0:1], 0x44
	s_mul_i32 s17, s16, s2
	s_sub_co_i32 s3, s3, s17
	s_add_co_i32 s17, s16, 1
	s_wait_alu 0xfffe
	s_sub_co_i32 s18, s3, s2
	s_cmp_ge_u32 s3, s2
	s_cselect_b32 s16, s17, s16
	s_cselect_b32 s3, s18, s3
	s_add_co_i32 s17, s16, 1
	s_wait_alu 0xfffe
	s_cmp_ge_u32 s3, s2
	s_mov_b32 s3, s29
	s_cselect_b32 s18, s17, s16
	s_lshr_b32 s24, ttmp7, 16
	s_cvt_f32_u32 s2, s18
	s_wait_alu 0xfffe
	s_delay_alu instid0(SALU_CYCLE_2) | instskip(SKIP_2) | instid1(SALU_CYCLE_1)
	v_rcp_iflag_f32_e32 v1, s2
	s_wait_kmcnt 0x0
	s_abs_i32 s33, s15
	s_cvt_f32_u32 s2, s33
	s_wait_alu 0xfffe
	s_delay_alu instid0(SALU_CYCLE_2) | instskip(NEXT) | instid1(TRANS32_DEP_2)
	v_rcp_iflag_f32_e32 v2, s2
	v_readfirstlane_b32 s2, v1
	s_mul_f32 s2, s2, 0x4f7ffffe
	s_delay_alu instid0(TRANS32_DEP_1) | instskip(SKIP_1) | instid1(SALU_CYCLE_1)
	v_readfirstlane_b32 s16, v2
	s_wait_alu 0xfffe
	s_cvt_u32_f32 s17, s2
	s_sub_co_i32 s2, 0, s18
	s_mul_f32 s16, s16, 0x4f7ffffe
	s_wait_alu 0xfffe
	s_mul_i32 s19, s2, s17
	s_and_b32 s2, ttmp7, 0xffff
	s_mul_hi_u32 s20, s17, s19
	s_cvt_u32_f32 s19, s16
	s_add_co_i32 s28, s17, s20
	s_sub_co_i32 s20, 0, s33
	s_wait_alu 0xfffe
	s_mul_u64 s[16:17], s[2:3], s[28:29]
	s_mul_i32 s20, s20, s19
	s_mov_b32 s16, exec_lo
	s_mul_hi_u32 s3, s19, s20
	v_cmpx_eq_u32_e32 0, v48
; %bb.1:
	v_lshl_add_u32 v1, v55, 2, 0x100
	v_mov_b32_e32 v2, -1
	ds_store_b32 v1, v2
; %bb.2:
	s_or_b32 exec_lo, exec_lo, s16
	s_mul_i32 s16, s17, s18
	s_load_b96 s[20:22], s[0:1], 0x54
	s_add_co_i32 s30, s19, s3
	s_sub_co_i32 s3, s2, s16
	s_abs_i32 s28, s24
	s_add_co_i32 s16, s17, 1
	s_wait_alu 0xfffe
	s_sub_co_i32 s19, s3, s18
	s_cmp_ge_u32 s3, s18
	v_mov_b32_e32 v3, 0
	s_cselect_b32 s16, s16, s17
	s_cselect_b32 s3, s19, s3
	s_add_co_i32 s17, s16, 1
	s_wait_alu 0xfffe
	s_cmp_ge_u32 s3, s18
	s_cselect_b32 s3, s17, s16
	s_add_nc_u64 s[16:17], s[0:1], 0x60
	s_wait_alu 0xfffe
	s_lshl_b32 s26, s3, 2
	s_mul_i32 s3, s3, s18
	v_add_nc_u32_e32 v1, s26, v55
	s_wait_alu 0xfffe
	s_sub_co_i32 s34, s2, s3
	s_ashr_i32 s27, s26, 31
	s_mov_b32 s3, exec_lo
	v_cmpx_gt_i32_e64 s5, v1
	s_cbranch_execz .LBB67_10
; %bb.3:
	v_mov_b32_e32 v3, 0
	s_mov_b32 s18, exec_lo
	v_cmpx_gt_i32_e64 s6, v48
	s_cbranch_execz .LBB67_9
; %bb.4:
	s_load_b64 s[36:37], s[0:1], 0x10
	v_mul_lo_u32 v1, v55, s11
	s_ashr_i32 s39, s11, 31
	s_mov_b32 s38, s11
	v_lshl_add_u32 v4, v55, 2, 0x100
	s_mul_u64 s[38:39], s[26:27], s[38:39]
	v_mov_b32_e32 v3, 0
	s_lshl_b64 s[38:39], s[38:39], 2
	v_mov_b32_e32 v7, v48
	v_ashrrev_i32_e32 v2, 31, v1
	s_lshl_b32 s11, s10, 5
	s_delay_alu instid0(VALU_DEP_1)
	v_lshlrev_b64_e32 v[5:6], 2, v[1:2]
	v_mul_lo_u32 v1, v48, s10
	s_mov_b32 s10, 0
	s_wait_kmcnt 0x0
	s_add_nc_u64 s[36:37], s[36:37], s[38:39]
	s_delay_alu instid0(VALU_DEP_2) | instid1(SALU_CYCLE_1)
	v_add_co_u32 v5, vcc_lo, s36, v5
	s_delay_alu instid0(VALU_DEP_1)
	v_add_co_ci_u32_e64 v6, null, s37, v6, vcc_lo
	s_branch .LBB67_6
.LBB67_5:                               ;   in Loop: Header=BB67_6 Depth=1
	s_or_b32 exec_lo, exec_lo, s19
	v_add_nc_u32_e32 v7, 32, v7
	s_xor_b32 s19, vcc_lo, -1
	s_wait_alu 0xfffe
	v_add_nc_u32_e32 v1, s11, v1
	s_delay_alu instid0(VALU_DEP_2)
	v_cmp_le_i32_e64 s2, s6, v7
	s_or_b32 s2, s19, s2
	s_wait_alu 0xfffe
	s_and_b32 s2, exec_lo, s2
	s_wait_alu 0xfffe
	s_or_b32 s10, s2, s10
	s_wait_alu 0xfffe
	s_and_not1_b32 exec_lo, exec_lo, s10
	s_cbranch_execz .LBB67_8
.LBB67_6:                               ; =>This Inner Loop Header: Depth=1
	s_delay_alu instid0(VALU_DEP_3) | instskip(SKIP_1) | instid1(VALU_DEP_1)
	v_ashrrev_i32_e32 v2, 31, v1
	s_mov_b32 s19, exec_lo
	v_lshlrev_b64_e32 v[8:9], 2, v[1:2]
	s_delay_alu instid0(VALU_DEP_1) | instskip(SKIP_1) | instid1(VALU_DEP_2)
	v_add_co_u32 v8, vcc_lo, v5, v8
	s_wait_alu 0xfffd
	v_add_co_ci_u32_e64 v9, null, v6, v9, vcc_lo
	global_load_b32 v2, v[8:9], off
	s_wait_loadcnt 0x0
	v_cmp_ne_u32_e32 vcc_lo, s34, v2
	v_cmpx_eq_u32_e64 s34, v2
	s_cbranch_execz .LBB67_5
; %bb.7:                                ;   in Loop: Header=BB67_6 Depth=1
	v_mov_b32_e32 v3, 1
	ds_store_b32 v4, v7
	s_branch .LBB67_5
.LBB67_8:
	s_or_b32 exec_lo, exec_lo, s10
.LBB67_9:
	s_delay_alu instid0(SALU_CYCLE_1)
	s_or_b32 exec_lo, exec_lo, s18
.LBB67_10:
	s_wait_alu 0xfffe
	s_or_b32 exec_lo, exec_lo, s3
	v_or_b32_dpp v1, v3, v3 row_shl:1 row_mask:0xf bank_mask:0xf bound_ctrl:1
	s_load_b64 s[10:11], s[16:17], 0xc
	s_mov_b32 s31, s29
	s_delay_alu instid0(VALU_DEP_1) | instskip(NEXT) | instid1(VALU_DEP_1)
	v_or_b32_dpp v1, v1, v1 row_shl:2 row_mask:0xf bank_mask:0xf bound_ctrl:1
	v_or_b32_dpp v1, v1, v1 row_shl:4 row_mask:0xf bank_mask:0xf bound_ctrl:1
	s_delay_alu instid0(VALU_DEP_1) | instskip(NEXT) | instid1(VALU_DEP_1)
	v_or_b32_dpp v1, v1, v1 row_shl:8 row_mask:0xf bank_mask:0xf bound_ctrl:1
	v_mov_b32_dpp v1, v1 row_share:0 row_mask:0xf bank_mask:0xf bound_ctrl:1
	s_wait_kmcnt 0x0
	s_lshr_b32 s3, s10, 16
	s_and_b32 s2, s10, 0xffff
	s_and_b32 s10, s11, 0xffff
	s_wait_alu 0xfffe
	s_mul_i32 s6, s3, s2
	v_permlanex16_b32 v2, v1, 0, 0 op_sel:[0,1]
	s_wait_alu 0xfffe
	s_bfe_i32 s6, s6, 0x180000
	s_wait_alu 0xfffe
	s_mul_i32 s6, s6, s10
	s_wait_alu 0xfffe
	s_add_co_i32 s6, s6, 31
	v_or_b32_e32 v2, v2, v1
	s_wait_alu 0xfffe
	s_and_not1_b32 s6, s6, 31
	s_wait_alu 0xfffe
	s_cmp_lg_u32 s6, 32
	s_cbranch_scc0 .LBB67_19
; %bb.11:
	v_bfe_u32 v0, v0, 20, 10
	s_delay_alu instid0(VALU_DEP_1) | instskip(NEXT) | instid1(VALU_DEP_1)
	v_mad_u32_u24 v0, v0, s3, v55
	v_mad_co_u64_u32 v[0:1], null, v0, s2, v[48:49]
	v_mbcnt_lo_u32_b32 v1, -1, 0
	s_mov_b32 s2, exec_lo
	s_delay_alu instid0(VALU_DEP_2) | instskip(NEXT) | instid1(VALU_DEP_1)
	v_lshrrev_b32_e32 v3, 5, v0
	v_or_b32_e32 v3, v1, v3
	s_delay_alu instid0(VALU_DEP_1)
	v_cmpx_eq_u32_e32 0, v3
; %bb.12:
	v_mov_b32_e32 v3, 0
	ds_store_b32 v3, v2
; %bb.13:
	s_wait_alu 0xfffe
	s_or_b32 exec_lo, exec_lo, s2
	v_cmp_eq_u32_e32 vcc_lo, 0, v1
	v_cmp_lt_u32_e64 s2, 31, v0
	s_mov_b32 s3, 0
	s_wait_dscnt 0x0
	s_barrier_signal -1
	s_barrier_wait -1
	s_and_b32 s6, s2, vcc_lo
	global_inv scope:SCOPE_SE
	s_wait_alu 0xfffe
	s_and_saveexec_b32 s2, s6
	s_cbranch_execz .LBB67_18
; %bb.14:
	s_mov_b32 s6, exec_lo
.LBB67_15:                              ; =>This Inner Loop Header: Depth=1
	s_wait_alu 0xfffe
	s_ctz_i32_b32 s10, s6
	s_wait_alu 0xfffe
	v_readlane_b32 s11, v2, s10
	s_lshl_b32 s10, 1, s10
	s_wait_alu 0xfffe
	s_and_not1_b32 s6, s6, s10
	s_or_b32 s3, s3, s11
	s_wait_alu 0xfffe
	s_cmp_lg_u32 s6, 0
	s_cbranch_scc1 .LBB67_15
; %bb.16:
	v_mbcnt_lo_u32_b32 v0, exec_lo, 0
	s_mov_b32 s6, exec_lo
	s_delay_alu instid0(VALU_DEP_1)
	v_cmpx_eq_u32_e32 0, v0
	s_wait_alu 0xfffe
	s_xor_b32 s6, exec_lo, s6
; %bb.17:
	v_dual_mov_b32 v0, 0 :: v_dual_mov_b32 v1, s3
	ds_or_b32 v0, v1
.LBB67_18:
	s_wait_alu 0xfffe
	s_or_b32 exec_lo, exec_lo, s2
	v_mov_b32_e32 v0, 0
	s_wait_loadcnt_dscnt 0x0
	s_barrier_signal -1
	s_barrier_wait -1
	global_inv scope:SCOPE_SE
	ds_load_b32 v2, v0
	s_wait_loadcnt_dscnt 0x0
	s_barrier_signal -1
	s_barrier_wait -1
	global_inv scope:SCOPE_SE
.LBB67_19:
	s_clause 0x1
	s_load_b128 s[16:19], s[0:1], 0x0
	s_load_b64 s[2:3], s[0:1], 0x18
	s_mul_u64 s[0:1], s[28:29], s[30:31]
	s_ashr_i32 s0, s15, 31
	s_mov_b32 s25, 0
	s_mov_b32 s6, exec_lo
	v_cmpx_ne_u32_e32 0, v2
	s_cbranch_execz .LBB67_45
; %bb.20:
	v_lshlrev_b32_e32 v56, 5, v55
	v_and_b32_e32 v57, 15, v48
	s_mov_b32 s6, exec_lo
	s_delay_alu instid0(VALU_DEP_2) | instskip(NEXT) | instid1(VALU_DEP_1)
	v_add_nc_u32_e32 v59, v56, v48
	v_cmpx_le_i32_e64 s4, v59
	s_wait_alu 0xfffe
	s_xor_b32 s6, exec_lo, s6
; %bb.21:
	v_and_b32_e32 v57, 15, v48
                                        ; implicit-def: $vgpr59
; %bb.22:
	s_wait_alu 0xfffe
	s_or_saveexec_b32 s23, s6
	v_dual_mov_b32 v15, 0 :: v_dual_lshlrev_b32 v58, 1, v48
	s_lshl_b32 s15, ttmp9, 5
	s_delay_alu instid0(VALU_DEP_1)
	v_dual_mov_b32 v14, v15 :: v_dual_mov_b32 v13, v15
	v_dual_mov_b32 v12, v15 :: v_dual_mov_b32 v11, v15
	;; [unrolled: 1-line block ×7, first 2 shown]
	v_mov_b32_e32 v0, v15
	s_xor_b32 exec_lo, exec_lo, s23
	s_cbranch_execz .LBB67_42
; %bb.23:
	s_mul_i32 s6, s1, s33
	s_add_co_i32 s11, s1, 1
	s_wait_alu 0xfffe
	s_sub_co_i32 s6, s28, s6
	s_mov_b32 s10, s20
	s_wait_alu 0xfffe
	s_sub_co_i32 s29, s6, s33
	s_cmp_ge_u32 s6, s33
	s_mul_i32 s28, s34, s12
	s_cselect_b32 s1, s11, s1
	s_cselect_b32 s6, s29, s6
	s_add_co_i32 s11, s1, 1
	s_wait_alu 0xfffe
	s_cmp_ge_u32 s6, s33
	s_mul_i32 s30, s7, s15
	s_cselect_b32 s1, s11, s1
	s_ashr_i32 s11, s20, 31
	s_xor_b32 s1, s1, s0
	s_ashr_i32 s29, s28, 31
	s_sub_co_i32 s0, s1, s0
	s_mov_b32 s34, s21
	s_ashr_i32 s1, s0, 31
	s_mov_b32 s36, s8
	s_wait_alu 0xfffe
	s_mul_u64 s[0:1], s[0:1], s[10:11]
	s_ashr_i32 s31, s30, 31
	s_lshl_b64 s[62:63], s[0:1], 2
	s_ashr_i32 s35, s21, 31
	s_ashr_i32 s37, s8, 31
	s_lshl_b64 s[60:61], s[28:29], 2
	s_wait_kmcnt 0x0
	s_add_nc_u64 s[0:1], s[16:17], s[62:63]
	s_lshl_b64 s[64:65], s[30:31], 2
	s_wait_alu 0xfffe
	s_mul_u64 s[20:21], s[36:37], s[26:27]
	s_add_nc_u64 s[0:1], s[0:1], s[60:61]
	s_mul_u64 s[28:29], s[34:35], s[24:25]
	s_add_nc_u64 s[10:11], s[0:1], s[64:65]
	s_lshl_b64 s[20:21], s[20:21], 3
	s_lshl_b64 s[0:1], s[28:29], 2
	s_movk_i32 s6, 0x900
	s_cmp_lt_i32 s26, s5
	s_wait_alu 0xfffe
	v_mad_u32_u24 v0, v55, s6, 0x100
	s_add_nc_u64 s[18:19], s[18:19], s[0:1]
	s_cselect_b32 s1, -1, 0
	s_or_b32 s0, s26, 1
	v_mul_u32_u24_e32 v1, 0x90, v57
	v_mov_b32_e32 v62, 0
	v_and_b32_e32 v2, 0x3f0, v48
	s_cmp_lt_i32 s0, s5
	s_add_nc_u64 s[62:63], s[62:63], s[64:65]
	s_cselect_b32 s12, -1, 0
	s_or_b32 s0, s26, 2
	v_lshl_add_u32 v60, v48, 2, v0
	v_add3_u32 v61, v0, v1, v2
	v_dual_mov_b32 v63, 0x100 :: v_dual_lshlrev_b32 v0, 2, v59
	s_cmp_lt_i32 s0, s5
	s_add_nc_u64 s[60:61], s[62:63], s[60:61]
	s_add_nc_u64 s[18:19], s[18:19], s[20:21]
	s_cselect_b32 s20, -1, 0
	s_or_b32 s0, s26, 3
	s_add_nc_u64 s[16:17], s[16:17], s[60:61]
	s_lshl_b32 s21, s8, 2
	s_cmp_lt_i32 s0, s5
	v_add_co_u32 v50, s0, s16, v0
	v_lshl_add_u32 v49, v55, 6, v58
	v_add_co_ci_u32_e64 v51, null, s17, 0, s0
	v_dual_mov_b32 v0, 0 :: v_dual_mov_b32 v3, v62
	v_dual_mov_b32 v1, v62 :: v_dual_mov_b32 v2, v62
	v_dual_mov_b32 v5, v62 :: v_dual_mov_b32 v4, v62
	v_dual_mov_b32 v7, v62 :: v_dual_mov_b32 v6, v62
	v_dual_mov_b32 v9, v62 :: v_dual_mov_b32 v8, 0
	v_dual_mov_b32 v11, v62 :: v_dual_mov_b32 v10, v62
	v_dual_mov_b32 v13, v62 :: v_dual_mov_b32 v12, v62
	v_dual_mov_b32 v15, v62 :: v_dual_mov_b32 v14, v62
	s_cselect_b32 s28, -1, 0
	s_ashr_i32 s67, s7, 31
	s_mov_b32 s66, s7
	s_add_co_i32 s29, s7, s7
	s_mul_i32 s30, s7, 3
	s_lshl_b32 s31, s7, 2
	s_mul_i32 s33, s7, 5
	s_mul_i32 s34, s7, 6
	;; [unrolled: 1-line block ×3, first 2 shown]
	s_lshl_b32 s36, s7, 3
	s_mul_i32 s37, s7, 9
	s_mul_i32 s38, s7, 10
	;; [unrolled: 1-line block ×7, first 2 shown]
	s_lshl_b32 s44, s7, 4
	s_mul_i32 s45, s7, 17
	s_mul_i32 s46, s7, 18
	;; [unrolled: 1-line block ×15, first 2 shown]
	s_lshl_b64 s[6:7], s[66:67], 2
	s_mul_i32 s16, s8, 6
	s_lshl_b32 s17, s8, 1
	s_mov_b32 s8, 0
	s_branch .LBB67_26
.LBB67_24:                              ;   in Loop: Header=BB67_26 Depth=1
	v_mul_lo_u32 v52, v52, s13
	s_delay_alu instid0(VALU_DEP_1) | instskip(NEXT) | instid1(VALU_DEP_1)
	v_add3_u32 v52, v52, s16, v49
	v_ashrrev_i32_e32 v53, 31, v52
	s_delay_alu instid0(VALU_DEP_1) | instskip(NEXT) | instid1(VALU_DEP_1)
	v_lshlrev_b64_e32 v[52:53], 2, v[52:53]
	v_add_co_u32 v52, vcc_lo, s18, v52
	s_wait_alu 0xfffd
	s_delay_alu instid0(VALU_DEP_2)
	v_add_co_ci_u32_e64 v53, null, s19, v53, vcc_lo
	global_load_b64 v[52:53], v[52:53], off
.LBB67_25:                              ;   in Loop: Header=BB67_26 Depth=1
	s_wait_loadcnt 0x0
	s_delay_alu instid0(VALU_DEP_1) | instskip(NEXT) | instid1(VALU_DEP_2)
	v_bfe_u32 v54, v52, 16, 1
	v_bfe_u32 v64, v53, 16, 1
	v_or_b32_e32 v65, 0x400000, v52
	v_cmp_u_f32_e32 vcc_lo, v52, v52
	v_or_b32_e32 v66, 0x400000, v53
	v_add3_u32 v54, v54, v52, 0x7fff
	v_add3_u32 v64, v64, v53, 0x7fff
	ds_store_2addr_b32 v60, v62, v62 offset0:196 offset1:232
	ds_store_b32 v60, v62 offset:2224
	s_wait_alu 0xfffd
	v_dual_cndmask_b32 v52, v54, v65 :: v_dual_add_nc_u32 v59, 0xc0, v59
	v_cmp_u_f32_e32 vcc_lo, v53, v53
	v_add_nc_u32_e32 v54, 0x400, v60
	v_add_co_u32 v50, s0, 0x300, v50
	v_add_nc_u32_e32 v49, 0x180, v49
	s_wait_alu 0xfffd
	v_dual_cndmask_b32 v53, v64, v66 :: v_dual_add_nc_u32 v64, 0x600, v60
	v_cmp_le_i32_e32 vcc_lo, s4, v59
	s_wait_alu 0xf1ff
	v_add_co_ci_u32_e64 v51, null, 0, v51, s0
	s_delay_alu instid0(VALU_DEP_3)
	v_perm_b32 v52, v53, v52, 0x7060302
	ds_store_2addr_b32 v54, v62, v62 offset0:12 offset1:48
	ds_store_2addr_b32 v54, v62, v62 offset0:84 offset1:120
	ds_store_2addr_b32 v54, v62, v62 offset0:156 offset1:192
	ds_store_2addr_b32 v64, v62, v62 offset0:100 offset1:136
	ds_store_2addr_b32 v60, v52, v62 offset0:124 offset1:160
	ds_load_b128 v[64:67], v61 offset:64
	ds_load_b128 v[68:71], v61 offset:96
	;; [unrolled: 1-line block ×4, first 2 shown]
	s_or_b32 s8, vcc_lo, s8
	s_wait_dscnt 0x3
	v_wmma_f32_16x16x16_bf16 v[8:15], v[32:35], v[64:67], v[8:15]
	v_wmma_f32_16x16x16_bf16 v[0:7], v[44:47], v[64:67], v[0:7]
	s_wait_dscnt 0x2
	s_delay_alu instid0(VALU_DEP_2) | instskip(NEXT) | instid1(VALU_DEP_2)
	v_wmma_f32_16x16x16_bf16 v[8:15], v[28:31], v[68:71], v[8:15]
	v_wmma_f32_16x16x16_bf16 v[0:7], v[40:43], v[68:71], v[0:7]
	s_wait_dscnt 0x1
	s_delay_alu instid0(VALU_DEP_2) | instskip(NEXT) | instid1(VALU_DEP_2)
	;; [unrolled: 4-line block ×3, first 2 shown]
	v_wmma_f32_16x16x16_bf16 v[8:15], v[16:19], v[76:79], v[8:15]
	v_wmma_f32_16x16x16_bf16 v[0:7], v[20:23], v[76:79], v[0:7]
	s_and_not1_b32 exec_lo, exec_lo, s8
	s_cbranch_execz .LBB67_41
.LBB67_26:                              ; =>This Inner Loop Header: Depth=1
	v_add_nc_u32_e32 v22, s31, v59
	v_add_nc_u32_e32 v16, s29, v59
	s_wait_alu 0xfffe
	v_add_co_u32 v20, vcc_lo, v50, s6
	v_add_nc_u32_e32 v18, s30, v59
	s_wait_alu 0xfffd
	v_add_co_ci_u32_e64 v21, null, s7, v51, vcc_lo
	v_ashrrev_i32_e32 v23, 31, v22
	v_ashrrev_i32_e32 v17, 31, v16
	v_add_nc_u32_e32 v24, s33, v59
	v_ashrrev_i32_e32 v19, 31, v18
	s_clause 0x1
	global_load_b32 v38, v[50:51], off
	global_load_b32 v39, v[20:21], off
	v_lshlrev_b64_e32 v[20:21], 2, v[22:23]
	v_add_nc_u32_e32 v22, s34, v59
	v_lshlrev_b64_e32 v[16:17], 2, v[16:17]
	v_add_nc_u32_e32 v26, s35, v59
	v_ashrrev_i32_e32 v25, 31, v24
	v_lshlrev_b64_e32 v[18:19], 2, v[18:19]
	v_add_nc_u32_e32 v28, s36, v59
	v_ashrrev_i32_e32 v23, 31, v22
	v_add_nc_u32_e32 v30, s37, v59
	v_ashrrev_i32_e32 v27, 31, v26
	v_add_co_u32 v16, vcc_lo, s10, v16
	v_lshlrev_b64_e32 v[24:25], 2, v[24:25]
	v_ashrrev_i32_e32 v29, 31, v28
	s_wait_alu 0xfffd
	v_add_co_ci_u32_e64 v17, null, s11, v17, vcc_lo
	v_add_co_u32 v18, vcc_lo, s10, v18
	v_lshlrev_b64_e32 v[22:23], 2, v[22:23]
	v_ashrrev_i32_e32 v31, 31, v30
	s_wait_alu 0xfffd
	v_add_co_ci_u32_e64 v19, null, s11, v19, vcc_lo
	v_add_co_u32 v20, vcc_lo, s10, v20
	v_lshlrev_b64_e32 v[26:27], 2, v[26:27]
	s_wait_alu 0xfffd
	v_add_co_ci_u32_e64 v21, null, s11, v21, vcc_lo
	v_add_co_u32 v24, vcc_lo, s10, v24
	v_lshlrev_b64_e32 v[28:29], 2, v[28:29]
	;; [unrolled: 4-line block ×3, first 2 shown]
	s_wait_alu 0xfffd
	v_add_co_ci_u32_e64 v23, null, s11, v23, vcc_lo
	v_add_co_u32 v26, vcc_lo, s10, v26
	v_add_nc_u32_e32 v32, s38, v59
	s_wait_alu 0xfffd
	v_add_co_ci_u32_e64 v27, null, s11, v27, vcc_lo
	v_add_co_u32 v28, vcc_lo, s10, v28
	v_add_nc_u32_e32 v34, s39, v59
	;; [unrolled: 4-line block ×3, first 2 shown]
	v_ashrrev_i32_e32 v33, 31, v32
	s_wait_alu 0xfffd
	v_add_co_ci_u32_e64 v31, null, s11, v31, vcc_lo
	s_clause 0x7
	global_load_b32 v40, v[16:17], off
	global_load_b32 v41, v[18:19], off
	global_load_b32 v42, v[20:21], off
	global_load_b32 v43, v[24:25], off
	global_load_b32 v44, v[22:23], off
	global_load_b32 v45, v[26:27], off
	global_load_b32 v46, v[28:29], off
	global_load_b32 v47, v[30:31], off
	v_add_nc_u32_e32 v18, s41, v59
	v_ashrrev_i32_e32 v35, 31, v34
	v_add_nc_u32_e32 v24, s42, v59
	v_ashrrev_i32_e32 v37, 31, v36
	v_lshlrev_b64_e32 v[32:33], 2, v[32:33]
	v_add_nc_u32_e32 v26, s43, v59
	v_ashrrev_i32_e32 v19, 31, v18
	v_lshlrev_b64_e32 v[16:17], 2, v[34:35]
	;; [unrolled: 3-line block ×3, first 2 shown]
	v_add_nc_u32_e32 v30, s45, v59
	v_ashrrev_i32_e32 v27, 31, v26
	v_add_co_u32 v20, vcc_lo, s10, v32
	v_lshlrev_b64_e32 v[18:19], 2, v[18:19]
	v_ashrrev_i32_e32 v29, 31, v28
	s_wait_alu 0xfffd
	v_add_co_ci_u32_e64 v21, null, s11, v33, vcc_lo
	v_add_co_u32 v16, vcc_lo, s10, v16
	v_lshlrev_b64_e32 v[24:25], 2, v[24:25]
	v_ashrrev_i32_e32 v31, 31, v30
	s_wait_alu 0xfffd
	v_add_co_ci_u32_e64 v17, null, s11, v17, vcc_lo
	v_add_co_u32 v22, vcc_lo, s10, v22
	v_lshlrev_b64_e32 v[26:27], 2, v[26:27]
	s_wait_alu 0xfffd
	v_add_co_ci_u32_e64 v23, null, s11, v23, vcc_lo
	v_add_co_u32 v18, vcc_lo, s10, v18
	v_lshlrev_b64_e32 v[28:29], 2, v[28:29]
	;; [unrolled: 4-line block ×3, first 2 shown]
	s_wait_alu 0xfffd
	v_add_co_ci_u32_e64 v25, null, s11, v25, vcc_lo
	v_add_co_u32 v26, vcc_lo, s10, v26
	v_add_nc_u32_e32 v32, s46, v59
	s_wait_alu 0xfffd
	v_add_co_ci_u32_e64 v27, null, s11, v27, vcc_lo
	v_add_co_u32 v28, vcc_lo, s10, v28
	v_add_nc_u32_e32 v34, s47, v59
	;; [unrolled: 4-line block ×3, first 2 shown]
	v_ashrrev_i32_e32 v33, 31, v32
	s_wait_alu 0xfffd
	v_add_co_ci_u32_e64 v31, null, s11, v31, vcc_lo
	s_clause 0x7
	global_load_b32 v52, v[20:21], off
	global_load_b32 v53, v[16:17], off
	;; [unrolled: 1-line block ×8, first 2 shown]
	v_add_nc_u32_e32 v18, s49, v59
	v_ashrrev_i32_e32 v35, 31, v34
	v_add_nc_u32_e32 v24, s50, v59
	v_ashrrev_i32_e32 v37, 31, v36
	v_lshlrev_b64_e32 v[32:33], 2, v[32:33]
	v_add_nc_u32_e32 v26, s51, v59
	v_ashrrev_i32_e32 v19, 31, v18
	v_lshlrev_b64_e32 v[16:17], 2, v[34:35]
	;; [unrolled: 3-line block ×3, first 2 shown]
	v_add_nc_u32_e32 v30, s53, v59
	v_ashrrev_i32_e32 v27, 31, v26
	v_add_co_u32 v20, vcc_lo, s10, v32
	v_lshlrev_b64_e32 v[18:19], 2, v[18:19]
	v_ashrrev_i32_e32 v29, 31, v28
	s_wait_alu 0xfffd
	v_add_co_ci_u32_e64 v21, null, s11, v33, vcc_lo
	v_add_co_u32 v16, vcc_lo, s10, v16
	v_lshlrev_b64_e32 v[24:25], 2, v[24:25]
	v_ashrrev_i32_e32 v31, 31, v30
	s_wait_alu 0xfffd
	v_add_co_ci_u32_e64 v17, null, s11, v17, vcc_lo
	v_add_co_u32 v22, vcc_lo, s10, v22
	v_lshlrev_b64_e32 v[26:27], 2, v[26:27]
	s_wait_alu 0xfffd
	v_add_co_ci_u32_e64 v23, null, s11, v23, vcc_lo
	v_add_co_u32 v18, vcc_lo, s10, v18
	v_lshlrev_b64_e32 v[28:29], 2, v[28:29]
	;; [unrolled: 4-line block ×3, first 2 shown]
	s_wait_alu 0xfffd
	v_add_co_ci_u32_e64 v25, null, s11, v25, vcc_lo
	v_add_co_u32 v26, vcc_lo, s10, v26
	v_add_nc_u32_e32 v32, s54, v59
	s_wait_alu 0xfffd
	v_add_co_ci_u32_e64 v27, null, s11, v27, vcc_lo
	v_add_co_u32 v28, vcc_lo, s10, v28
	v_add_nc_u32_e32 v34, s55, v59
	;; [unrolled: 4-line block ×3, first 2 shown]
	v_ashrrev_i32_e32 v33, 31, v32
	s_wait_alu 0xfffd
	v_add_co_ci_u32_e64 v31, null, s11, v31, vcc_lo
	s_clause 0x7
	global_load_b32 v69, v[20:21], off
	global_load_b32 v70, v[16:17], off
	;; [unrolled: 1-line block ×8, first 2 shown]
	v_add_nc_u32_e32 v18, s57, v59
	v_ashrrev_i32_e32 v35, 31, v34
	v_add_nc_u32_e32 v24, s58, v59
	v_ashrrev_i32_e32 v37, 31, v36
	v_lshlrev_b64_e32 v[32:33], 2, v[32:33]
	v_add_nc_u32_e32 v26, s59, v59
	v_ashrrev_i32_e32 v19, 31, v18
	v_lshlrev_b64_e32 v[16:17], 2, v[34:35]
	v_ashrrev_i32_e32 v25, 31, v24
	v_lshlrev_b64_e32 v[22:23], 2, v[36:37]
	v_ashrrev_i32_e32 v27, 31, v26
	v_add_co_u32 v20, vcc_lo, s10, v32
	v_lshlrev_b64_e32 v[18:19], 2, v[18:19]
	s_wait_alu 0xfffd
	v_add_co_ci_u32_e64 v21, null, s11, v33, vcc_lo
	v_add_co_u32 v16, vcc_lo, s10, v16
	v_lshlrev_b64_e32 v[24:25], 2, v[24:25]
	s_wait_alu 0xfffd
	v_add_co_ci_u32_e64 v17, null, s11, v17, vcc_lo
	;; [unrolled: 4-line block ×3, first 2 shown]
	v_add_co_u32 v18, vcc_lo, s10, v18
	s_wait_alu 0xfffd
	v_add_co_ci_u32_e64 v19, null, s11, v19, vcc_lo
	v_add_co_u32 v24, vcc_lo, s10, v24
	s_wait_alu 0xfffd
	v_add_co_ci_u32_e64 v25, null, s11, v25, vcc_lo
	;; [unrolled: 3-line block ×3, first 2 shown]
	s_clause 0x5
	global_load_b32 v20, v[20:21], off
	global_load_b32 v21, v[16:17], off
	;; [unrolled: 1-line block ×6, first 2 shown]
	s_and_not1_b32 vcc_lo, exec_lo, s1
	s_wait_loadcnt 0x1f
	ds_store_b32 v60, v38 offset:64
	s_wait_loadcnt 0x1e
	ds_store_b32 v60, v39 offset:208
	;; [unrolled: 2-line block ×16, first 2 shown]
	ds_load_b128 v[32:35], v61 offset:64
	ds_load_b128 v[28:31], v61 offset:96
	;; [unrolled: 1-line block ×4, first 2 shown]
	s_wait_loadcnt 0xf
	ds_store_b32 v60, v67 offset:64
	s_wait_loadcnt 0xe
	ds_store_b32 v60, v68 offset:208
	;; [unrolled: 2-line block ×16, first 2 shown]
	ds_load_b128 v[44:47], v61 offset:64
	ds_load_b128 v[40:43], v61 offset:96
	;; [unrolled: 1-line block ×4, first 2 shown]
	v_dual_mov_b32 v52, 0 :: v_dual_mov_b32 v53, 0
	s_wait_alu 0xfffe
	s_cbranch_vccnz .LBB67_30
; %bb.27:                               ;   in Loop: Header=BB67_26 Depth=1
	ds_load_b32 v52, v63
	s_wait_dscnt 0x0
	v_cmp_gt_i32_e32 vcc_lo, 0, v52
	s_cbranch_vccnz .LBB67_29
; %bb.28:                               ;   in Loop: Header=BB67_26 Depth=1
	v_mad_co_u64_u32 v[52:53], null, v52, s13, v[49:50]
	s_delay_alu instid0(VALU_DEP_1) | instskip(NEXT) | instid1(VALU_DEP_1)
	v_ashrrev_i32_e32 v53, 31, v52
	v_lshlrev_b64_e32 v[52:53], 2, v[52:53]
	s_delay_alu instid0(VALU_DEP_1) | instskip(SKIP_1) | instid1(VALU_DEP_2)
	v_add_co_u32 v52, vcc_lo, s18, v52
	s_wait_alu 0xfffd
	v_add_co_ci_u32_e64 v53, null, s19, v53, vcc_lo
	global_load_b64 v[52:53], v[52:53], off
	s_branch .LBB67_30
.LBB67_29:                              ;   in Loop: Header=BB67_26 Depth=1
	v_dual_mov_b32 v52, 0 :: v_dual_mov_b32 v53, 0
.LBB67_30:                              ;   in Loop: Header=BB67_26 Depth=1
	s_wait_loadcnt 0x0
	s_delay_alu instid0(VALU_DEP_1) | instskip(NEXT) | instid1(VALU_DEP_2)
	v_bfe_u32 v54, v52, 16, 1
	v_bfe_u32 v64, v53, 16, 1
	v_or_b32_e32 v65, 0x400000, v52
	v_cmp_u_f32_e32 vcc_lo, v52, v52
	v_or_b32_e32 v66, 0x400000, v53
	v_add3_u32 v54, v54, v52, 0x7fff
	v_add3_u32 v64, v64, v53, 0x7fff
	v_mov_b32_e32 v52, 0
	s_wait_alu 0xfffd
	s_delay_alu instid0(VALU_DEP_3) | instskip(SKIP_4) | instid1(VALU_DEP_1)
	v_cndmask_b32_e32 v54, v54, v65, vcc_lo
	v_cmp_u_f32_e32 vcc_lo, v53, v53
	s_wait_alu 0xfffd
	v_cndmask_b32_e32 v53, v64, v66, vcc_lo
	s_and_not1_b32 vcc_lo, exec_lo, s12
	v_perm_b32 v64, v53, v54, 0x7060302
	v_dual_mov_b32 v53, 0 :: v_dual_mov_b32 v54, 0
	ds_store_b32 v60, v64 offset:64
	s_wait_alu 0xfffe
	s_cbranch_vccnz .LBB67_34
; %bb.31:                               ;   in Loop: Header=BB67_26 Depth=1
	ds_load_b32 v53, v63 offset:4
	s_wait_dscnt 0x0
	v_cmp_gt_i32_e32 vcc_lo, 0, v53
	s_cbranch_vccnz .LBB67_33
; %bb.32:                               ;   in Loop: Header=BB67_26 Depth=1
	v_mul_lo_u32 v53, v53, s13
	s_delay_alu instid0(VALU_DEP_1) | instskip(NEXT) | instid1(VALU_DEP_1)
	v_add3_u32 v53, v53, s17, v49
	v_ashrrev_i32_e32 v54, 31, v53
	s_delay_alu instid0(VALU_DEP_1) | instskip(NEXT) | instid1(VALU_DEP_1)
	v_lshlrev_b64_e32 v[53:54], 2, v[53:54]
	v_add_co_u32 v53, vcc_lo, s18, v53
	s_wait_alu 0xfffd
	s_delay_alu instid0(VALU_DEP_2)
	v_add_co_ci_u32_e64 v54, null, s19, v54, vcc_lo
	global_load_b64 v[53:54], v[53:54], off
	s_branch .LBB67_34
.LBB67_33:                              ;   in Loop: Header=BB67_26 Depth=1
	v_dual_mov_b32 v53, 0 :: v_dual_mov_b32 v54, 0
.LBB67_34:                              ;   in Loop: Header=BB67_26 Depth=1
	s_wait_loadcnt 0x0
	s_delay_alu instid0(VALU_DEP_1) | instskip(NEXT) | instid1(VALU_DEP_2)
	v_bfe_u32 v64, v53, 16, 1
	v_bfe_u32 v65, v54, 16, 1
	v_or_b32_e32 v66, 0x400000, v53
	v_cmp_u_f32_e32 vcc_lo, v53, v53
	v_or_b32_e32 v67, 0x400000, v54
	v_add3_u32 v64, v64, v53, 0x7fff
	v_add3_u32 v65, v65, v54, 0x7fff
	s_wait_alu 0xfffd
	s_delay_alu instid0(VALU_DEP_2) | instskip(SKIP_4) | instid1(VALU_DEP_1)
	v_cndmask_b32_e32 v53, v64, v66, vcc_lo
	v_cmp_u_f32_e32 vcc_lo, v54, v54
	s_wait_alu 0xfffd
	v_cndmask_b32_e32 v54, v65, v67, vcc_lo
	s_and_not1_b32 vcc_lo, exec_lo, s20
	v_perm_b32 v54, v54, v53, 0x7060302
	v_mov_b32_e32 v53, 0
	ds_store_b32 v60, v54 offset:208
	s_wait_alu 0xfffe
	s_cbranch_vccnz .LBB67_38
; %bb.35:                               ;   in Loop: Header=BB67_26 Depth=1
	ds_load_b32 v52, v63 offset:8
	s_wait_dscnt 0x0
	v_cmp_gt_i32_e32 vcc_lo, 0, v52
	s_cbranch_vccnz .LBB67_37
; %bb.36:                               ;   in Loop: Header=BB67_26 Depth=1
	v_mul_lo_u32 v52, v52, s13
	s_delay_alu instid0(VALU_DEP_1) | instskip(NEXT) | instid1(VALU_DEP_1)
	v_add3_u32 v52, v52, s21, v49
	v_ashrrev_i32_e32 v53, 31, v52
	s_delay_alu instid0(VALU_DEP_1) | instskip(NEXT) | instid1(VALU_DEP_1)
	v_lshlrev_b64_e32 v[52:53], 2, v[52:53]
	v_add_co_u32 v52, vcc_lo, s18, v52
	s_wait_alu 0xfffd
	s_delay_alu instid0(VALU_DEP_2)
	v_add_co_ci_u32_e64 v53, null, s19, v53, vcc_lo
	global_load_b64 v[52:53], v[52:53], off
	s_branch .LBB67_38
.LBB67_37:                              ;   in Loop: Header=BB67_26 Depth=1
	v_dual_mov_b32 v52, 0 :: v_dual_mov_b32 v53, 0
.LBB67_38:                              ;   in Loop: Header=BB67_26 Depth=1
	s_wait_loadcnt 0x0
	s_delay_alu instid0(VALU_DEP_1) | instskip(NEXT) | instid1(VALU_DEP_2)
	v_bfe_u32 v54, v52, 16, 1
	v_bfe_u32 v64, v53, 16, 1
	v_or_b32_e32 v65, 0x400000, v52
	v_cmp_u_f32_e32 vcc_lo, v52, v52
	v_or_b32_e32 v66, 0x400000, v53
	v_add3_u32 v54, v54, v52, 0x7fff
	v_add3_u32 v64, v64, v53, 0x7fff
	s_wait_alu 0xfffd
	s_delay_alu instid0(VALU_DEP_2) | instskip(SKIP_4) | instid1(VALU_DEP_1)
	v_cndmask_b32_e32 v52, v54, v65, vcc_lo
	v_cmp_u_f32_e32 vcc_lo, v53, v53
	s_wait_alu 0xfffd
	v_cndmask_b32_e32 v53, v64, v66, vcc_lo
	s_and_not1_b32 vcc_lo, exec_lo, s28
	v_perm_b32 v54, v53, v52, 0x7060302
	v_dual_mov_b32 v52, 0 :: v_dual_mov_b32 v53, 0
	ds_store_b32 v60, v54 offset:352
	s_wait_alu 0xfffe
	s_cbranch_vccnz .LBB67_25
; %bb.39:                               ;   in Loop: Header=BB67_26 Depth=1
	ds_load_b32 v52, v63 offset:12
	s_wait_dscnt 0x0
	v_cmp_gt_i32_e32 vcc_lo, 0, v52
	s_cbranch_vccz .LBB67_24
; %bb.40:                               ;   in Loop: Header=BB67_26 Depth=1
	v_dual_mov_b32 v52, 0 :: v_dual_mov_b32 v53, 0
	s_branch .LBB67_25
.LBB67_41:
	s_or_b32 exec_lo, exec_lo, s8
.LBB67_42:
	s_delay_alu instid0(SALU_CYCLE_1)
	s_or_b32 exec_lo, exec_lo, s23
	v_lshl_add_u32 v16, v56, 2, 0x100
	v_mul_u32_u24_e32 v17, 0x310, v57
	v_and_b32_e32 v18, 0x7e0, v58
	v_cmp_gt_u32_e32 vcc_lo, 4, v55
	s_wait_loadcnt_dscnt 0x0
	s_barrier_signal -1
	s_barrier_wait -1
	v_add3_u32 v17, v16, v17, v18
	global_inv scope:SCOPE_SE
	ds_store_2addr_b32 v17, v8, v9 offset0:16 offset1:17
	ds_store_2addr_b32 v17, v10, v11 offset0:18 offset1:19
	;; [unrolled: 1-line block ×8, first 2 shown]
	s_wait_loadcnt_dscnt 0x0
	s_barrier_signal -1
	s_barrier_wait -1
	global_inv scope:SCOPE_SE
	s_and_b32 exec_lo, exec_lo, vcc_lo
	s_cbranch_execz .LBB67_45
; %bb.43:
	v_mad_i32_i24 v0, 0xffffff84, v55, v16
	v_or_b32_e32 v1, s26, v55
	ds_load_b32 v0, v0
	v_cmp_gt_i32_e64 s0, s5, v1
	s_wait_dscnt 0x0
	v_cmp_lt_i32_e32 vcc_lo, -1, v0
	s_and_b32 s0, vcc_lo, s0
	s_wait_alu 0xfffe
	s_and_b32 exec_lo, exec_lo, s0
	s_cbranch_execz .LBB67_45
; %bb.44:
	v_lshlrev_b32_e32 v1, 2, v48
	v_mul_u32_u24_e32 v2, 0x310, v55
	v_mul_lo_u32 v0, v0, s14
	v_add_nc_u32_e32 v7, s15, v48
	s_ashr_i32 s1, s22, 31
	s_mov_b32 s0, s22
	v_add3_u32 v5, 0x100, v1, v2
	s_ashr_i32 s5, s9, 31
	s_mov_b32 s4, s9
	s_wait_alu 0xfffe
	s_mul_u64 s[0:1], s[0:1], s[24:25]
	ds_load_2addr_b32 v[1:2], v5 offset0:16 offset1:48
	ds_load_2addr_b32 v[3:4], v5 offset0:80 offset1:112
	;; [unrolled: 1-line block ×3, first 2 shown]
	s_mul_u64 s[4:5], s[26:27], s[4:5]
	s_wait_alu 0xfffe
	s_lshl_b64 s[0:1], s[0:1], 2
	s_lshl_b64 s[4:5], s[4:5], 2
	s_wait_kmcnt 0x0
	s_wait_alu 0xfffe
	s_add_nc_u64 s[0:1], s[2:3], s[0:1]
	s_wait_alu 0xfffe
	s_add_nc_u64 s[0:1], s[0:1], s[4:5]
	s_wait_dscnt 0x2
	v_add_f32_e32 v1, 0, v1
	s_delay_alu instid0(VALU_DEP_1) | instskip(SKIP_2) | instid1(VALU_DEP_2)
	v_add_f32_e32 v1, v1, v2
	v_mul_lo_u32 v2, v55, s9
	s_wait_dscnt 0x1
	v_add_f32_e32 v3, v1, v3
	v_mov_b32_e32 v1, 0
	s_delay_alu instid0(VALU_DEP_3) | instskip(NEXT) | instid1(VALU_DEP_3)
	v_add3_u32 v0, v7, v2, v0
	v_add_f32_e32 v3, v3, v4
	s_delay_alu instid0(VALU_DEP_2) | instskip(SKIP_1) | instid1(VALU_DEP_2)
	v_lshlrev_b64_e32 v[0:1], 2, v[0:1]
	s_wait_dscnt 0x0
	v_add_f32_e32 v2, v3, v5
	s_wait_alu 0xfffe
	s_delay_alu instid0(VALU_DEP_2) | instskip(NEXT) | instid1(VALU_DEP_2)
	v_add_co_u32 v0, vcc_lo, s0, v0
	v_add_f32_e32 v2, v2, v6
	s_wait_alu 0xfffd
	v_add_co_ci_u32_e64 v1, null, s1, v1, vcc_lo
	global_store_b32 v[0:1], v2, off
.LBB67_45:
	s_endpgm
	.section	.rodata,"a",@progbits
	.p2align	6, 0x0
	.amdhsa_kernel _ZL9mul_mat_fI15__hip_bfloat162Li32ELi4ELi6ELb1EEvPKT_PKfPKiPfiiiiiiiiiiiiiiii
		.amdhsa_group_segment_fixed_size 256
		.amdhsa_private_segment_fixed_size 0
		.amdhsa_kernarg_size 352
		.amdhsa_user_sgpr_count 2
		.amdhsa_user_sgpr_dispatch_ptr 0
		.amdhsa_user_sgpr_queue_ptr 0
		.amdhsa_user_sgpr_kernarg_segment_ptr 1
		.amdhsa_user_sgpr_dispatch_id 0
		.amdhsa_user_sgpr_private_segment_size 0
		.amdhsa_wavefront_size32 1
		.amdhsa_uses_dynamic_stack 0
		.amdhsa_enable_private_segment 0
		.amdhsa_system_sgpr_workgroup_id_x 1
		.amdhsa_system_sgpr_workgroup_id_y 1
		.amdhsa_system_sgpr_workgroup_id_z 1
		.amdhsa_system_sgpr_workgroup_info 0
		.amdhsa_system_vgpr_workitem_id 2
		.amdhsa_next_free_vgpr 80
		.amdhsa_next_free_sgpr 68
		.amdhsa_reserve_vcc 1
		.amdhsa_float_round_mode_32 0
		.amdhsa_float_round_mode_16_64 0
		.amdhsa_float_denorm_mode_32 3
		.amdhsa_float_denorm_mode_16_64 3
		.amdhsa_fp16_overflow 0
		.amdhsa_workgroup_processor_mode 1
		.amdhsa_memory_ordered 1
		.amdhsa_forward_progress 1
		.amdhsa_inst_pref_size 43
		.amdhsa_round_robin_scheduling 0
		.amdhsa_exception_fp_ieee_invalid_op 0
		.amdhsa_exception_fp_denorm_src 0
		.amdhsa_exception_fp_ieee_div_zero 0
		.amdhsa_exception_fp_ieee_overflow 0
		.amdhsa_exception_fp_ieee_underflow 0
		.amdhsa_exception_fp_ieee_inexact 0
		.amdhsa_exception_int_div_zero 0
	.end_amdhsa_kernel
	.section	.text._ZL9mul_mat_fI15__hip_bfloat162Li32ELi4ELi6ELb1EEvPKT_PKfPKiPfiiiiiiiiiiiiiiii,"axG",@progbits,_ZL9mul_mat_fI15__hip_bfloat162Li32ELi4ELi6ELb1EEvPKT_PKfPKiPfiiiiiiiiiiiiiiii,comdat
.Lfunc_end67:
	.size	_ZL9mul_mat_fI15__hip_bfloat162Li32ELi4ELi6ELb1EEvPKT_PKfPKiPfiiiiiiiiiiiiiiii, .Lfunc_end67-_ZL9mul_mat_fI15__hip_bfloat162Li32ELi4ELi6ELb1EEvPKT_PKfPKiPfiiiiiiiiiiiiiiii
                                        ; -- End function
	.set _ZL9mul_mat_fI15__hip_bfloat162Li32ELi4ELi6ELb1EEvPKT_PKfPKiPfiiiiiiiiiiiiiiii.num_vgpr, 80
	.set _ZL9mul_mat_fI15__hip_bfloat162Li32ELi4ELi6ELb1EEvPKT_PKfPKiPfiiiiiiiiiiiiiiii.num_agpr, 0
	.set _ZL9mul_mat_fI15__hip_bfloat162Li32ELi4ELi6ELb1EEvPKT_PKfPKiPfiiiiiiiiiiiiiiii.numbered_sgpr, 68
	.set _ZL9mul_mat_fI15__hip_bfloat162Li32ELi4ELi6ELb1EEvPKT_PKfPKiPfiiiiiiiiiiiiiiii.num_named_barrier, 0
	.set _ZL9mul_mat_fI15__hip_bfloat162Li32ELi4ELi6ELb1EEvPKT_PKfPKiPfiiiiiiiiiiiiiiii.private_seg_size, 0
	.set _ZL9mul_mat_fI15__hip_bfloat162Li32ELi4ELi6ELb1EEvPKT_PKfPKiPfiiiiiiiiiiiiiiii.uses_vcc, 1
	.set _ZL9mul_mat_fI15__hip_bfloat162Li32ELi4ELi6ELb1EEvPKT_PKfPKiPfiiiiiiiiiiiiiiii.uses_flat_scratch, 0
	.set _ZL9mul_mat_fI15__hip_bfloat162Li32ELi4ELi6ELb1EEvPKT_PKfPKiPfiiiiiiiiiiiiiiii.has_dyn_sized_stack, 0
	.set _ZL9mul_mat_fI15__hip_bfloat162Li32ELi4ELi6ELb1EEvPKT_PKfPKiPfiiiiiiiiiiiiiiii.has_recursion, 0
	.set _ZL9mul_mat_fI15__hip_bfloat162Li32ELi4ELi6ELb1EEvPKT_PKfPKiPfiiiiiiiiiiiiiiii.has_indirect_call, 0
	.section	.AMDGPU.csdata,"",@progbits
; Kernel info:
; codeLenInByte = 5408
; TotalNumSgprs: 70
; NumVgprs: 80
; ScratchSize: 0
; MemoryBound: 0
; FloatMode: 240
; IeeeMode: 1
; LDSByteSize: 256 bytes/workgroup (compile time only)
; SGPRBlocks: 0
; VGPRBlocks: 9
; NumSGPRsForWavesPerEU: 70
; NumVGPRsForWavesPerEU: 80
; Occupancy: 16
; WaveLimiterHint : 0
; COMPUTE_PGM_RSRC2:SCRATCH_EN: 0
; COMPUTE_PGM_RSRC2:USER_SGPR: 2
; COMPUTE_PGM_RSRC2:TRAP_HANDLER: 0
; COMPUTE_PGM_RSRC2:TGID_X_EN: 1
; COMPUTE_PGM_RSRC2:TGID_Y_EN: 1
; COMPUTE_PGM_RSRC2:TGID_Z_EN: 1
; COMPUTE_PGM_RSRC2:TIDIG_COMP_CNT: 2
	.section	.text._ZL9mul_mat_fI15__hip_bfloat162Li32ELi4ELi6ELb0EEvPKT_PKfPKiPfiiiiiiiiiiiiiiii,"axG",@progbits,_ZL9mul_mat_fI15__hip_bfloat162Li32ELi4ELi6ELb0EEvPKT_PKfPKiPfiiiiiiiiiiiiiiii,comdat
	.globl	_ZL9mul_mat_fI15__hip_bfloat162Li32ELi4ELi6ELb0EEvPKT_PKfPKiPfiiiiiiiiiiiiiiii ; -- Begin function _ZL9mul_mat_fI15__hip_bfloat162Li32ELi4ELi6ELb0EEvPKT_PKfPKiPfiiiiiiiiiiiiiiii
	.p2align	8
	.type	_ZL9mul_mat_fI15__hip_bfloat162Li32ELi4ELi6ELb0EEvPKT_PKfPKiPfiiiiiiiiiiiiiiii,@function
_ZL9mul_mat_fI15__hip_bfloat162Li32ELi4ELi6ELb0EEvPKT_PKfPKiPfiiiiiiiiiiiiiiii: ; @_ZL9mul_mat_fI15__hip_bfloat162Li32ELi4ELi6ELb0EEvPKT_PKfPKiPfiiiiiiiiiiiiiiii
; %bb.0:
	s_clause 0x1
	s_load_b256 s[4:11], s[0:1], 0x40
	s_load_b32 s21, s[0:1], 0x20
	v_bfe_u32 v37, v0, 10, 10
	v_and_b32_e32 v36, 0x3ff, v0
	s_mov_b32 s15, exec_lo
	s_delay_alu instid0(VALU_DEP_2) | instskip(NEXT) | instid1(VALU_DEP_2)
	v_lshlrev_b32_e32 v39, 5, v37
	v_and_b32_e32 v40, 15, v36
	s_delay_alu instid0(VALU_DEP_2)
	v_add_nc_u32_e32 v41, v39, v36
	s_wait_kmcnt 0x0
	s_abs_i32 s12, s4
	s_abs_i32 s23, s8
	s_cvt_f32_u32 s2, s12
	s_cvt_f32_u32 s3, s23
	s_delay_alu instid0(SALU_CYCLE_2) | instskip(NEXT) | instid1(SALU_CYCLE_2)
	v_rcp_iflag_f32_e32 v0, s2
	v_rcp_iflag_f32_e32 v1, s3
	s_mov_b32 s3, 0
	s_lshr_b32 s2, ttmp7, 16
	s_delay_alu instid0(TRANS32_DEP_2) | instskip(NEXT) | instid1(TRANS32_DEP_1)
	v_readfirstlane_b32 s13, v0
	v_readfirstlane_b32 s14, v1
	v_cmpx_le_i32_e64 s21, v41
	s_xor_b32 s15, exec_lo, s15
; %bb.1:
	v_and_b32_e32 v40, 15, v36
                                        ; implicit-def: $vgpr41
; %bb.2:
	s_or_saveexec_b32 s22, s15
	s_load_b96 s[16:18], s[0:1], 0x2c
	v_dual_mov_b32 v15, 0 :: v_dual_lshlrev_b32 v38, 2, v36
	s_and_b32 s19, ttmp7, 0xffff
	s_lshl_b32 s20, ttmp9, 5
	s_delay_alu instid0(VALU_DEP_1)
	v_dual_mov_b32 v14, v15 :: v_dual_mov_b32 v13, v15
	v_dual_mov_b32 v12, v15 :: v_dual_mov_b32 v11, v15
	;; [unrolled: 1-line block ×7, first 2 shown]
	v_mov_b32_e32 v0, v15
	s_xor_b32 exec_lo, exec_lo, s22
	s_cbranch_execz .LBB68_6
; %bb.3:
	s_mul_f32 s13, s13, 0x4f7ffffe
	s_mul_f32 s14, s14, 0x4f7ffffe
	s_sub_co_i32 s24, 0, s12
	s_sub_co_i32 s25, 0, s23
	s_cvt_u32_f32 s13, s13
	s_cvt_u32_f32 s27, s14
	s_abs_i32 s14, s19
	s_mov_b32 s15, s3
	s_mul_i32 s24, s24, s13
	s_mul_i32 s25, s25, s27
	s_mul_hi_u32 s24, s13, s24
	s_mul_hi_u32 s28, s27, s25
	s_add_co_i32 s24, s13, s24
	s_mov_b32 s25, s3
	s_abs_i32 s26, s2
	s_mul_u64 s[24:25], s[14:15], s[24:25]
	s_ashr_i32 s24, s8, 31
	s_mul_i32 s13, s25, s12
	s_add_co_i32 s28, s27, s28
	s_sub_co_i32 s8, s14, s13
	s_ashr_i32 s4, s4, 31
	s_add_co_i32 s13, s25, 1
	s_sub_co_i32 s14, s8, s12
	s_cmp_ge_u32 s8, s12
	s_mov_b32 s27, s3
	s_cselect_b32 s13, s13, s25
	s_mov_b32 s29, s3
	s_cselect_b32 s8, s14, s8
	s_add_co_i32 s14, s13, 1
	s_mul_u64 s[28:29], s[26:27], s[28:29]
	s_cmp_ge_u32 s8, s12
	s_mul_i32 s12, s29, s23
	s_cselect_b32 s8, s14, s13
	s_sub_co_i32 s25, s26, s12
	s_xor_b32 s8, s8, s4
	s_load_b128 s[12:15], s[0:1], 0x0
	s_sub_co_i32 s26, s8, s4
	s_add_co_i32 s4, s29, 1
	s_sub_co_i32 s8, s25, s23
	s_cmp_ge_u32 s25, s23
	v_mad_u32_u24 v0, 0x900, v37, 0
	s_cselect_b32 s4, s4, s29
	s_cselect_b32 s8, s8, s25
	s_add_co_i32 s25, s4, 1
	s_cmp_ge_u32 s8, s23
	s_mov_b32 s8, s9
	s_cselect_b32 s4, s25, s4
	s_ashr_i32 s9, s9, 31
	s_xor_b32 s4, s4, s24
	v_mul_u32_u24_e32 v1, 0x90, v40
	s_sub_co_i32 s24, s4, s24
	v_and_b32_e32 v2, 0x3f0, v36
	s_ashr_i32 s25, s24, 31
	v_add_nc_u32_e32 v42, v0, v38
	s_mul_u64 s[8:9], s[24:25], s[8:9]
	s_mul_i32 s24, s26, s5
	s_lshl_b64 s[54:55], s[8:9], 2
	s_ashr_i32 s25, s24, 31
	s_wait_kmcnt 0x0
	s_add_nc_u64 s[8:9], s[12:13], s[54:55]
	s_lshl_b64 s[56:57], s[24:25], 2
	s_mul_i32 s24, s16, s20
	v_add3_u32 v43, v0, v1, v2
	s_ashr_i32 s25, s24, 31
	v_dual_mov_b32 v0, 0 :: v_dual_lshlrev_b32 v1, 7, v37
	s_lshl_b64 s[60:61], s[24:25], 2
	s_add_nc_u64 s[8:9], s[8:9], s[56:57]
	s_add_nc_u64 s[56:57], s[56:57], s[60:61]
	s_mov_b32 s4, s10
	s_add_nc_u64 s[54:55], s[56:57], s[54:55]
	s_ashr_i32 s5, s10, 31
	v_add_co_u32 v1, s53, s54, v1
	s_delay_alu instid0(VALU_DEP_1) | instskip(SKIP_2) | instid1(VALU_DEP_3)
	v_add_co_ci_u32_e64 v2, null, s55, 0, s53
	v_dual_mov_b32 v44, 0 :: v_dual_lshlrev_b32 v3, 8, v37
	s_mul_u64 s[4:5], s[4:5], s[2:3]
	v_add_co_u32 v1, vcc_lo, v1, v38
	s_lshl_b64 s[58:59], s[4:5], 2
	v_add_co_ci_u32_e64 v2, null, 0, v2, vcc_lo
	v_add_co_u32 v3, s53, s58, v3
	v_lshlrev_b32_e32 v5, 3, v36
	s_mul_i32 s4, s6, s19
	s_wait_alu 0xf1ff
	v_add_co_ci_u32_e64 v4, null, s59, 0, s53
	v_add_co_u32 v32, vcc_lo, s12, v1
	s_ashr_i32 s5, s4, 31
	s_wait_alu 0xfffd
	v_add_co_ci_u32_e64 v33, null, s13, v2, vcc_lo
	v_add_co_u32 v1, vcc_lo, v3, v5
	s_lshl_b64 s[62:63], s[4:5], 2
	s_wait_alu 0xfffd
	v_add_co_ci_u32_e64 v2, null, 0, v4, vcc_lo
	s_add_nc_u64 s[12:13], s[14:15], s[62:63]
	v_dual_mov_b32 v3, v0 :: v_dual_mov_b32 v4, v0
	s_wait_alu 0xfffe
	v_add_co_u32 v34, vcc_lo, s12, v1
	s_wait_alu 0xfffd
	v_add_co_ci_u32_e64 v35, null, s13, v2, vcc_lo
	v_dual_mov_b32 v1, v0 :: v_dual_mov_b32 v2, v0
	v_dual_mov_b32 v5, v0 :: v_dual_mov_b32 v6, v0
	;; [unrolled: 1-line block ×6, first 2 shown]
	v_mov_b32_e32 v15, v0
	s_add_nc_u64 s[26:27], s[14:15], s[58:59]
	s_ashr_i32 s65, s16, 31
	s_mov_b32 s64, s16
	s_ashr_i32 s67, s17, 31
	s_mov_b32 s66, s17
	s_add_nc_u64 s[4:5], s[8:9], s[60:61]
	s_add_nc_u64 s[8:9], s[26:27], s[62:63]
	s_mov_b32 s6, 0
	s_add_co_i32 s10, s16, s16
	s_add_co_i32 s23, s17, s17
	s_mul_i32 s17, s17, 3
	s_mul_i32 s24, s16, 3
	s_lshl_b32 s25, s16, 2
	s_mul_i32 s26, s16, 5
	s_mul_i32 s27, s16, 6
	;; [unrolled: 1-line block ×3, first 2 shown]
	s_lshl_b32 s29, s16, 3
	s_mul_i32 s30, s16, 9
	s_mul_i32 s31, s16, 10
	;; [unrolled: 1-line block ×7, first 2 shown]
	s_lshl_b32 s38, s16, 4
	s_mul_i32 s39, s16, 17
	s_mul_i32 s40, s16, 18
	s_mul_i32 s41, s16, 19
	s_mul_i32 s42, s16, 20
	s_mul_i32 s43, s16, 21
	s_mul_i32 s44, s16, 22
	s_mul_i32 s45, s16, 23
	s_mul_i32 s46, s16, 24
	s_mul_i32 s47, s16, 25
	s_mul_i32 s48, s16, 26
	s_mul_i32 s49, s16, 27
	s_mul_i32 s50, s16, 28
	s_mul_i32 s51, s16, 29
	s_mul_i32 s52, s16, 30
	s_mul_i32 s16, s16, 31
	s_lshl_b64 s[12:13], s[64:65], 2
	s_lshl_b64 s[14:15], s[66:67], 3
.LBB68_4:                               ; =>This Inner Loop Header: Depth=1
	global_load_b32 v16, v[32:33], off
	v_add_nc_u32_e32 v45, s38, v41
	s_delay_alu instid0(VALU_DEP_1) | instskip(NEXT) | instid1(VALU_DEP_1)
	v_ashrrev_i32_e32 v46, 31, v45
	v_lshlrev_b64_e32 v[45:46], 2, v[45:46]
	s_wait_loadcnt 0x0
	ds_store_b32 v42, v16
	s_wait_alu 0xfffe
	v_add_co_u32 v16, vcc_lo, v32, s12
	s_wait_alu 0xfffd
	v_add_co_ci_u32_e64 v17, null, s13, v33, vcc_lo
	global_load_b32 v16, v[16:17], off
	s_wait_loadcnt 0x0
	ds_store_b32 v42, v16 offset:144
	v_add_nc_u32_e32 v16, s10, v41
	s_delay_alu instid0(VALU_DEP_1) | instskip(NEXT) | instid1(VALU_DEP_1)
	v_ashrrev_i32_e32 v17, 31, v16
	v_lshlrev_b64_e32 v[16:17], 2, v[16:17]
	s_delay_alu instid0(VALU_DEP_1) | instskip(SKIP_1) | instid1(VALU_DEP_2)
	v_add_co_u32 v16, vcc_lo, s4, v16
	s_wait_alu 0xfffd
	v_add_co_ci_u32_e64 v17, null, s5, v17, vcc_lo
	global_load_b32 v16, v[16:17], off
	s_wait_loadcnt 0x0
	ds_store_b32 v42, v16 offset:288
	v_add_nc_u32_e32 v16, s24, v41
	s_delay_alu instid0(VALU_DEP_1) | instskip(NEXT) | instid1(VALU_DEP_1)
	v_ashrrev_i32_e32 v17, 31, v16
	v_lshlrev_b64_e32 v[16:17], 2, v[16:17]
	s_delay_alu instid0(VALU_DEP_1) | instskip(SKIP_1) | instid1(VALU_DEP_2)
	v_add_co_u32 v16, vcc_lo, s4, v16
	s_wait_alu 0xfffd
	v_add_co_ci_u32_e64 v17, null, s5, v17, vcc_lo
	global_load_b32 v16, v[16:17], off
	s_wait_loadcnt 0x0
	ds_store_b32 v42, v16 offset:432
	v_add_nc_u32_e32 v16, s25, v41
	s_delay_alu instid0(VALU_DEP_1) | instskip(NEXT) | instid1(VALU_DEP_1)
	v_ashrrev_i32_e32 v17, 31, v16
	v_lshlrev_b64_e32 v[16:17], 2, v[16:17]
	s_delay_alu instid0(VALU_DEP_1) | instskip(SKIP_1) | instid1(VALU_DEP_2)
	v_add_co_u32 v16, vcc_lo, s4, v16
	s_wait_alu 0xfffd
	v_add_co_ci_u32_e64 v17, null, s5, v17, vcc_lo
	global_load_b32 v16, v[16:17], off
	s_wait_loadcnt 0x0
	ds_store_b32 v42, v16 offset:576
	v_add_nc_u32_e32 v16, s26, v41
	s_delay_alu instid0(VALU_DEP_1) | instskip(NEXT) | instid1(VALU_DEP_1)
	v_ashrrev_i32_e32 v17, 31, v16
	v_lshlrev_b64_e32 v[16:17], 2, v[16:17]
	s_delay_alu instid0(VALU_DEP_1) | instskip(SKIP_1) | instid1(VALU_DEP_2)
	v_add_co_u32 v16, vcc_lo, s4, v16
	s_wait_alu 0xfffd
	v_add_co_ci_u32_e64 v17, null, s5, v17, vcc_lo
	global_load_b32 v16, v[16:17], off
	s_wait_loadcnt 0x0
	ds_store_b32 v42, v16 offset:720
	v_add_nc_u32_e32 v16, s27, v41
	s_delay_alu instid0(VALU_DEP_1) | instskip(NEXT) | instid1(VALU_DEP_1)
	v_ashrrev_i32_e32 v17, 31, v16
	v_lshlrev_b64_e32 v[16:17], 2, v[16:17]
	s_delay_alu instid0(VALU_DEP_1) | instskip(SKIP_1) | instid1(VALU_DEP_2)
	v_add_co_u32 v16, vcc_lo, s4, v16
	s_wait_alu 0xfffd
	v_add_co_ci_u32_e64 v17, null, s5, v17, vcc_lo
	global_load_b32 v16, v[16:17], off
	s_wait_loadcnt 0x0
	ds_store_b32 v42, v16 offset:864
	v_add_nc_u32_e32 v16, s28, v41
	s_delay_alu instid0(VALU_DEP_1) | instskip(NEXT) | instid1(VALU_DEP_1)
	v_ashrrev_i32_e32 v17, 31, v16
	v_lshlrev_b64_e32 v[16:17], 2, v[16:17]
	s_delay_alu instid0(VALU_DEP_1) | instskip(SKIP_1) | instid1(VALU_DEP_2)
	v_add_co_u32 v16, vcc_lo, s4, v16
	s_wait_alu 0xfffd
	v_add_co_ci_u32_e64 v17, null, s5, v17, vcc_lo
	global_load_b32 v16, v[16:17], off
	s_wait_loadcnt 0x0
	ds_store_b32 v42, v16 offset:1008
	v_add_nc_u32_e32 v16, s29, v41
	s_delay_alu instid0(VALU_DEP_1) | instskip(NEXT) | instid1(VALU_DEP_1)
	v_ashrrev_i32_e32 v17, 31, v16
	v_lshlrev_b64_e32 v[16:17], 2, v[16:17]
	s_delay_alu instid0(VALU_DEP_1) | instskip(SKIP_1) | instid1(VALU_DEP_2)
	v_add_co_u32 v16, vcc_lo, s4, v16
	s_wait_alu 0xfffd
	v_add_co_ci_u32_e64 v17, null, s5, v17, vcc_lo
	global_load_b32 v16, v[16:17], off
	s_wait_loadcnt 0x0
	ds_store_b32 v42, v16 offset:1152
	v_add_nc_u32_e32 v16, s30, v41
	s_delay_alu instid0(VALU_DEP_1) | instskip(NEXT) | instid1(VALU_DEP_1)
	v_ashrrev_i32_e32 v17, 31, v16
	v_lshlrev_b64_e32 v[16:17], 2, v[16:17]
	s_delay_alu instid0(VALU_DEP_1) | instskip(SKIP_1) | instid1(VALU_DEP_2)
	v_add_co_u32 v16, vcc_lo, s4, v16
	s_wait_alu 0xfffd
	v_add_co_ci_u32_e64 v17, null, s5, v17, vcc_lo
	global_load_b32 v16, v[16:17], off
	s_wait_loadcnt 0x0
	ds_store_b32 v42, v16 offset:1296
	v_add_nc_u32_e32 v16, s31, v41
	s_delay_alu instid0(VALU_DEP_1) | instskip(NEXT) | instid1(VALU_DEP_1)
	v_ashrrev_i32_e32 v17, 31, v16
	v_lshlrev_b64_e32 v[16:17], 2, v[16:17]
	s_delay_alu instid0(VALU_DEP_1) | instskip(SKIP_1) | instid1(VALU_DEP_2)
	v_add_co_u32 v16, vcc_lo, s4, v16
	s_wait_alu 0xfffd
	v_add_co_ci_u32_e64 v17, null, s5, v17, vcc_lo
	global_load_b32 v16, v[16:17], off
	s_wait_loadcnt 0x0
	ds_store_b32 v42, v16 offset:1440
	v_add_nc_u32_e32 v16, s33, v41
	s_delay_alu instid0(VALU_DEP_1) | instskip(NEXT) | instid1(VALU_DEP_1)
	v_ashrrev_i32_e32 v17, 31, v16
	v_lshlrev_b64_e32 v[16:17], 2, v[16:17]
	s_delay_alu instid0(VALU_DEP_1) | instskip(SKIP_1) | instid1(VALU_DEP_2)
	v_add_co_u32 v16, vcc_lo, s4, v16
	s_wait_alu 0xfffd
	v_add_co_ci_u32_e64 v17, null, s5, v17, vcc_lo
	global_load_b32 v16, v[16:17], off
	s_wait_loadcnt 0x0
	ds_store_b32 v42, v16 offset:1584
	v_add_nc_u32_e32 v16, s34, v41
	s_delay_alu instid0(VALU_DEP_1) | instskip(NEXT) | instid1(VALU_DEP_1)
	v_ashrrev_i32_e32 v17, 31, v16
	v_lshlrev_b64_e32 v[16:17], 2, v[16:17]
	s_delay_alu instid0(VALU_DEP_1) | instskip(SKIP_1) | instid1(VALU_DEP_2)
	v_add_co_u32 v16, vcc_lo, s4, v16
	s_wait_alu 0xfffd
	v_add_co_ci_u32_e64 v17, null, s5, v17, vcc_lo
	global_load_b32 v16, v[16:17], off
	s_wait_loadcnt 0x0
	ds_store_b32 v42, v16 offset:1728
	v_add_nc_u32_e32 v16, s35, v41
	s_delay_alu instid0(VALU_DEP_1) | instskip(NEXT) | instid1(VALU_DEP_1)
	v_ashrrev_i32_e32 v17, 31, v16
	v_lshlrev_b64_e32 v[16:17], 2, v[16:17]
	s_delay_alu instid0(VALU_DEP_1) | instskip(SKIP_1) | instid1(VALU_DEP_2)
	v_add_co_u32 v16, vcc_lo, s4, v16
	s_wait_alu 0xfffd
	v_add_co_ci_u32_e64 v17, null, s5, v17, vcc_lo
	global_load_b32 v16, v[16:17], off
	s_wait_loadcnt 0x0
	ds_store_b32 v42, v16 offset:1872
	v_add_nc_u32_e32 v16, s36, v41
	s_delay_alu instid0(VALU_DEP_1) | instskip(NEXT) | instid1(VALU_DEP_1)
	v_ashrrev_i32_e32 v17, 31, v16
	v_lshlrev_b64_e32 v[16:17], 2, v[16:17]
	s_delay_alu instid0(VALU_DEP_1) | instskip(SKIP_1) | instid1(VALU_DEP_2)
	v_add_co_u32 v16, vcc_lo, s4, v16
	s_wait_alu 0xfffd
	v_add_co_ci_u32_e64 v17, null, s5, v17, vcc_lo
	global_load_b32 v16, v[16:17], off
	s_wait_loadcnt 0x0
	ds_store_b32 v42, v16 offset:2016
	v_add_nc_u32_e32 v16, s37, v41
	s_delay_alu instid0(VALU_DEP_1) | instskip(NEXT) | instid1(VALU_DEP_1)
	v_ashrrev_i32_e32 v17, 31, v16
	v_lshlrev_b64_e32 v[16:17], 2, v[16:17]
	s_delay_alu instid0(VALU_DEP_1) | instskip(SKIP_1) | instid1(VALU_DEP_2)
	v_add_co_u32 v16, vcc_lo, s4, v16
	s_wait_alu 0xfffd
	v_add_co_ci_u32_e64 v17, null, s5, v17, vcc_lo
	v_add_co_u32 v45, vcc_lo, s4, v45
	s_wait_alu 0xfffd
	v_add_co_ci_u32_e64 v46, null, s5, v46, vcc_lo
	global_load_b32 v16, v[16:17], off
	s_wait_loadcnt 0x0
	ds_store_b32 v42, v16 offset:2160
	ds_load_b128 v[28:31], v43
	ds_load_b128 v[24:27], v43 offset:32
	ds_load_b128 v[20:23], v43 offset:64
	;; [unrolled: 1-line block ×3, first 2 shown]
	global_load_b32 v45, v[45:46], off
	s_wait_loadcnt 0x0
	ds_store_b32 v42, v45
	v_add_nc_u32_e32 v45, s39, v41
	s_delay_alu instid0(VALU_DEP_1) | instskip(NEXT) | instid1(VALU_DEP_1)
	v_ashrrev_i32_e32 v46, 31, v45
	v_lshlrev_b64_e32 v[45:46], 2, v[45:46]
	s_delay_alu instid0(VALU_DEP_1) | instskip(SKIP_1) | instid1(VALU_DEP_2)
	v_add_co_u32 v45, vcc_lo, s4, v45
	s_wait_alu 0xfffd
	v_add_co_ci_u32_e64 v46, null, s5, v46, vcc_lo
	global_load_b32 v45, v[45:46], off
	s_wait_loadcnt 0x0
	ds_store_b32 v42, v45 offset:144
	v_add_nc_u32_e32 v45, s40, v41
	s_delay_alu instid0(VALU_DEP_1) | instskip(NEXT) | instid1(VALU_DEP_1)
	v_ashrrev_i32_e32 v46, 31, v45
	v_lshlrev_b64_e32 v[45:46], 2, v[45:46]
	s_delay_alu instid0(VALU_DEP_1) | instskip(SKIP_1) | instid1(VALU_DEP_2)
	v_add_co_u32 v45, vcc_lo, s4, v45
	s_wait_alu 0xfffd
	v_add_co_ci_u32_e64 v46, null, s5, v46, vcc_lo
	global_load_b32 v45, v[45:46], off
	s_wait_loadcnt 0x0
	ds_store_b32 v42, v45 offset:288
	;; [unrolled: 11-line block ×15, first 2 shown]
	ds_load_b128 v[45:48], v43
	ds_load_b128 v[49:52], v43 offset:32
	ds_load_b128 v[53:56], v43 offset:64
	;; [unrolled: 1-line block ×3, first 2 shown]
	global_load_b64 v[61:62], v[34:35], off
	s_wait_loadcnt 0x0
	v_bfe_u32 v63, v61, 16, 1
	v_or_b32_e32 v64, 0x400000, v61
	v_cmp_u_f32_e32 vcc_lo, v61, v61
	s_delay_alu instid0(VALU_DEP_3) | instskip(SKIP_1) | instid1(VALU_DEP_1)
	v_add3_u32 v63, v63, v61, 0x7fff
	s_wait_alu 0xfffd
	v_cndmask_b32_e32 v61, v63, v64, vcc_lo
	v_bfe_u32 v63, v62, 16, 1
	v_or_b32_e32 v64, 0x400000, v62
	v_cmp_u_f32_e32 vcc_lo, v62, v62
	s_delay_alu instid0(VALU_DEP_3) | instskip(SKIP_1) | instid1(VALU_DEP_1)
	v_add3_u32 v63, v63, v62, 0x7fff
	s_wait_alu 0xfffd
	v_cndmask_b32_e32 v62, v63, v64, vcc_lo
	s_delay_alu instid0(VALU_DEP_1)
	v_perm_b32 v61, v62, v61, 0x7060302
	ds_store_b32 v42, v61
	v_add_co_u32 v61, vcc_lo, v34, s14
	s_wait_alu 0xfffd
	v_add_co_ci_u32_e64 v62, null, s15, v35, vcc_lo
	global_load_b64 v[61:62], v[61:62], off
	s_wait_loadcnt 0x0
	v_bfe_u32 v63, v61, 16, 1
	v_or_b32_e32 v64, 0x400000, v61
	v_cmp_u_f32_e32 vcc_lo, v61, v61
	s_delay_alu instid0(VALU_DEP_3) | instskip(SKIP_1) | instid1(VALU_DEP_1)
	v_add3_u32 v63, v63, v61, 0x7fff
	s_wait_alu 0xfffd
	v_cndmask_b32_e32 v61, v63, v64, vcc_lo
	v_bfe_u32 v63, v62, 16, 1
	v_or_b32_e32 v64, 0x400000, v62
	v_cmp_u_f32_e32 vcc_lo, v62, v62
	s_delay_alu instid0(VALU_DEP_3) | instskip(SKIP_1) | instid1(VALU_DEP_1)
	v_add3_u32 v63, v63, v62, 0x7fff
	s_wait_alu 0xfffd
	v_cndmask_b32_e32 v62, v63, v64, vcc_lo
	s_delay_alu instid0(VALU_DEP_1) | instskip(SKIP_2) | instid1(VALU_DEP_1)
	v_perm_b32 v61, v62, v61, 0x7060302
	ds_store_b32 v42, v61 offset:144
	v_add_nc_u32_e32 v61, s23, v41
	v_ashrrev_i32_e32 v62, 31, v61
	s_delay_alu instid0(VALU_DEP_1) | instskip(NEXT) | instid1(VALU_DEP_1)
	v_lshlrev_b64_e32 v[61:62], 3, v[61:62]
	v_add_co_u32 v61, vcc_lo, s8, v61
	s_wait_alu 0xfffd
	s_delay_alu instid0(VALU_DEP_2)
	v_add_co_ci_u32_e64 v62, null, s9, v62, vcc_lo
	global_load_b64 v[61:62], v[61:62], off
	s_wait_loadcnt 0x0
	v_bfe_u32 v63, v61, 16, 1
	v_or_b32_e32 v64, 0x400000, v61
	v_cmp_u_f32_e32 vcc_lo, v61, v61
	s_delay_alu instid0(VALU_DEP_3) | instskip(SKIP_1) | instid1(VALU_DEP_1)
	v_add3_u32 v63, v63, v61, 0x7fff
	s_wait_alu 0xfffd
	v_cndmask_b32_e32 v61, v63, v64, vcc_lo
	v_bfe_u32 v63, v62, 16, 1
	v_or_b32_e32 v64, 0x400000, v62
	v_cmp_u_f32_e32 vcc_lo, v62, v62
	s_delay_alu instid0(VALU_DEP_3) | instskip(SKIP_1) | instid1(VALU_DEP_1)
	v_add3_u32 v63, v63, v62, 0x7fff
	s_wait_alu 0xfffd
	v_cndmask_b32_e32 v62, v63, v64, vcc_lo
	s_delay_alu instid0(VALU_DEP_1) | instskip(SKIP_3) | instid1(VALU_DEP_2)
	v_perm_b32 v61, v62, v61, 0x7060302
	ds_store_b32 v42, v61 offset:288
	v_add_nc_u32_e32 v61, s17, v41
	v_add_nc_u32_e32 v41, 0xc0, v41
	v_ashrrev_i32_e32 v62, 31, v61
	s_delay_alu instid0(VALU_DEP_1) | instskip(NEXT) | instid1(VALU_DEP_1)
	v_lshlrev_b64_e32 v[61:62], 3, v[61:62]
	v_add_co_u32 v61, vcc_lo, s8, v61
	s_wait_alu 0xfffd
	s_delay_alu instid0(VALU_DEP_2)
	v_add_co_ci_u32_e64 v62, null, s9, v62, vcc_lo
	global_load_b64 v[61:62], v[61:62], off
	s_wait_loadcnt 0x0
	v_bfe_u32 v63, v61, 16, 1
	v_or_b32_e32 v64, 0x400000, v61
	v_cmp_u_f32_e32 vcc_lo, v61, v61
	s_delay_alu instid0(VALU_DEP_3) | instskip(SKIP_1) | instid1(VALU_DEP_1)
	v_add3_u32 v63, v63, v61, 0x7fff
	s_wait_alu 0xfffd
	v_cndmask_b32_e32 v61, v63, v64, vcc_lo
	v_bfe_u32 v63, v62, 16, 1
	v_or_b32_e32 v64, 0x400000, v62
	v_cmp_u_f32_e32 vcc_lo, v62, v62
	s_delay_alu instid0(VALU_DEP_3) | instskip(SKIP_1) | instid1(VALU_DEP_1)
	v_add3_u32 v63, v63, v62, 0x7fff
	s_wait_alu 0xfffd
	v_cndmask_b32_e32 v62, v63, v64, vcc_lo
	v_add_co_u32 v32, vcc_lo, 0x300, v32
	s_wait_alu 0xfffd
	v_add_co_ci_u32_e64 v33, null, 0, v33, vcc_lo
	s_delay_alu instid0(VALU_DEP_3)
	v_perm_b32 v61, v62, v61, 0x7060302
	ds_store_b32 v42, v61 offset:432
	ds_store_b32 v42, v44 offset:576
	;; [unrolled: 1-line block ×13, first 2 shown]
	ds_load_b128 v[61:64], v43
	ds_load_b128 v[65:68], v43 offset:32
	v_add_co_u32 v34, vcc_lo, 0x600, v34
	s_wait_alu 0xfffd
	v_add_co_ci_u32_e64 v35, null, 0, v35, vcc_lo
	v_cmp_le_i32_e32 vcc_lo, s21, v41
	s_or_b32 s6, vcc_lo, s6
	s_wait_dscnt 0x1
	v_wmma_f32_16x16x16_bf16 v[8:15], v[28:31], v[61:64], v[8:15]
	v_wmma_f32_16x16x16_bf16 v[0:7], v[45:48], v[61:64], v[0:7]
	s_wait_dscnt 0x0
	s_delay_alu instid0(VALU_DEP_2)
	v_wmma_f32_16x16x16_bf16 v[8:15], v[24:27], v[65:68], v[8:15]
	ds_load_b128 v[24:27], v43 offset:64
	v_wmma_f32_16x16x16_bf16 v[0:7], v[49:52], v[65:68], v[0:7]
	s_wait_dscnt 0x0
	v_wmma_f32_16x16x16_bf16 v[8:15], v[20:23], v[24:27], v[8:15]
	ds_load_b128 v[20:23], v43 offset:96
	v_wmma_f32_16x16x16_bf16 v[0:7], v[53:56], v[24:27], v[0:7]
	s_wait_dscnt 0x0
	v_wmma_f32_16x16x16_bf16 v[8:15], v[16:19], v[20:23], v[8:15]
	s_delay_alu instid0(VALU_DEP_2)
	v_wmma_f32_16x16x16_bf16 v[0:7], v[57:60], v[20:23], v[0:7]
	s_and_not1_b32 exec_lo, exec_lo, s6
	s_cbranch_execnz .LBB68_4
; %bb.5:
	s_or_b32 exec_lo, exec_lo, s6
.LBB68_6:
	s_delay_alu instid0(SALU_CYCLE_1)
	s_or_b32 exec_lo, exec_lo, s22
	s_load_b64 s[0:1], s[0:1], 0x18
	v_lshlrev_b32_e32 v16, 1, v36
	v_lshl_add_u32 v17, v39, 2, 0
	v_mul_u32_u24_e32 v18, 0x310, v40
	s_barrier_signal -1
	s_delay_alu instid0(VALU_DEP_3)
	v_and_b32_e32 v16, 0x7e0, v16
	s_barrier_wait -1
	global_inv scope:SCOPE_SE
	s_mov_b32 s4, exec_lo
	v_add3_u32 v16, v17, v18, v16
	ds_store_2addr_b32 v16, v8, v9 offset1:1
	ds_store_2addr_b32 v16, v10, v11 offset0:2 offset1:3
	ds_store_2addr_b32 v16, v12, v13 offset0:4 offset1:5
	;; [unrolled: 1-line block ×7, first 2 shown]
	s_wait_loadcnt_dscnt 0x0
	s_barrier_signal -1
	s_barrier_wait -1
	global_inv scope:SCOPE_SE
	v_cmpx_gt_u32_e32 4, v37
	s_cbranch_execz .LBB68_8
; %bb.7:
	v_mul_u32_u24_e32 v0, 0x310, v37
	s_wait_kmcnt 0x0
	v_mul_lo_u32 v6, v37, s18
	s_ashr_i32 s5, s11, 31
	s_mov_b32 s4, s11
	s_mul_i32 s6, s7, s19
	v_add3_u32 v4, 0, v38, v0
	s_wait_alu 0xfffe
	s_mul_u64 s[2:3], s[4:5], s[2:3]
	s_ashr_i32 s7, s6, 31
	s_wait_alu 0xfffe
	s_lshl_b64 s[2:3], s[2:3], 2
	s_lshl_b64 s[4:5], s[6:7], 2
	ds_load_2addr_b32 v[0:1], v4 offset1:32
	ds_load_2addr_b32 v[2:3], v4 offset0:64 offset1:96
	ds_load_2addr_b32 v[4:5], v4 offset0:128 offset1:160
	s_wait_alu 0xfffe
	s_add_nc_u64 s[0:1], s[0:1], s[2:3]
	s_delay_alu instid0(SALU_CYCLE_1) | instskip(SKIP_2) | instid1(VALU_DEP_1)
	s_add_nc_u64 s[0:1], s[0:1], s[4:5]
	s_wait_dscnt 0x2
	v_add_f32_e32 v0, 0, v0
	v_dual_add_f32 v0, v0, v1 :: v_dual_mov_b32 v1, 0
	s_wait_dscnt 0x1
	s_delay_alu instid0(VALU_DEP_1) | instskip(NEXT) | instid1(VALU_DEP_1)
	v_add_f32_e32 v0, v0, v2
	v_add_f32_e32 v2, v0, v3
	v_add3_u32 v0, s20, v36, v6
	s_wait_dscnt 0x0
	s_delay_alu instid0(VALU_DEP_2) | instskip(NEXT) | instid1(VALU_DEP_2)
	v_add_f32_e32 v2, v2, v4
	v_lshlrev_b64_e32 v[0:1], 2, v[0:1]
	s_delay_alu instid0(VALU_DEP_2) | instskip(NEXT) | instid1(VALU_DEP_2)
	v_add_f32_e32 v2, v2, v5
	v_add_co_u32 v0, vcc_lo, s0, v0
	s_wait_alu 0xfffd
	s_delay_alu instid0(VALU_DEP_3)
	v_add_co_ci_u32_e64 v1, null, s1, v1, vcc_lo
	global_store_b32 v[0:1], v2, off
.LBB68_8:
	s_endpgm
	.section	.rodata,"a",@progbits
	.p2align	6, 0x0
	.amdhsa_kernel _ZL9mul_mat_fI15__hip_bfloat162Li32ELi4ELi6ELb0EEvPKT_PKfPKiPfiiiiiiiiiiiiiiii
		.amdhsa_group_segment_fixed_size 0
		.amdhsa_private_segment_fixed_size 0
		.amdhsa_kernarg_size 96
		.amdhsa_user_sgpr_count 2
		.amdhsa_user_sgpr_dispatch_ptr 0
		.amdhsa_user_sgpr_queue_ptr 0
		.amdhsa_user_sgpr_kernarg_segment_ptr 1
		.amdhsa_user_sgpr_dispatch_id 0
		.amdhsa_user_sgpr_private_segment_size 0
		.amdhsa_wavefront_size32 1
		.amdhsa_uses_dynamic_stack 0
		.amdhsa_enable_private_segment 0
		.amdhsa_system_sgpr_workgroup_id_x 1
		.amdhsa_system_sgpr_workgroup_id_y 1
		.amdhsa_system_sgpr_workgroup_id_z 1
		.amdhsa_system_sgpr_workgroup_info 0
		.amdhsa_system_vgpr_workitem_id 1
		.amdhsa_next_free_vgpr 69
		.amdhsa_next_free_sgpr 68
		.amdhsa_reserve_vcc 1
		.amdhsa_float_round_mode_32 0
		.amdhsa_float_round_mode_16_64 0
		.amdhsa_float_denorm_mode_32 3
		.amdhsa_float_denorm_mode_16_64 3
		.amdhsa_fp16_overflow 0
		.amdhsa_workgroup_processor_mode 1
		.amdhsa_memory_ordered 1
		.amdhsa_forward_progress 1
		.amdhsa_inst_pref_size 34
		.amdhsa_round_robin_scheduling 0
		.amdhsa_exception_fp_ieee_invalid_op 0
		.amdhsa_exception_fp_denorm_src 0
		.amdhsa_exception_fp_ieee_div_zero 0
		.amdhsa_exception_fp_ieee_overflow 0
		.amdhsa_exception_fp_ieee_underflow 0
		.amdhsa_exception_fp_ieee_inexact 0
		.amdhsa_exception_int_div_zero 0
	.end_amdhsa_kernel
	.section	.text._ZL9mul_mat_fI15__hip_bfloat162Li32ELi4ELi6ELb0EEvPKT_PKfPKiPfiiiiiiiiiiiiiiii,"axG",@progbits,_ZL9mul_mat_fI15__hip_bfloat162Li32ELi4ELi6ELb0EEvPKT_PKfPKiPfiiiiiiiiiiiiiiii,comdat
.Lfunc_end68:
	.size	_ZL9mul_mat_fI15__hip_bfloat162Li32ELi4ELi6ELb0EEvPKT_PKfPKiPfiiiiiiiiiiiiiiii, .Lfunc_end68-_ZL9mul_mat_fI15__hip_bfloat162Li32ELi4ELi6ELb0EEvPKT_PKfPKiPfiiiiiiiiiiiiiiii
                                        ; -- End function
	.set _ZL9mul_mat_fI15__hip_bfloat162Li32ELi4ELi6ELb0EEvPKT_PKfPKiPfiiiiiiiiiiiiiiii.num_vgpr, 69
	.set _ZL9mul_mat_fI15__hip_bfloat162Li32ELi4ELi6ELb0EEvPKT_PKfPKiPfiiiiiiiiiiiiiiii.num_agpr, 0
	.set _ZL9mul_mat_fI15__hip_bfloat162Li32ELi4ELi6ELb0EEvPKT_PKfPKiPfiiiiiiiiiiiiiiii.numbered_sgpr, 68
	.set _ZL9mul_mat_fI15__hip_bfloat162Li32ELi4ELi6ELb0EEvPKT_PKfPKiPfiiiiiiiiiiiiiiii.num_named_barrier, 0
	.set _ZL9mul_mat_fI15__hip_bfloat162Li32ELi4ELi6ELb0EEvPKT_PKfPKiPfiiiiiiiiiiiiiiii.private_seg_size, 0
	.set _ZL9mul_mat_fI15__hip_bfloat162Li32ELi4ELi6ELb0EEvPKT_PKfPKiPfiiiiiiiiiiiiiiii.uses_vcc, 1
	.set _ZL9mul_mat_fI15__hip_bfloat162Li32ELi4ELi6ELb0EEvPKT_PKfPKiPfiiiiiiiiiiiiiiii.uses_flat_scratch, 0
	.set _ZL9mul_mat_fI15__hip_bfloat162Li32ELi4ELi6ELb0EEvPKT_PKfPKiPfiiiiiiiiiiiiiiii.has_dyn_sized_stack, 0
	.set _ZL9mul_mat_fI15__hip_bfloat162Li32ELi4ELi6ELb0EEvPKT_PKfPKiPfiiiiiiiiiiiiiiii.has_recursion, 0
	.set _ZL9mul_mat_fI15__hip_bfloat162Li32ELi4ELi6ELb0EEvPKT_PKfPKiPfiiiiiiiiiiiiiiii.has_indirect_call, 0
	.section	.AMDGPU.csdata,"",@progbits
; Kernel info:
; codeLenInByte = 4276
; TotalNumSgprs: 70
; NumVgprs: 69
; ScratchSize: 0
; MemoryBound: 0
; FloatMode: 240
; IeeeMode: 1
; LDSByteSize: 0 bytes/workgroup (compile time only)
; SGPRBlocks: 0
; VGPRBlocks: 8
; NumSGPRsForWavesPerEU: 70
; NumVGPRsForWavesPerEU: 69
; Occupancy: 16
; WaveLimiterHint : 0
; COMPUTE_PGM_RSRC2:SCRATCH_EN: 0
; COMPUTE_PGM_RSRC2:USER_SGPR: 2
; COMPUTE_PGM_RSRC2:TRAP_HANDLER: 0
; COMPUTE_PGM_RSRC2:TGID_X_EN: 1
; COMPUTE_PGM_RSRC2:TGID_Y_EN: 1
; COMPUTE_PGM_RSRC2:TGID_Z_EN: 1
; COMPUTE_PGM_RSRC2:TIDIG_COMP_CNT: 1
	.section	.text._ZL13mul_mat_f_idsI15__hip_bfloat162Li32ELi4ELi7EEvPKT_PKfPKiS7_S7_Pfiiiiiiiiiiiiii15HIP_vector_typeIjLj3EESA_,"axG",@progbits,_ZL13mul_mat_f_idsI15__hip_bfloat162Li32ELi4ELi7EEvPKT_PKfPKiS7_S7_Pfiiiiiiiiiiiiii15HIP_vector_typeIjLj3EESA_,comdat
	.globl	_ZL13mul_mat_f_idsI15__hip_bfloat162Li32ELi4ELi7EEvPKT_PKfPKiS7_S7_Pfiiiiiiiiiiiiii15HIP_vector_typeIjLj3EESA_ ; -- Begin function _ZL13mul_mat_f_idsI15__hip_bfloat162Li32ELi4ELi7EEvPKT_PKfPKiS7_S7_Pfiiiiiiiiiiiiii15HIP_vector_typeIjLj3EESA_
	.p2align	8
	.type	_ZL13mul_mat_f_idsI15__hip_bfloat162Li32ELi4ELi7EEvPKT_PKfPKiS7_S7_Pfiiiiiiiiiiiiii15HIP_vector_typeIjLj3EESA_,@function
_ZL13mul_mat_f_idsI15__hip_bfloat162Li32ELi4ELi7EEvPKT_PKfPKiS7_S7_Pfiiiiiiiiiiiiii15HIP_vector_typeIjLj3EESA_: ; @_ZL13mul_mat_f_idsI15__hip_bfloat162Li32ELi4ELi7EEvPKT_PKfPKiS7_S7_Pfiiiiiiiiiiiiii15HIP_vector_typeIjLj3EESA_
; %bb.0:
	s_load_b64 s[4:5], s[0:1], 0x20
	s_and_b32 s2, ttmp7, 0xffff
	s_delay_alu instid0(SALU_CYCLE_1) | instskip(SKIP_4) | instid1(SALU_CYCLE_1)
	s_lshl_b32 s3, s2, 2
	s_wait_kmcnt 0x0
	s_load_b64 s[24:25], s[4:5], s3 offset:0x0
	s_wait_kmcnt 0x0
	s_sub_co_i32 s19, s25, s24
	s_add_co_i32 s3, s19, 3
	s_delay_alu instid0(SALU_CYCLE_1) | instskip(NEXT) | instid1(SALU_CYCLE_1)
	s_ashr_i32 s4, s3, 31
	s_lshr_b32 s4, s4, 30
	s_delay_alu instid0(SALU_CYCLE_1) | instskip(NEXT) | instid1(SALU_CYCLE_1)
	s_add_co_i32 s3, s3, s4
	s_ashr_i32 s4, s3, 2
	s_lshr_b32 s3, ttmp7, 16
	s_delay_alu instid0(SALU_CYCLE_1)
	s_cmp_ge_i32 s3, s4
	s_cbranch_scc1 .LBB69_23
; %bb.1:
	s_clause 0x3
	s_load_b128 s[4:7], s[0:1], 0x30
	s_load_b64 s[20:21], s[0:1], 0x40
	s_load_b128 s[8:11], s[0:1], 0x68
	s_load_b64 s[22:23], s[0:1], 0x78
	v_bfe_u32 v52, v0, 10, 10
	v_and_b32_e32 v51, 0x3ff, v0
	s_ashr_i32 s25, s24, 31
	s_mov_b32 s12, exec_lo
	s_delay_alu instid0(VALU_DEP_2) | instskip(NEXT) | instid1(VALU_DEP_2)
	v_lshlrev_b32_e32 v53, 5, v52
	v_and_b32_e32 v54, 15, v51
	s_delay_alu instid0(VALU_DEP_2) | instskip(SKIP_1) | instid1(VALU_DEP_1)
	v_add_nc_u32_e32 v48, v53, v51
	s_wait_kmcnt 0x0
	v_cmpx_le_i32_e64 s4, v48
	s_xor_b32 s12, exec_lo, s12
; %bb.2:
	v_and_b32_e32 v54, 15, v51
                                        ; implicit-def: $vgpr48
; %bb.3:
	s_or_saveexec_b32 s37, s12
	s_clause 0x1
	s_load_b64 s[26:27], s[0:1], 0x28
	s_load_b96 s[16:18], s[0:1], 0x4c
	v_mov_b32_e32 v7, 0
	s_lshl_b32 s33, ttmp9, 5
	s_lshl_b32 s36, s3, 2
	s_delay_alu instid0(VALU_DEP_1)
	v_dual_mov_b32 v6, v7 :: v_dual_mov_b32 v5, v7
	v_dual_mov_b32 v4, v7 :: v_dual_mov_b32 v3, v7
	;; [unrolled: 1-line block ×7, first 2 shown]
	v_mov_b32_e32 v8, v7
	s_xor_b32 exec_lo, exec_lo, s37
	s_cbranch_execz .LBB69_19
; %bb.4:
	s_clause 0x1
	s_load_b128 s[12:15], s[0:1], 0x0
	s_load_b64 s[28:29], s[0:1], 0x10
	s_wait_kmcnt 0x0
	s_mul_i32 s30, s16, s2
	s_mul_i32 s34, s7, s33
	s_ashr_i32 s31, s30, 31
	s_ashr_i32 s35, s34, 31
	s_lshl_b64 s[38:39], s[24:25], 2
	s_lshl_b64 s[68:69], s[30:31], 2
	;; [unrolled: 1-line block ×3, first 2 shown]
	s_cmp_lt_i32 s36, s19
	v_mad_u32_u24 v0, 0x900, v52, 0
	v_dual_mov_b32 v8, 0 :: v_dual_lshlrev_b32 v1, 2, v51
	v_mul_u32_u24_e32 v2, 0x90, v54
	s_cselect_b32 s16, -1, 0
	s_or_b32 s30, s36, 1
	v_mov_b32_e32 v57, 0
	v_and_b32_e32 v3, 0x3f0, v51
	s_lshl_b32 s2, s36, 2
	s_cmp_lt_i32 s30, s19
	s_add_nc_u64 s[30:31], s[12:13], s[68:69]
	s_add_nc_u64 s[34:35], s[28:29], s[38:39]
	s_add_nc_u64 s[28:29], s[30:31], s[70:71]
	s_cselect_b32 s38, -1, 0
	s_or_b32 s30, s36, 2
	v_dual_mov_b32 v10, v57 :: v_dual_add_nc_u32 v55, v0, v1
	v_add3_u32 v56, v0, v2, v3
	v_dual_mov_b32 v9, v57 :: v_dual_lshlrev_b32 v0, 7, v52
	s_mov_b32 s3, 0
	s_cmp_lt_i32 s30, s19
	s_add_nc_u64 s[30:31], s[34:35], s[2:3]
	s_cselect_b32 s39, -1, 0
	s_or_b32 s2, s36, 3
	s_add_nc_u64 s[68:69], s[68:69], s[70:71]
	s_cmp_lt_i32 s2, s19
	v_add_co_u32 v0, s2, s68, v0
	s_delay_alu instid0(VALU_DEP_1) | instskip(SKIP_2) | instid1(VALU_DEP_1)
	v_add_co_ci_u32_e64 v2, null, s69, 0, s2
	s_mov_b32 s34, s8
	v_add_co_u32 v0, vcc_lo, v0, v1
	v_add_co_ci_u32_e64 v1, null, 0, v2, vcc_lo
	s_cselect_b32 s8, -1, 0
	v_add_co_u32 v49, vcc_lo, s12, v0
	s_wait_alu 0xfffd
	v_add_co_ci_u32_e64 v50, null, s13, v1, vcc_lo
	v_dual_mov_b32 v0, 0 :: v_dual_mov_b32 v11, v57
	v_mov_b32_e32 v14, v57
	v_dual_mov_b32 v12, v57 :: v_dual_mov_b32 v13, v57
	v_dual_mov_b32 v2, v57 :: v_dual_mov_b32 v15, v57
	v_dual_mov_b32 v4, v57 :: v_dual_mov_b32 v1, v57
	v_dual_mov_b32 v6, v57 :: v_dual_mov_b32 v3, v57
	v_mov_b32_e32 v5, v57
	v_mov_b32_e32 v7, v57
	s_ashr_i32 s73, s7, 31
	s_mov_b32 s72, s7
	s_mov_b32 s35, s3
	s_add_co_i32 s40, s7, s7
	s_mul_i32 s41, s7, 3
	s_lshl_b32 s42, s7, 2
	s_mul_i32 s43, s7, 5
	s_mul_i32 s44, s7, 6
	;; [unrolled: 1-line block ×3, first 2 shown]
	s_lshl_b32 s46, s7, 3
	s_mul_i32 s47, s7, 9
	s_mul_i32 s48, s7, 10
	;; [unrolled: 1-line block ×7, first 2 shown]
	s_lshl_b32 s54, s7, 4
	s_mul_i32 s55, s7, 17
	s_mul_i32 s56, s7, 18
	;; [unrolled: 1-line block ×15, first 2 shown]
	s_lshl_b64 s[12:13], s[72:73], 2
	s_mov_b32 s69, 0
	s_branch .LBB69_6
.LBB69_5:                               ;   in Loop: Header=BB69_6 Depth=1
	v_perm_b32 v58, v58, v59, 0x5040100
	v_perm_b32 v59, v61, v62, 0x5040100
	;; [unrolled: 1-line block ×4, first 2 shown]
	v_add_nc_u32_e32 v62, 0x400, v55
	ds_store_2addr_b32 v55, v58, v59 offset1:36
	ds_store_2addr_b32 v55, v60, v61 offset0:72 offset1:108
	ds_store_2addr_b32 v55, v57, v57 offset0:144 offset1:180
	v_add_nc_u32_e32 v58, 0x600, v55
	ds_store_2addr_b32 v55, v57, v57 offset0:216 offset1:252
	ds_store_2addr_b32 v62, v57, v57 offset0:32 offset1:68
	ds_store_2addr_b32 v62, v57, v57 offset0:104 offset1:140
	ds_store_2addr_b32 v62, v57, v57 offset0:176 offset1:212
	ds_store_2addr_b32 v58, v57, v57 offset0:120 offset1:156
	ds_load_b128 v[58:61], v56
	ds_load_b128 v[62:65], v56 offset:32
	ds_load_b128 v[66:69], v56 offset:64
	;; [unrolled: 1-line block ×3, first 2 shown]
	v_add_nc_u32_e32 v48, 0xe0, v48
	v_add_co_u32 v49, s2, 0x380, v49
	s_wait_alu 0xf1ff
	v_add_co_ci_u32_e64 v50, null, 0, v50, s2
	s_delay_alu instid0(VALU_DEP_3)
	v_cmp_le_i32_e32 vcc_lo, s4, v48
	s_or_b32 s69, vcc_lo, s69
	s_wait_dscnt 0x3
	v_wmma_f32_16x16x16_bf16 v[8:15], v[32:35], v[58:61], v[8:15]
	v_wmma_f32_16x16x16_bf16 v[0:7], v[44:47], v[58:61], v[0:7]
	s_wait_dscnt 0x2
	s_delay_alu instid0(VALU_DEP_2) | instskip(NEXT) | instid1(VALU_DEP_2)
	v_wmma_f32_16x16x16_bf16 v[8:15], v[28:31], v[62:65], v[8:15]
	v_wmma_f32_16x16x16_bf16 v[0:7], v[40:43], v[62:65], v[0:7]
	s_wait_dscnt 0x1
	s_delay_alu instid0(VALU_DEP_2) | instskip(NEXT) | instid1(VALU_DEP_2)
	;; [unrolled: 4-line block ×3, first 2 shown]
	v_wmma_f32_16x16x16_bf16 v[8:15], v[16:19], v[70:73], v[8:15]
	v_wmma_f32_16x16x16_bf16 v[0:7], v[20:23], v[70:73], v[0:7]
	s_wait_alu 0xfffe
	s_and_not1_b32 exec_lo, exec_lo, s69
	s_cbranch_execz .LBB69_18
.LBB69_6:                               ; =>This Inner Loop Header: Depth=1
	v_add_nc_u32_e32 v22, s42, v48
	v_add_nc_u32_e32 v16, s40, v48
	s_wait_alu 0xfffe
	v_add_co_u32 v20, vcc_lo, v49, s12
	v_add_nc_u32_e32 v18, s41, v48
	s_wait_alu 0xfffd
	v_add_co_ci_u32_e64 v21, null, s13, v50, vcc_lo
	v_ashrrev_i32_e32 v23, 31, v22
	v_ashrrev_i32_e32 v17, 31, v16
	v_add_nc_u32_e32 v24, s43, v48
	v_ashrrev_i32_e32 v19, 31, v18
	s_clause 0x1
	global_load_b32 v38, v[49:50], off
	global_load_b32 v39, v[20:21], off
	v_lshlrev_b64_e32 v[20:21], 2, v[22:23]
	v_add_nc_u32_e32 v22, s44, v48
	v_lshlrev_b64_e32 v[16:17], 2, v[16:17]
	v_add_nc_u32_e32 v26, s45, v48
	v_ashrrev_i32_e32 v25, 31, v24
	v_lshlrev_b64_e32 v[18:19], 2, v[18:19]
	v_add_nc_u32_e32 v28, s46, v48
	v_ashrrev_i32_e32 v23, 31, v22
	v_add_nc_u32_e32 v30, s47, v48
	v_ashrrev_i32_e32 v27, 31, v26
	v_add_co_u32 v16, vcc_lo, s28, v16
	v_lshlrev_b64_e32 v[24:25], 2, v[24:25]
	v_ashrrev_i32_e32 v29, 31, v28
	s_wait_alu 0xfffd
	v_add_co_ci_u32_e64 v17, null, s29, v17, vcc_lo
	v_add_co_u32 v18, vcc_lo, s28, v18
	v_lshlrev_b64_e32 v[22:23], 2, v[22:23]
	v_ashrrev_i32_e32 v31, 31, v30
	s_wait_alu 0xfffd
	v_add_co_ci_u32_e64 v19, null, s29, v19, vcc_lo
	v_add_co_u32 v20, vcc_lo, s28, v20
	v_lshlrev_b64_e32 v[26:27], 2, v[26:27]
	s_wait_alu 0xfffd
	v_add_co_ci_u32_e64 v21, null, s29, v21, vcc_lo
	v_add_co_u32 v24, vcc_lo, s28, v24
	v_lshlrev_b64_e32 v[28:29], 2, v[28:29]
	s_wait_alu 0xfffd
	v_add_co_ci_u32_e64 v25, null, s29, v25, vcc_lo
	v_add_co_u32 v22, vcc_lo, s28, v22
	v_lshlrev_b64_e32 v[30:31], 2, v[30:31]
	s_wait_alu 0xfffd
	v_add_co_ci_u32_e64 v23, null, s29, v23, vcc_lo
	v_add_co_u32 v26, vcc_lo, s28, v26
	v_add_nc_u32_e32 v32, s48, v48
	s_wait_alu 0xfffd
	v_add_co_ci_u32_e64 v27, null, s29, v27, vcc_lo
	v_add_co_u32 v28, vcc_lo, s28, v28
	v_add_nc_u32_e32 v34, s49, v48
	;; [unrolled: 4-line block ×3, first 2 shown]
	v_ashrrev_i32_e32 v33, 31, v32
	s_wait_alu 0xfffd
	v_add_co_ci_u32_e64 v31, null, s29, v31, vcc_lo
	s_clause 0x7
	global_load_b32 v40, v[16:17], off
	global_load_b32 v41, v[18:19], off
	;; [unrolled: 1-line block ×8, first 2 shown]
	v_add_nc_u32_e32 v18, s51, v48
	v_ashrrev_i32_e32 v35, 31, v34
	v_add_nc_u32_e32 v24, s52, v48
	v_ashrrev_i32_e32 v37, 31, v36
	v_lshlrev_b64_e32 v[32:33], 2, v[32:33]
	v_add_nc_u32_e32 v26, s53, v48
	v_ashrrev_i32_e32 v19, 31, v18
	v_lshlrev_b64_e32 v[16:17], 2, v[34:35]
	;; [unrolled: 3-line block ×3, first 2 shown]
	v_add_nc_u32_e32 v30, s55, v48
	v_ashrrev_i32_e32 v27, 31, v26
	v_add_co_u32 v20, vcc_lo, s28, v32
	v_lshlrev_b64_e32 v[18:19], 2, v[18:19]
	v_ashrrev_i32_e32 v29, 31, v28
	s_wait_alu 0xfffd
	v_add_co_ci_u32_e64 v21, null, s29, v33, vcc_lo
	v_add_co_u32 v16, vcc_lo, s28, v16
	v_lshlrev_b64_e32 v[24:25], 2, v[24:25]
	v_ashrrev_i32_e32 v31, 31, v30
	s_wait_alu 0xfffd
	v_add_co_ci_u32_e64 v17, null, s29, v17, vcc_lo
	v_add_co_u32 v22, vcc_lo, s28, v22
	v_lshlrev_b64_e32 v[26:27], 2, v[26:27]
	s_wait_alu 0xfffd
	v_add_co_ci_u32_e64 v23, null, s29, v23, vcc_lo
	v_add_co_u32 v18, vcc_lo, s28, v18
	v_lshlrev_b64_e32 v[28:29], 2, v[28:29]
	;; [unrolled: 4-line block ×3, first 2 shown]
	s_wait_alu 0xfffd
	v_add_co_ci_u32_e64 v25, null, s29, v25, vcc_lo
	v_add_co_u32 v26, vcc_lo, s28, v26
	v_add_nc_u32_e32 v32, s56, v48
	s_wait_alu 0xfffd
	v_add_co_ci_u32_e64 v27, null, s29, v27, vcc_lo
	v_add_co_u32 v28, vcc_lo, s28, v28
	v_add_nc_u32_e32 v34, s57, v48
	s_wait_alu 0xfffd
	v_add_co_ci_u32_e64 v29, null, s29, v29, vcc_lo
	v_add_co_u32 v30, vcc_lo, s28, v30
	v_add_nc_u32_e32 v36, s58, v48
	v_ashrrev_i32_e32 v33, 31, v32
	s_wait_alu 0xfffd
	v_add_co_ci_u32_e64 v31, null, s29, v31, vcc_lo
	s_clause 0x7
	global_load_b32 v58, v[20:21], off
	global_load_b32 v59, v[16:17], off
	;; [unrolled: 1-line block ×8, first 2 shown]
	v_add_nc_u32_e32 v18, s59, v48
	v_ashrrev_i32_e32 v35, 31, v34
	v_add_nc_u32_e32 v24, s60, v48
	v_ashrrev_i32_e32 v37, 31, v36
	v_lshlrev_b64_e32 v[32:33], 2, v[32:33]
	v_add_nc_u32_e32 v26, s61, v48
	v_ashrrev_i32_e32 v19, 31, v18
	v_lshlrev_b64_e32 v[16:17], 2, v[34:35]
	;; [unrolled: 3-line block ×3, first 2 shown]
	v_add_nc_u32_e32 v30, s63, v48
	v_ashrrev_i32_e32 v27, 31, v26
	v_add_co_u32 v20, vcc_lo, s28, v32
	v_lshlrev_b64_e32 v[18:19], 2, v[18:19]
	v_ashrrev_i32_e32 v29, 31, v28
	s_wait_alu 0xfffd
	v_add_co_ci_u32_e64 v21, null, s29, v33, vcc_lo
	v_add_co_u32 v16, vcc_lo, s28, v16
	v_lshlrev_b64_e32 v[24:25], 2, v[24:25]
	v_ashrrev_i32_e32 v31, 31, v30
	s_wait_alu 0xfffd
	v_add_co_ci_u32_e64 v17, null, s29, v17, vcc_lo
	v_add_co_u32 v22, vcc_lo, s28, v22
	v_lshlrev_b64_e32 v[26:27], 2, v[26:27]
	s_wait_alu 0xfffd
	v_add_co_ci_u32_e64 v23, null, s29, v23, vcc_lo
	v_add_co_u32 v18, vcc_lo, s28, v18
	v_lshlrev_b64_e32 v[28:29], 2, v[28:29]
	;; [unrolled: 4-line block ×3, first 2 shown]
	s_wait_alu 0xfffd
	v_add_co_ci_u32_e64 v25, null, s29, v25, vcc_lo
	v_add_co_u32 v26, vcc_lo, s28, v26
	v_add_nc_u32_e32 v32, s64, v48
	s_wait_alu 0xfffd
	v_add_co_ci_u32_e64 v27, null, s29, v27, vcc_lo
	v_add_co_u32 v28, vcc_lo, s28, v28
	v_add_nc_u32_e32 v34, s65, v48
	;; [unrolled: 4-line block ×3, first 2 shown]
	v_ashrrev_i32_e32 v33, 31, v32
	s_wait_alu 0xfffd
	v_add_co_ci_u32_e64 v31, null, s29, v31, vcc_lo
	s_clause 0x7
	global_load_b32 v66, v[20:21], off
	global_load_b32 v67, v[16:17], off
	;; [unrolled: 1-line block ×8, first 2 shown]
	v_add_nc_u32_e32 v18, s67, v48
	v_ashrrev_i32_e32 v35, 31, v34
	v_add_nc_u32_e32 v24, s68, v48
	v_ashrrev_i32_e32 v37, 31, v36
	v_lshlrev_b64_e32 v[32:33], 2, v[32:33]
	v_add_nc_u32_e32 v26, s7, v48
	v_ashrrev_i32_e32 v19, 31, v18
	v_lshlrev_b64_e32 v[16:17], 2, v[34:35]
	v_ashrrev_i32_e32 v25, 31, v24
	v_lshlrev_b64_e32 v[22:23], 2, v[36:37]
	v_ashrrev_i32_e32 v27, 31, v26
	v_add_co_u32 v20, vcc_lo, s28, v32
	v_lshlrev_b64_e32 v[18:19], 2, v[18:19]
	s_wait_alu 0xfffd
	v_add_co_ci_u32_e64 v21, null, s29, v33, vcc_lo
	v_add_co_u32 v16, vcc_lo, s28, v16
	v_lshlrev_b64_e32 v[24:25], 2, v[24:25]
	s_wait_alu 0xfffd
	v_add_co_ci_u32_e64 v17, null, s29, v17, vcc_lo
	;; [unrolled: 4-line block ×3, first 2 shown]
	v_add_co_u32 v18, vcc_lo, s28, v18
	s_wait_alu 0xfffd
	v_add_co_ci_u32_e64 v19, null, s29, v19, vcc_lo
	v_add_co_u32 v24, vcc_lo, s28, v24
	s_wait_alu 0xfffd
	v_add_co_ci_u32_e64 v25, null, s29, v25, vcc_lo
	;; [unrolled: 3-line block ×3, first 2 shown]
	s_clause 0x5
	global_load_b32 v20, v[20:21], off
	global_load_b32 v21, v[16:17], off
	;; [unrolled: 1-line block ×6, first 2 shown]
	s_and_not1_b32 vcc_lo, exec_lo, s16
	s_wait_loadcnt 0x1f
	ds_store_b32 v55, v38
	s_wait_loadcnt 0x1e
	ds_store_b32 v55, v39 offset:144
	s_wait_loadcnt 0x1d
	ds_store_b32 v55, v40 offset:288
	;; [unrolled: 2-line block ×15, first 2 shown]
	ds_load_b128 v[32:35], v56
	ds_load_b128 v[28:31], v56 offset:32
	ds_load_b128 v[24:27], v56 offset:64
	;; [unrolled: 1-line block ×3, first 2 shown]
	s_wait_loadcnt 0xf
	ds_store_b32 v55, v64
	s_wait_loadcnt 0xe
	ds_store_b32 v55, v65 offset:144
	s_wait_loadcnt 0xd
	ds_store_b32 v55, v66 offset:288
	;; [unrolled: 2-line block ×15, first 2 shown]
	ds_load_b128 v[44:47], v56
	ds_load_b128 v[40:43], v56 offset:32
	ds_load_b128 v[36:39], v56 offset:64
	ds_load_b128 v[20:23], v56 offset:96
	v_dual_mov_b32 v59, 0 :: v_dual_mov_b32 v58, 0
	s_wait_alu 0xfffe
	s_cbranch_vccnz .LBB69_9
; %bb.7:                                ;   in Loop: Header=BB69_6 Depth=1
	s_load_b32 s2, s[30:31], 0x0
	v_dual_mov_b32 v58, 0 :: v_dual_mov_b32 v59, 0
	s_wait_kmcnt 0x0
	s_mul_u64 s[70:71], s[2:3], s[34:35]
	s_wait_alu 0xfffe
	s_add_co_i32 s70, s2, s71
	s_wait_alu 0xfffe
	s_lshr_b32 s70, s70, s9
	s_wait_alu 0xfffe
	s_cmp_ge_i32 s70, s5
	s_cbranch_scc1 .LBB69_9
; %bb.8:                                ;   in Loop: Header=BB69_6 Depth=1
	v_mad_co_u64_u32 v[58:59], null, s70, s20, v[48:49]
	s_mul_i32 s70, s70, s10
	s_wait_alu 0xfffe
	s_sub_co_i32 s2, s2, s70
	s_wait_alu 0xfffe
	s_mul_i32 s2, s2, s17
	s_wait_alu 0xfffe
	v_lshl_add_u32 v58, v58, 1, s2
	s_delay_alu instid0(VALU_DEP_1) | instskip(NEXT) | instid1(VALU_DEP_1)
	v_ashrrev_i32_e32 v59, 31, v58
	v_lshlrev_b64_e32 v[58:59], 2, v[58:59]
	s_delay_alu instid0(VALU_DEP_1) | instskip(SKIP_1) | instid1(VALU_DEP_2)
	v_add_co_u32 v58, vcc_lo, s14, v58
	s_wait_alu 0xfffd
	v_add_co_ci_u32_e64 v59, null, s15, v59, vcc_lo
	global_load_b64 v[58:59], v[58:59], off
	s_wait_loadcnt 0x0
	v_bfe_u32 v60, v58, 16, 1
	v_bfe_u32 v61, v59, 16, 1
	v_or_b32_e32 v62, 0x400000, v58
	v_cmp_u_f32_e32 vcc_lo, v58, v58
	v_or_b32_e32 v63, 0x400000, v59
	v_add3_u32 v60, v60, v58, 0x7fff
	v_add3_u32 v61, v61, v59, 0x7fff
	s_wait_alu 0xfffd
	s_delay_alu instid0(VALU_DEP_2) | instskip(SKIP_1) | instid1(VALU_DEP_2)
	v_cndmask_b32_e32 v58, v60, v62, vcc_lo
	v_cmp_u_f32_e32 vcc_lo, v59, v59
	v_lshrrev_b32_e32 v59, 16, v58
	s_wait_alu 0xfffd
	v_cndmask_b32_e32 v60, v61, v63, vcc_lo
	s_delay_alu instid0(VALU_DEP_1)
	v_lshrrev_b32_e32 v58, 16, v60
.LBB69_9:                               ;   in Loop: Header=BB69_6 Depth=1
	v_dual_mov_b32 v60, 0 :: v_dual_mov_b32 v61, 0
	v_mov_b32_e32 v62, 0
	s_and_not1_b32 vcc_lo, exec_lo, s38
	s_wait_alu 0xfffe
	s_cbranch_vccnz .LBB69_12
; %bb.10:                               ;   in Loop: Header=BB69_6 Depth=1
	s_load_b32 s2, s[30:31], 0x4
	v_dual_mov_b32 v61, 0 :: v_dual_mov_b32 v62, 0
	s_wait_kmcnt 0x0
	s_mul_u64 s[70:71], s[2:3], s[34:35]
	s_wait_alu 0xfffe
	s_add_co_i32 s70, s2, s71
	s_wait_alu 0xfffe
	s_lshr_b32 s70, s70, s9
	s_wait_alu 0xfffe
	s_cmp_ge_i32 s70, s5
	s_cbranch_scc1 .LBB69_12
; %bb.11:                               ;   in Loop: Header=BB69_6 Depth=1
	v_mad_co_u64_u32 v[61:62], null, s70, s20, v[48:49]
	s_mul_i32 s70, s70, s10
	s_wait_alu 0xfffe
	s_sub_co_i32 s2, s2, s70
	s_wait_alu 0xfffe
	s_mul_i32 s2, s2, s17
	s_wait_alu 0xfffe
	v_lshl_add_u32 v61, v61, 1, s2
	s_delay_alu instid0(VALU_DEP_1) | instskip(NEXT) | instid1(VALU_DEP_1)
	v_ashrrev_i32_e32 v62, 31, v61
	v_lshlrev_b64_e32 v[61:62], 2, v[61:62]
	s_delay_alu instid0(VALU_DEP_1) | instskip(SKIP_1) | instid1(VALU_DEP_2)
	v_add_co_u32 v61, vcc_lo, s14, v61
	s_wait_alu 0xfffd
	v_add_co_ci_u32_e64 v62, null, s15, v62, vcc_lo
	global_load_b64 v[61:62], v[61:62], off
	s_wait_loadcnt 0x0
	v_bfe_u32 v63, v61, 16, 1
	v_bfe_u32 v64, v62, 16, 1
	v_or_b32_e32 v65, 0x400000, v61
	v_cmp_u_f32_e32 vcc_lo, v61, v61
	v_or_b32_e32 v66, 0x400000, v62
	v_add3_u32 v63, v63, v61, 0x7fff
	v_add3_u32 v64, v64, v62, 0x7fff
	s_wait_alu 0xfffd
	s_delay_alu instid0(VALU_DEP_2) | instskip(SKIP_1) | instid1(VALU_DEP_2)
	v_cndmask_b32_e32 v61, v63, v65, vcc_lo
	v_cmp_u_f32_e32 vcc_lo, v62, v62
	v_lshrrev_b32_e32 v62, 16, v61
	s_wait_alu 0xfffd
	v_cndmask_b32_e32 v63, v64, v66, vcc_lo
	s_delay_alu instid0(VALU_DEP_1)
	v_lshrrev_b32_e32 v61, 16, v63
.LBB69_12:                              ;   in Loop: Header=BB69_6 Depth=1
	v_mov_b32_e32 v63, 0
	s_and_not1_b32 vcc_lo, exec_lo, s39
	s_wait_alu 0xfffe
	s_cbranch_vccnz .LBB69_15
; %bb.13:                               ;   in Loop: Header=BB69_6 Depth=1
	s_load_b32 s2, s[30:31], 0x8
	v_dual_mov_b32 v63, 0 :: v_dual_mov_b32 v60, 0
	s_wait_kmcnt 0x0
	s_mul_u64 s[70:71], s[2:3], s[34:35]
	s_wait_alu 0xfffe
	s_add_co_i32 s70, s2, s71
	s_wait_alu 0xfffe
	s_lshr_b32 s70, s70, s9
	s_wait_alu 0xfffe
	s_cmp_ge_i32 s70, s5
	s_cbranch_scc1 .LBB69_15
; %bb.14:                               ;   in Loop: Header=BB69_6 Depth=1
	v_mad_co_u64_u32 v[63:64], null, s70, s20, v[48:49]
	s_mul_i32 s70, s70, s10
	s_wait_alu 0xfffe
	s_sub_co_i32 s2, s2, s70
	s_wait_alu 0xfffe
	s_mul_i32 s2, s2, s17
	s_wait_alu 0xfffe
	v_lshl_add_u32 v63, v63, 1, s2
	s_delay_alu instid0(VALU_DEP_1) | instskip(NEXT) | instid1(VALU_DEP_1)
	v_ashrrev_i32_e32 v64, 31, v63
	v_lshlrev_b64_e32 v[63:64], 2, v[63:64]
	s_delay_alu instid0(VALU_DEP_1) | instskip(SKIP_1) | instid1(VALU_DEP_2)
	v_add_co_u32 v63, vcc_lo, s14, v63
	s_wait_alu 0xfffd
	v_add_co_ci_u32_e64 v64, null, s15, v64, vcc_lo
	global_load_b64 v[63:64], v[63:64], off
	s_wait_loadcnt 0x0
	v_bfe_u32 v60, v63, 16, 1
	v_bfe_u32 v65, v64, 16, 1
	v_or_b32_e32 v66, 0x400000, v63
	v_cmp_u_f32_e32 vcc_lo, v63, v63
	v_or_b32_e32 v67, 0x400000, v64
	v_add3_u32 v60, v60, v63, 0x7fff
	v_add3_u32 v65, v65, v64, 0x7fff
	s_wait_alu 0xfffd
	s_delay_alu instid0(VALU_DEP_2) | instskip(SKIP_3) | instid1(VALU_DEP_3)
	v_cndmask_b32_e32 v60, v60, v66, vcc_lo
	v_cmp_u_f32_e32 vcc_lo, v64, v64
	s_wait_alu 0xfffd
	v_cndmask_b32_e32 v63, v65, v67, vcc_lo
	v_lshrrev_b32_e32 v60, 16, v60
	s_delay_alu instid0(VALU_DEP_2)
	v_lshrrev_b32_e32 v63, 16, v63
.LBB69_15:                              ;   in Loop: Header=BB69_6 Depth=1
	v_dual_mov_b32 v64, 0 :: v_dual_mov_b32 v65, 0
	s_and_not1_b32 vcc_lo, exec_lo, s8
	s_wait_alu 0xfffe
	s_cbranch_vccnz .LBB69_5
; %bb.16:                               ;   in Loop: Header=BB69_6 Depth=1
	s_load_b32 s2, s[30:31], 0xc
	v_dual_mov_b32 v65, 0 :: v_dual_mov_b32 v64, 0
	s_wait_kmcnt 0x0
	s_mul_u64 s[70:71], s[2:3], s[34:35]
	s_wait_alu 0xfffe
	s_add_co_i32 s70, s2, s71
	s_wait_alu 0xfffe
	s_lshr_b32 s70, s70, s9
	s_wait_alu 0xfffe
	s_cmp_ge_i32 s70, s5
	s_cbranch_scc1 .LBB69_5
; %bb.17:                               ;   in Loop: Header=BB69_6 Depth=1
	v_mad_co_u64_u32 v[64:65], null, s70, s20, v[48:49]
	s_mul_i32 s70, s70, s10
	s_wait_alu 0xfffe
	s_sub_co_i32 s2, s2, s70
	s_wait_alu 0xfffe
	s_mul_i32 s2, s2, s17
	s_wait_alu 0xfffe
	v_lshl_add_u32 v64, v64, 1, s2
	s_delay_alu instid0(VALU_DEP_1) | instskip(NEXT) | instid1(VALU_DEP_1)
	v_ashrrev_i32_e32 v65, 31, v64
	v_lshlrev_b64_e32 v[64:65], 2, v[64:65]
	s_delay_alu instid0(VALU_DEP_1) | instskip(SKIP_1) | instid1(VALU_DEP_2)
	v_add_co_u32 v64, vcc_lo, s14, v64
	s_wait_alu 0xfffd
	v_add_co_ci_u32_e64 v65, null, s15, v65, vcc_lo
	global_load_b64 v[64:65], v[64:65], off
	s_wait_loadcnt 0x0
	v_bfe_u32 v66, v64, 16, 1
	v_bfe_u32 v67, v65, 16, 1
	v_or_b32_e32 v68, 0x400000, v64
	v_cmp_u_f32_e32 vcc_lo, v64, v64
	v_or_b32_e32 v69, 0x400000, v65
	v_add3_u32 v66, v66, v64, 0x7fff
	v_add3_u32 v67, v67, v65, 0x7fff
	s_wait_alu 0xfffd
	s_delay_alu instid0(VALU_DEP_2) | instskip(SKIP_3) | instid1(VALU_DEP_3)
	v_cndmask_b32_e32 v64, v66, v68, vcc_lo
	v_cmp_u_f32_e32 vcc_lo, v65, v65
	s_wait_alu 0xfffd
	v_cndmask_b32_e32 v65, v67, v69, vcc_lo
	v_lshrrev_b32_e32 v64, 16, v64
	s_delay_alu instid0(VALU_DEP_2)
	v_lshrrev_b32_e32 v65, 16, v65
	s_branch .LBB69_5
.LBB69_18:
	s_or_b32 exec_lo, exec_lo, s69
.LBB69_19:
	s_delay_alu instid0(SALU_CYCLE_1)
	s_or_b32 exec_lo, exec_lo, s37
	s_load_b64 s[0:1], s[0:1], 0x18
	v_lshlrev_b32_e32 v16, 1, v51
	v_lshl_add_u32 v17, v53, 2, 0
	v_mul_u32_u24_e32 v18, 0x390, v54
	s_barrier_signal -1
	s_delay_alu instid0(VALU_DEP_3)
	v_and_b32_e32 v16, 0x7e0, v16
	s_barrier_wait -1
	global_inv scope:SCOPE_SE
	s_mov_b32 s2, exec_lo
	v_add3_u32 v16, v17, v18, v16
	ds_store_2addr_b32 v16, v8, v9 offset1:1
	ds_store_2addr_b32 v16, v10, v11 offset0:2 offset1:3
	ds_store_2addr_b32 v16, v12, v13 offset0:4 offset1:5
	;; [unrolled: 1-line block ×7, first 2 shown]
	s_wait_loadcnt_dscnt 0x0
	s_barrier_signal -1
	s_barrier_wait -1
	global_inv scope:SCOPE_SE
	v_cmpx_gt_u32_e32 4, v52
	s_cbranch_execz .LBB69_23
; %bb.20:
	v_or_b32_e32 v0, s36, v52
	s_cmp_gt_i32 s6, 0
	s_cselect_b32 s2, -1, 0
	s_delay_alu instid0(VALU_DEP_1)
	v_cmp_gt_i32_e32 vcc_lo, s19, v0
	s_wait_alu 0xfffe
	s_and_b32 s2, s2, vcc_lo
	s_wait_alu 0xfffe
	s_and_b32 exec_lo, exec_lo, s2
	s_cbranch_execz .LBB69_23
; %bb.21:
	v_lshlrev_b32_e32 v0, 2, v0
	s_lshl_b64 s[2:3], s[24:25], 2
	s_wait_kmcnt 0x0
	s_wait_alu 0xfffe
	s_add_nc_u64 s[0:1], s[0:1], s[2:3]
	global_load_b32 v1, v0, s[0:1]
	s_wait_loadcnt 0x0
	v_mul_hi_u32 v0, v1, s11
	s_delay_alu instid0(VALU_DEP_1) | instskip(NEXT) | instid1(VALU_DEP_1)
	v_add_nc_u32_e32 v0, v1, v0
	v_lshrrev_b32_e32 v0, s22, v0
	s_delay_alu instid0(VALU_DEP_1)
	v_cmp_gt_i32_e32 vcc_lo, s5, v0
	s_and_b32 exec_lo, exec_lo, vcc_lo
	s_cbranch_execz .LBB69_23
; %bb.22:
	v_lshlrev_b32_e32 v2, 2, v51
	v_mul_u32_u24_e32 v3, 0x390, v52
	v_mul_lo_u32 v9, v0, s23
	v_mul_lo_u32 v0, v0, s21
	s_delay_alu instid0(VALU_DEP_3)
	v_add3_u32 v8, 0, v2, v3
	ds_load_2addr_b32 v[2:3], v8 offset1:32
	ds_load_2addr_b32 v[4:5], v8 offset0:64 offset1:96
	ds_load_2addr_b32 v[6:7], v8 offset0:128 offset1:160
	v_sub_nc_u32_e32 v1, v1, v9
	s_wait_dscnt 0x2
	v_add_f32_e32 v2, 0, v2
	s_delay_alu instid0(VALU_DEP_1) | instskip(SKIP_4) | instid1(VALU_DEP_2)
	v_add_f32_e32 v2, v2, v3
	ds_load_b32 v3, v8 offset:768
	s_wait_dscnt 0x2
	v_add_f32_e32 v2, v2, v4
	v_mul_lo_u32 v4, v1, s18
	v_dual_mov_b32 v1, 0 :: v_dual_add_f32 v2, v2, v5
	s_wait_dscnt 0x1
	s_delay_alu instid0(VALU_DEP_1) | instskip(NEXT) | instid1(VALU_DEP_1)
	v_dual_add_f32 v2, v2, v6 :: v_dual_add_nc_u32 v5, s33, v51
	v_add3_u32 v0, v5, v0, v4
	s_delay_alu instid0(VALU_DEP_2) | instskip(NEXT) | instid1(VALU_DEP_2)
	v_add_f32_e32 v2, v2, v7
	v_lshlrev_b64_e32 v[0:1], 2, v[0:1]
	s_wait_dscnt 0x0
	s_delay_alu instid0(VALU_DEP_2) | instskip(NEXT) | instid1(VALU_DEP_2)
	v_add_f32_e32 v2, v2, v3
	v_add_co_u32 v0, vcc_lo, s26, v0
	s_wait_alu 0xfffd
	s_delay_alu instid0(VALU_DEP_3)
	v_add_co_ci_u32_e64 v1, null, s27, v1, vcc_lo
	global_store_b32 v[0:1], v2, off
.LBB69_23:
	s_endpgm
	.section	.rodata,"a",@progbits
	.p2align	6, 0x0
	.amdhsa_kernel _ZL13mul_mat_f_idsI15__hip_bfloat162Li32ELi4ELi7EEvPKT_PKfPKiS7_S7_Pfiiiiiiiiiiiiii15HIP_vector_typeIjLj3EESA_
		.amdhsa_group_segment_fixed_size 0
		.amdhsa_private_segment_fixed_size 0
		.amdhsa_kernarg_size 128
		.amdhsa_user_sgpr_count 2
		.amdhsa_user_sgpr_dispatch_ptr 0
		.amdhsa_user_sgpr_queue_ptr 0
		.amdhsa_user_sgpr_kernarg_segment_ptr 1
		.amdhsa_user_sgpr_dispatch_id 0
		.amdhsa_user_sgpr_private_segment_size 0
		.amdhsa_wavefront_size32 1
		.amdhsa_uses_dynamic_stack 0
		.amdhsa_enable_private_segment 0
		.amdhsa_system_sgpr_workgroup_id_x 1
		.amdhsa_system_sgpr_workgroup_id_y 1
		.amdhsa_system_sgpr_workgroup_id_z 1
		.amdhsa_system_sgpr_workgroup_info 0
		.amdhsa_system_vgpr_workitem_id 1
		.amdhsa_next_free_vgpr 74
		.amdhsa_next_free_sgpr 74
		.amdhsa_reserve_vcc 1
		.amdhsa_float_round_mode_32 0
		.amdhsa_float_round_mode_16_64 0
		.amdhsa_float_denorm_mode_32 3
		.amdhsa_float_denorm_mode_16_64 3
		.amdhsa_fp16_overflow 0
		.amdhsa_workgroup_processor_mode 1
		.amdhsa_memory_ordered 1
		.amdhsa_forward_progress 1
		.amdhsa_inst_pref_size 35
		.amdhsa_round_robin_scheduling 0
		.amdhsa_exception_fp_ieee_invalid_op 0
		.amdhsa_exception_fp_denorm_src 0
		.amdhsa_exception_fp_ieee_div_zero 0
		.amdhsa_exception_fp_ieee_overflow 0
		.amdhsa_exception_fp_ieee_underflow 0
		.amdhsa_exception_fp_ieee_inexact 0
		.amdhsa_exception_int_div_zero 0
	.end_amdhsa_kernel
	.section	.text._ZL13mul_mat_f_idsI15__hip_bfloat162Li32ELi4ELi7EEvPKT_PKfPKiS7_S7_Pfiiiiiiiiiiiiii15HIP_vector_typeIjLj3EESA_,"axG",@progbits,_ZL13mul_mat_f_idsI15__hip_bfloat162Li32ELi4ELi7EEvPKT_PKfPKiS7_S7_Pfiiiiiiiiiiiiii15HIP_vector_typeIjLj3EESA_,comdat
.Lfunc_end69:
	.size	_ZL13mul_mat_f_idsI15__hip_bfloat162Li32ELi4ELi7EEvPKT_PKfPKiS7_S7_Pfiiiiiiiiiiiiii15HIP_vector_typeIjLj3EESA_, .Lfunc_end69-_ZL13mul_mat_f_idsI15__hip_bfloat162Li32ELi4ELi7EEvPKT_PKfPKiS7_S7_Pfiiiiiiiiiiiiii15HIP_vector_typeIjLj3EESA_
                                        ; -- End function
	.set _ZL13mul_mat_f_idsI15__hip_bfloat162Li32ELi4ELi7EEvPKT_PKfPKiS7_S7_Pfiiiiiiiiiiiiii15HIP_vector_typeIjLj3EESA_.num_vgpr, 74
	.set _ZL13mul_mat_f_idsI15__hip_bfloat162Li32ELi4ELi7EEvPKT_PKfPKiS7_S7_Pfiiiiiiiiiiiiii15HIP_vector_typeIjLj3EESA_.num_agpr, 0
	.set _ZL13mul_mat_f_idsI15__hip_bfloat162Li32ELi4ELi7EEvPKT_PKfPKiS7_S7_Pfiiiiiiiiiiiiii15HIP_vector_typeIjLj3EESA_.numbered_sgpr, 74
	.set _ZL13mul_mat_f_idsI15__hip_bfloat162Li32ELi4ELi7EEvPKT_PKfPKiS7_S7_Pfiiiiiiiiiiiiii15HIP_vector_typeIjLj3EESA_.num_named_barrier, 0
	.set _ZL13mul_mat_f_idsI15__hip_bfloat162Li32ELi4ELi7EEvPKT_PKfPKiS7_S7_Pfiiiiiiiiiiiiii15HIP_vector_typeIjLj3EESA_.private_seg_size, 0
	.set _ZL13mul_mat_f_idsI15__hip_bfloat162Li32ELi4ELi7EEvPKT_PKfPKiS7_S7_Pfiiiiiiiiiiiiii15HIP_vector_typeIjLj3EESA_.uses_vcc, 1
	.set _ZL13mul_mat_f_idsI15__hip_bfloat162Li32ELi4ELi7EEvPKT_PKfPKiS7_S7_Pfiiiiiiiiiiiiii15HIP_vector_typeIjLj3EESA_.uses_flat_scratch, 0
	.set _ZL13mul_mat_f_idsI15__hip_bfloat162Li32ELi4ELi7EEvPKT_PKfPKiS7_S7_Pfiiiiiiiiiiiiii15HIP_vector_typeIjLj3EESA_.has_dyn_sized_stack, 0
	.set _ZL13mul_mat_f_idsI15__hip_bfloat162Li32ELi4ELi7EEvPKT_PKfPKiS7_S7_Pfiiiiiiiiiiiiii15HIP_vector_typeIjLj3EESA_.has_recursion, 0
	.set _ZL13mul_mat_f_idsI15__hip_bfloat162Li32ELi4ELi7EEvPKT_PKfPKiS7_S7_Pfiiiiiiiiiiiiii15HIP_vector_typeIjLj3EESA_.has_indirect_call, 0
	.section	.AMDGPU.csdata,"",@progbits
; Kernel info:
; codeLenInByte = 4424
; TotalNumSgprs: 76
; NumVgprs: 74
; ScratchSize: 0
; MemoryBound: 0
; FloatMode: 240
; IeeeMode: 1
; LDSByteSize: 0 bytes/workgroup (compile time only)
; SGPRBlocks: 0
; VGPRBlocks: 9
; NumSGPRsForWavesPerEU: 76
; NumVGPRsForWavesPerEU: 74
; Occupancy: 16
; WaveLimiterHint : 1
; COMPUTE_PGM_RSRC2:SCRATCH_EN: 0
; COMPUTE_PGM_RSRC2:USER_SGPR: 2
; COMPUTE_PGM_RSRC2:TRAP_HANDLER: 0
; COMPUTE_PGM_RSRC2:TGID_X_EN: 1
; COMPUTE_PGM_RSRC2:TGID_Y_EN: 1
; COMPUTE_PGM_RSRC2:TGID_Z_EN: 1
; COMPUTE_PGM_RSRC2:TIDIG_COMP_CNT: 1
	.section	.text._ZL9mul_mat_fI15__hip_bfloat162Li32ELi4ELi7ELb1EEvPKT_PKfPKiPfiiiiiiiiiiiiiiii,"axG",@progbits,_ZL9mul_mat_fI15__hip_bfloat162Li32ELi4ELi7ELb1EEvPKT_PKfPKiPfiiiiiiiiiiiiiiii,comdat
	.globl	_ZL9mul_mat_fI15__hip_bfloat162Li32ELi4ELi7ELb1EEvPKT_PKfPKiPfiiiiiiiiiiiiiiii ; -- Begin function _ZL9mul_mat_fI15__hip_bfloat162Li32ELi4ELi7ELb1EEvPKT_PKfPKiPfiiiiiiiiiiiiiiii
	.p2align	8
	.type	_ZL9mul_mat_fI15__hip_bfloat162Li32ELi4ELi7ELb1EEvPKT_PKfPKiPfiiiiiiiiiiiiiiii,@function
_ZL9mul_mat_fI15__hip_bfloat162Li32ELi4ELi7ELb1EEvPKT_PKfPKiPfiiiiiiiiiiiiiiii: ; @_ZL9mul_mat_fI15__hip_bfloat162Li32ELi4ELi7ELb1EEvPKT_PKfPKiPfiiiiiiiiiiiiiiii
; %bb.0:
	s_load_b256 s[4:11], s[0:1], 0x20
	s_mov_b32 s29, 0
	v_bfe_u32 v55, v0, 10, 10
	v_and_b32_e32 v48, 0x3ff, v0
	s_wait_kmcnt 0x0
	s_add_co_i32 s2, s5, 3
	s_delay_alu instid0(SALU_CYCLE_1) | instskip(NEXT) | instid1(SALU_CYCLE_1)
	s_ashr_i32 s3, s2, 31
	s_lshr_b32 s3, s3, 30
	s_delay_alu instid0(SALU_CYCLE_1) | instskip(NEXT) | instid1(SALU_CYCLE_1)
	s_add_co_i32 s2, s2, s3
	s_ashr_i32 s2, s2, 2
	s_delay_alu instid0(SALU_CYCLE_1) | instskip(SKIP_1) | instid1(SALU_CYCLE_2)
	s_cvt_f32_u32 s3, s2
	s_sub_co_i32 s13, 0, s2
	v_rcp_iflag_f32_e32 v1, s3
	s_load_b32 s3, s[0:1], 0x64
	s_delay_alu instid0(TRANS32_DEP_1) | instskip(SKIP_1) | instid1(SALU_CYCLE_3)
	v_readfirstlane_b32 s12, v1
	s_mul_f32 s12, s12, 0x4f7ffffe
	s_cvt_u32_f32 s12, s12
	s_delay_alu instid0(SALU_CYCLE_3) | instskip(NEXT) | instid1(SALU_CYCLE_1)
	s_mul_i32 s13, s13, s12
	s_mul_hi_u32 s13, s12, s13
	s_delay_alu instid0(SALU_CYCLE_1) | instskip(SKIP_4) | instid1(SALU_CYCLE_1)
	s_add_co_i32 s12, s12, s13
	s_wait_kmcnt 0x0
	s_mul_hi_u32 s16, s3, s12
	s_load_b128 s[12:15], s[0:1], 0x44
	s_mul_i32 s17, s16, s2
	s_sub_co_i32 s3, s3, s17
	s_add_co_i32 s17, s16, 1
	s_wait_alu 0xfffe
	s_sub_co_i32 s18, s3, s2
	s_cmp_ge_u32 s3, s2
	s_cselect_b32 s16, s17, s16
	s_cselect_b32 s3, s18, s3
	s_add_co_i32 s17, s16, 1
	s_wait_alu 0xfffe
	s_cmp_ge_u32 s3, s2
	s_mov_b32 s3, s29
	s_cselect_b32 s18, s17, s16
	s_lshr_b32 s24, ttmp7, 16
	s_cvt_f32_u32 s2, s18
	s_wait_alu 0xfffe
	s_delay_alu instid0(SALU_CYCLE_2) | instskip(SKIP_2) | instid1(SALU_CYCLE_1)
	v_rcp_iflag_f32_e32 v1, s2
	s_wait_kmcnt 0x0
	s_abs_i32 s33, s15
	s_cvt_f32_u32 s2, s33
	s_wait_alu 0xfffe
	s_delay_alu instid0(SALU_CYCLE_2) | instskip(NEXT) | instid1(TRANS32_DEP_2)
	v_rcp_iflag_f32_e32 v2, s2
	v_readfirstlane_b32 s2, v1
	s_mul_f32 s2, s2, 0x4f7ffffe
	s_delay_alu instid0(TRANS32_DEP_1) | instskip(SKIP_1) | instid1(SALU_CYCLE_1)
	v_readfirstlane_b32 s16, v2
	s_wait_alu 0xfffe
	s_cvt_u32_f32 s17, s2
	s_sub_co_i32 s2, 0, s18
	s_mul_f32 s16, s16, 0x4f7ffffe
	s_wait_alu 0xfffe
	s_mul_i32 s19, s2, s17
	s_and_b32 s2, ttmp7, 0xffff
	s_mul_hi_u32 s20, s17, s19
	s_cvt_u32_f32 s19, s16
	s_add_co_i32 s28, s17, s20
	s_sub_co_i32 s20, 0, s33
	s_wait_alu 0xfffe
	s_mul_u64 s[16:17], s[2:3], s[28:29]
	s_mul_i32 s20, s20, s19
	s_mov_b32 s16, exec_lo
	s_mul_hi_u32 s3, s19, s20
	v_cmpx_eq_u32_e32 0, v48
; %bb.1:
	v_lshl_add_u32 v1, v55, 2, 0x100
	v_mov_b32_e32 v2, -1
	ds_store_b32 v1, v2
; %bb.2:
	s_or_b32 exec_lo, exec_lo, s16
	s_mul_i32 s16, s17, s18
	s_load_b96 s[20:22], s[0:1], 0x54
	s_add_co_i32 s30, s19, s3
	s_sub_co_i32 s3, s2, s16
	s_abs_i32 s28, s24
	s_add_co_i32 s16, s17, 1
	s_wait_alu 0xfffe
	s_sub_co_i32 s19, s3, s18
	s_cmp_ge_u32 s3, s18
	v_mov_b32_e32 v3, 0
	s_cselect_b32 s16, s16, s17
	s_cselect_b32 s3, s19, s3
	s_add_co_i32 s17, s16, 1
	s_wait_alu 0xfffe
	s_cmp_ge_u32 s3, s18
	s_cselect_b32 s3, s17, s16
	s_add_nc_u64 s[16:17], s[0:1], 0x60
	s_wait_alu 0xfffe
	s_lshl_b32 s26, s3, 2
	s_mul_i32 s3, s3, s18
	v_add_nc_u32_e32 v1, s26, v55
	s_wait_alu 0xfffe
	s_sub_co_i32 s34, s2, s3
	s_ashr_i32 s27, s26, 31
	s_mov_b32 s3, exec_lo
	v_cmpx_gt_i32_e64 s5, v1
	s_cbranch_execz .LBB70_10
; %bb.3:
	v_mov_b32_e32 v3, 0
	s_mov_b32 s18, exec_lo
	v_cmpx_gt_i32_e64 s6, v48
	s_cbranch_execz .LBB70_9
; %bb.4:
	s_load_b64 s[36:37], s[0:1], 0x10
	v_mul_lo_u32 v1, v55, s11
	s_ashr_i32 s39, s11, 31
	s_mov_b32 s38, s11
	v_lshl_add_u32 v4, v55, 2, 0x100
	s_mul_u64 s[38:39], s[26:27], s[38:39]
	v_mov_b32_e32 v3, 0
	s_lshl_b64 s[38:39], s[38:39], 2
	v_mov_b32_e32 v7, v48
	v_ashrrev_i32_e32 v2, 31, v1
	s_lshl_b32 s11, s10, 5
	s_delay_alu instid0(VALU_DEP_1)
	v_lshlrev_b64_e32 v[5:6], 2, v[1:2]
	v_mul_lo_u32 v1, v48, s10
	s_mov_b32 s10, 0
	s_wait_kmcnt 0x0
	s_add_nc_u64 s[36:37], s[36:37], s[38:39]
	s_delay_alu instid0(VALU_DEP_2) | instid1(SALU_CYCLE_1)
	v_add_co_u32 v5, vcc_lo, s36, v5
	s_delay_alu instid0(VALU_DEP_1)
	v_add_co_ci_u32_e64 v6, null, s37, v6, vcc_lo
	s_branch .LBB70_6
.LBB70_5:                               ;   in Loop: Header=BB70_6 Depth=1
	s_or_b32 exec_lo, exec_lo, s19
	v_add_nc_u32_e32 v7, 32, v7
	s_xor_b32 s19, vcc_lo, -1
	s_wait_alu 0xfffe
	v_add_nc_u32_e32 v1, s11, v1
	s_delay_alu instid0(VALU_DEP_2)
	v_cmp_le_i32_e64 s2, s6, v7
	s_or_b32 s2, s19, s2
	s_wait_alu 0xfffe
	s_and_b32 s2, exec_lo, s2
	s_wait_alu 0xfffe
	s_or_b32 s10, s2, s10
	s_wait_alu 0xfffe
	s_and_not1_b32 exec_lo, exec_lo, s10
	s_cbranch_execz .LBB70_8
.LBB70_6:                               ; =>This Inner Loop Header: Depth=1
	s_delay_alu instid0(VALU_DEP_3) | instskip(SKIP_1) | instid1(VALU_DEP_1)
	v_ashrrev_i32_e32 v2, 31, v1
	s_mov_b32 s19, exec_lo
	v_lshlrev_b64_e32 v[8:9], 2, v[1:2]
	s_delay_alu instid0(VALU_DEP_1) | instskip(SKIP_1) | instid1(VALU_DEP_2)
	v_add_co_u32 v8, vcc_lo, v5, v8
	s_wait_alu 0xfffd
	v_add_co_ci_u32_e64 v9, null, v6, v9, vcc_lo
	global_load_b32 v2, v[8:9], off
	s_wait_loadcnt 0x0
	v_cmp_ne_u32_e32 vcc_lo, s34, v2
	v_cmpx_eq_u32_e64 s34, v2
	s_cbranch_execz .LBB70_5
; %bb.7:                                ;   in Loop: Header=BB70_6 Depth=1
	v_mov_b32_e32 v3, 1
	ds_store_b32 v4, v7
	s_branch .LBB70_5
.LBB70_8:
	s_or_b32 exec_lo, exec_lo, s10
.LBB70_9:
	s_delay_alu instid0(SALU_CYCLE_1)
	s_or_b32 exec_lo, exec_lo, s18
.LBB70_10:
	s_wait_alu 0xfffe
	s_or_b32 exec_lo, exec_lo, s3
	v_or_b32_dpp v1, v3, v3 row_shl:1 row_mask:0xf bank_mask:0xf bound_ctrl:1
	s_load_b64 s[10:11], s[16:17], 0xc
	s_mov_b32 s31, s29
	s_delay_alu instid0(VALU_DEP_1) | instskip(NEXT) | instid1(VALU_DEP_1)
	v_or_b32_dpp v1, v1, v1 row_shl:2 row_mask:0xf bank_mask:0xf bound_ctrl:1
	v_or_b32_dpp v1, v1, v1 row_shl:4 row_mask:0xf bank_mask:0xf bound_ctrl:1
	s_delay_alu instid0(VALU_DEP_1) | instskip(NEXT) | instid1(VALU_DEP_1)
	v_or_b32_dpp v1, v1, v1 row_shl:8 row_mask:0xf bank_mask:0xf bound_ctrl:1
	v_mov_b32_dpp v1, v1 row_share:0 row_mask:0xf bank_mask:0xf bound_ctrl:1
	s_wait_kmcnt 0x0
	s_lshr_b32 s3, s10, 16
	s_and_b32 s2, s10, 0xffff
	s_and_b32 s10, s11, 0xffff
	s_wait_alu 0xfffe
	s_mul_i32 s6, s3, s2
	v_permlanex16_b32 v2, v1, 0, 0 op_sel:[0,1]
	s_wait_alu 0xfffe
	s_bfe_i32 s6, s6, 0x180000
	s_wait_alu 0xfffe
	s_mul_i32 s6, s6, s10
	s_wait_alu 0xfffe
	s_add_co_i32 s6, s6, 31
	v_or_b32_e32 v2, v2, v1
	s_wait_alu 0xfffe
	s_and_not1_b32 s6, s6, 31
	s_wait_alu 0xfffe
	s_cmp_lg_u32 s6, 32
	s_cbranch_scc0 .LBB70_19
; %bb.11:
	v_bfe_u32 v0, v0, 20, 10
	s_delay_alu instid0(VALU_DEP_1) | instskip(NEXT) | instid1(VALU_DEP_1)
	v_mad_u32_u24 v0, v0, s3, v55
	v_mad_co_u64_u32 v[0:1], null, v0, s2, v[48:49]
	v_mbcnt_lo_u32_b32 v1, -1, 0
	s_mov_b32 s2, exec_lo
	s_delay_alu instid0(VALU_DEP_2) | instskip(NEXT) | instid1(VALU_DEP_1)
	v_lshrrev_b32_e32 v3, 5, v0
	v_or_b32_e32 v3, v1, v3
	s_delay_alu instid0(VALU_DEP_1)
	v_cmpx_eq_u32_e32 0, v3
; %bb.12:
	v_mov_b32_e32 v3, 0
	ds_store_b32 v3, v2
; %bb.13:
	s_wait_alu 0xfffe
	s_or_b32 exec_lo, exec_lo, s2
	v_cmp_eq_u32_e32 vcc_lo, 0, v1
	v_cmp_lt_u32_e64 s2, 31, v0
	s_mov_b32 s3, 0
	s_wait_dscnt 0x0
	s_barrier_signal -1
	s_barrier_wait -1
	s_and_b32 s6, s2, vcc_lo
	global_inv scope:SCOPE_SE
	s_wait_alu 0xfffe
	s_and_saveexec_b32 s2, s6
	s_cbranch_execz .LBB70_18
; %bb.14:
	s_mov_b32 s6, exec_lo
.LBB70_15:                              ; =>This Inner Loop Header: Depth=1
	s_wait_alu 0xfffe
	s_ctz_i32_b32 s10, s6
	s_wait_alu 0xfffe
	v_readlane_b32 s11, v2, s10
	s_lshl_b32 s10, 1, s10
	s_wait_alu 0xfffe
	s_and_not1_b32 s6, s6, s10
	s_or_b32 s3, s3, s11
	s_wait_alu 0xfffe
	s_cmp_lg_u32 s6, 0
	s_cbranch_scc1 .LBB70_15
; %bb.16:
	v_mbcnt_lo_u32_b32 v0, exec_lo, 0
	s_mov_b32 s6, exec_lo
	s_delay_alu instid0(VALU_DEP_1)
	v_cmpx_eq_u32_e32 0, v0
	s_wait_alu 0xfffe
	s_xor_b32 s6, exec_lo, s6
; %bb.17:
	v_dual_mov_b32 v0, 0 :: v_dual_mov_b32 v1, s3
	ds_or_b32 v0, v1
.LBB70_18:
	s_wait_alu 0xfffe
	s_or_b32 exec_lo, exec_lo, s2
	v_mov_b32_e32 v0, 0
	s_wait_loadcnt_dscnt 0x0
	s_barrier_signal -1
	s_barrier_wait -1
	global_inv scope:SCOPE_SE
	ds_load_b32 v2, v0
	s_wait_loadcnt_dscnt 0x0
	s_barrier_signal -1
	s_barrier_wait -1
	global_inv scope:SCOPE_SE
.LBB70_19:
	s_clause 0x1
	s_load_b128 s[16:19], s[0:1], 0x0
	s_load_b64 s[2:3], s[0:1], 0x18
	s_mul_u64 s[0:1], s[28:29], s[30:31]
	s_ashr_i32 s0, s15, 31
	s_mov_b32 s25, 0
	s_mov_b32 s6, exec_lo
	v_cmpx_ne_u32_e32 0, v2
	s_cbranch_execz .LBB70_45
; %bb.20:
	v_lshlrev_b32_e32 v56, 5, v55
	v_and_b32_e32 v57, 15, v48
	s_mov_b32 s6, exec_lo
	s_delay_alu instid0(VALU_DEP_2) | instskip(NEXT) | instid1(VALU_DEP_1)
	v_add_nc_u32_e32 v59, v56, v48
	v_cmpx_le_i32_e64 s4, v59
	s_wait_alu 0xfffe
	s_xor_b32 s6, exec_lo, s6
; %bb.21:
	v_and_b32_e32 v57, 15, v48
                                        ; implicit-def: $vgpr59
; %bb.22:
	s_wait_alu 0xfffe
	s_or_saveexec_b32 s23, s6
	v_dual_mov_b32 v15, 0 :: v_dual_lshlrev_b32 v58, 1, v48
	s_lshl_b32 s15, ttmp9, 5
	s_delay_alu instid0(VALU_DEP_1)
	v_dual_mov_b32 v14, v15 :: v_dual_mov_b32 v13, v15
	v_dual_mov_b32 v12, v15 :: v_dual_mov_b32 v11, v15
	;; [unrolled: 1-line block ×7, first 2 shown]
	v_mov_b32_e32 v0, v15
	s_xor_b32 exec_lo, exec_lo, s23
	s_cbranch_execz .LBB70_42
; %bb.23:
	s_mul_i32 s6, s1, s33
	s_add_co_i32 s11, s1, 1
	s_wait_alu 0xfffe
	s_sub_co_i32 s6, s28, s6
	s_mov_b32 s10, s20
	s_wait_alu 0xfffe
	s_sub_co_i32 s29, s6, s33
	s_cmp_ge_u32 s6, s33
	s_mul_i32 s28, s34, s12
	s_cselect_b32 s1, s11, s1
	s_cselect_b32 s6, s29, s6
	s_add_co_i32 s11, s1, 1
	s_wait_alu 0xfffe
	s_cmp_ge_u32 s6, s33
	s_mul_i32 s30, s7, s15
	s_cselect_b32 s1, s11, s1
	s_ashr_i32 s11, s20, 31
	s_xor_b32 s1, s1, s0
	s_ashr_i32 s29, s28, 31
	s_sub_co_i32 s0, s1, s0
	s_mov_b32 s34, s21
	s_ashr_i32 s1, s0, 31
	s_mov_b32 s36, s8
	s_wait_alu 0xfffe
	s_mul_u64 s[0:1], s[0:1], s[10:11]
	s_ashr_i32 s31, s30, 31
	s_lshl_b64 s[62:63], s[0:1], 2
	s_ashr_i32 s35, s21, 31
	s_ashr_i32 s37, s8, 31
	s_lshl_b64 s[60:61], s[28:29], 2
	s_wait_kmcnt 0x0
	s_add_nc_u64 s[0:1], s[16:17], s[62:63]
	s_lshl_b64 s[64:65], s[30:31], 2
	s_wait_alu 0xfffe
	s_mul_u64 s[20:21], s[36:37], s[26:27]
	s_add_nc_u64 s[0:1], s[0:1], s[60:61]
	s_mul_u64 s[28:29], s[34:35], s[24:25]
	s_add_nc_u64 s[10:11], s[0:1], s[64:65]
	s_lshl_b64 s[20:21], s[20:21], 3
	s_lshl_b64 s[0:1], s[28:29], 2
	s_movk_i32 s6, 0x900
	s_cmp_lt_i32 s26, s5
	s_wait_alu 0xfffe
	v_mad_u32_u24 v0, v55, s6, 0x100
	s_add_nc_u64 s[18:19], s[18:19], s[0:1]
	s_cselect_b32 s1, -1, 0
	s_or_b32 s0, s26, 1
	v_mul_u32_u24_e32 v1, 0x90, v57
	v_mov_b32_e32 v62, 0
	v_and_b32_e32 v2, 0x3f0, v48
	s_cmp_lt_i32 s0, s5
	s_add_nc_u64 s[62:63], s[62:63], s[64:65]
	s_cselect_b32 s12, -1, 0
	s_or_b32 s0, s26, 2
	v_lshl_add_u32 v60, v48, 2, v0
	v_add3_u32 v61, v0, v1, v2
	v_dual_mov_b32 v63, 0x100 :: v_dual_lshlrev_b32 v0, 2, v59
	s_cmp_lt_i32 s0, s5
	s_add_nc_u64 s[60:61], s[62:63], s[60:61]
	s_add_nc_u64 s[18:19], s[18:19], s[20:21]
	s_cselect_b32 s20, -1, 0
	s_or_b32 s0, s26, 3
	s_add_nc_u64 s[16:17], s[16:17], s[60:61]
	s_lshl_b32 s21, s8, 2
	s_cmp_lt_i32 s0, s5
	v_add_co_u32 v50, s0, s16, v0
	v_lshl_add_u32 v49, v55, 6, v58
	v_add_co_ci_u32_e64 v51, null, s17, 0, s0
	v_dual_mov_b32 v0, 0 :: v_dual_mov_b32 v3, v62
	v_dual_mov_b32 v1, v62 :: v_dual_mov_b32 v2, v62
	;; [unrolled: 1-line block ×8, first 2 shown]
	s_cselect_b32 s28, -1, 0
	s_ashr_i32 s67, s7, 31
	s_mov_b32 s66, s7
	s_add_co_i32 s29, s7, s7
	s_mul_i32 s30, s7, 3
	s_lshl_b32 s31, s7, 2
	s_mul_i32 s33, s7, 5
	s_mul_i32 s34, s7, 6
	;; [unrolled: 1-line block ×3, first 2 shown]
	s_lshl_b32 s36, s7, 3
	s_mul_i32 s37, s7, 9
	s_mul_i32 s38, s7, 10
	;; [unrolled: 1-line block ×7, first 2 shown]
	s_lshl_b32 s44, s7, 4
	s_mul_i32 s45, s7, 17
	s_mul_i32 s46, s7, 18
	;; [unrolled: 1-line block ×15, first 2 shown]
	s_lshl_b64 s[6:7], s[66:67], 2
	s_mul_i32 s16, s8, 6
	s_lshl_b32 s17, s8, 1
	s_mov_b32 s8, 0
	s_branch .LBB70_26
.LBB70_24:                              ;   in Loop: Header=BB70_26 Depth=1
	v_mul_lo_u32 v52, v52, s13
	s_delay_alu instid0(VALU_DEP_1) | instskip(NEXT) | instid1(VALU_DEP_1)
	v_add3_u32 v52, v52, s16, v49
	v_ashrrev_i32_e32 v53, 31, v52
	s_delay_alu instid0(VALU_DEP_1) | instskip(NEXT) | instid1(VALU_DEP_1)
	v_lshlrev_b64_e32 v[52:53], 2, v[52:53]
	v_add_co_u32 v52, vcc_lo, s18, v52
	s_wait_alu 0xfffd
	s_delay_alu instid0(VALU_DEP_2)
	v_add_co_ci_u32_e64 v53, null, s19, v53, vcc_lo
	global_load_b64 v[52:53], v[52:53], off
.LBB70_25:                              ;   in Loop: Header=BB70_26 Depth=1
	s_wait_loadcnt 0x0
	s_delay_alu instid0(VALU_DEP_1) | instskip(NEXT) | instid1(VALU_DEP_2)
	v_bfe_u32 v54, v52, 16, 1
	v_bfe_u32 v64, v53, 16, 1
	v_or_b32_e32 v65, 0x400000, v52
	v_cmp_u_f32_e32 vcc_lo, v52, v52
	v_or_b32_e32 v66, 0x400000, v53
	v_add3_u32 v54, v54, v52, 0x7fff
	v_add3_u32 v64, v64, v53, 0x7fff
	ds_store_2addr_b32 v60, v62, v62 offset0:196 offset1:232
	ds_store_b32 v60, v62 offset:2224
	s_wait_alu 0xfffd
	v_dual_cndmask_b32 v52, v54, v65 :: v_dual_add_nc_u32 v59, 0xe0, v59
	v_cmp_u_f32_e32 vcc_lo, v53, v53
	v_add_nc_u32_e32 v54, 0x400, v60
	v_add_co_u32 v50, s0, 0x380, v50
	v_add_nc_u32_e32 v49, 0x1c0, v49
	s_wait_alu 0xfffd
	v_dual_cndmask_b32 v53, v64, v66 :: v_dual_add_nc_u32 v64, 0x600, v60
	v_cmp_le_i32_e32 vcc_lo, s4, v59
	s_wait_alu 0xf1ff
	v_add_co_ci_u32_e64 v51, null, 0, v51, s0
	s_delay_alu instid0(VALU_DEP_3)
	v_perm_b32 v52, v53, v52, 0x7060302
	ds_store_2addr_b32 v54, v62, v62 offset0:12 offset1:48
	ds_store_2addr_b32 v54, v62, v62 offset0:84 offset1:120
	;; [unrolled: 1-line block ×5, first 2 shown]
	ds_load_b128 v[64:67], v61 offset:64
	ds_load_b128 v[68:71], v61 offset:96
	;; [unrolled: 1-line block ×4, first 2 shown]
	s_or_b32 s8, vcc_lo, s8
	s_wait_dscnt 0x3
	v_wmma_f32_16x16x16_bf16 v[8:15], v[32:35], v[64:67], v[8:15]
	v_wmma_f32_16x16x16_bf16 v[0:7], v[44:47], v[64:67], v[0:7]
	s_wait_dscnt 0x2
	s_delay_alu instid0(VALU_DEP_2) | instskip(NEXT) | instid1(VALU_DEP_2)
	v_wmma_f32_16x16x16_bf16 v[8:15], v[28:31], v[68:71], v[8:15]
	v_wmma_f32_16x16x16_bf16 v[0:7], v[40:43], v[68:71], v[0:7]
	s_wait_dscnt 0x1
	s_delay_alu instid0(VALU_DEP_2) | instskip(NEXT) | instid1(VALU_DEP_2)
	;; [unrolled: 4-line block ×3, first 2 shown]
	v_wmma_f32_16x16x16_bf16 v[8:15], v[16:19], v[76:79], v[8:15]
	v_wmma_f32_16x16x16_bf16 v[0:7], v[20:23], v[76:79], v[0:7]
	s_and_not1_b32 exec_lo, exec_lo, s8
	s_cbranch_execz .LBB70_41
.LBB70_26:                              ; =>This Inner Loop Header: Depth=1
	v_add_nc_u32_e32 v22, s31, v59
	v_add_nc_u32_e32 v16, s29, v59
	s_wait_alu 0xfffe
	v_add_co_u32 v20, vcc_lo, v50, s6
	v_add_nc_u32_e32 v18, s30, v59
	s_wait_alu 0xfffd
	v_add_co_ci_u32_e64 v21, null, s7, v51, vcc_lo
	v_ashrrev_i32_e32 v23, 31, v22
	v_ashrrev_i32_e32 v17, 31, v16
	v_add_nc_u32_e32 v24, s33, v59
	v_ashrrev_i32_e32 v19, 31, v18
	s_clause 0x1
	global_load_b32 v38, v[50:51], off
	global_load_b32 v39, v[20:21], off
	v_lshlrev_b64_e32 v[20:21], 2, v[22:23]
	v_add_nc_u32_e32 v22, s34, v59
	v_lshlrev_b64_e32 v[16:17], 2, v[16:17]
	v_add_nc_u32_e32 v26, s35, v59
	v_ashrrev_i32_e32 v25, 31, v24
	v_lshlrev_b64_e32 v[18:19], 2, v[18:19]
	v_add_nc_u32_e32 v28, s36, v59
	v_ashrrev_i32_e32 v23, 31, v22
	v_add_nc_u32_e32 v30, s37, v59
	v_ashrrev_i32_e32 v27, 31, v26
	v_add_co_u32 v16, vcc_lo, s10, v16
	v_lshlrev_b64_e32 v[24:25], 2, v[24:25]
	v_ashrrev_i32_e32 v29, 31, v28
	s_wait_alu 0xfffd
	v_add_co_ci_u32_e64 v17, null, s11, v17, vcc_lo
	v_add_co_u32 v18, vcc_lo, s10, v18
	v_lshlrev_b64_e32 v[22:23], 2, v[22:23]
	v_ashrrev_i32_e32 v31, 31, v30
	s_wait_alu 0xfffd
	v_add_co_ci_u32_e64 v19, null, s11, v19, vcc_lo
	v_add_co_u32 v20, vcc_lo, s10, v20
	v_lshlrev_b64_e32 v[26:27], 2, v[26:27]
	s_wait_alu 0xfffd
	v_add_co_ci_u32_e64 v21, null, s11, v21, vcc_lo
	v_add_co_u32 v24, vcc_lo, s10, v24
	v_lshlrev_b64_e32 v[28:29], 2, v[28:29]
	;; [unrolled: 4-line block ×3, first 2 shown]
	s_wait_alu 0xfffd
	v_add_co_ci_u32_e64 v23, null, s11, v23, vcc_lo
	v_add_co_u32 v26, vcc_lo, s10, v26
	v_add_nc_u32_e32 v32, s38, v59
	s_wait_alu 0xfffd
	v_add_co_ci_u32_e64 v27, null, s11, v27, vcc_lo
	v_add_co_u32 v28, vcc_lo, s10, v28
	v_add_nc_u32_e32 v34, s39, v59
	;; [unrolled: 4-line block ×3, first 2 shown]
	v_ashrrev_i32_e32 v33, 31, v32
	s_wait_alu 0xfffd
	v_add_co_ci_u32_e64 v31, null, s11, v31, vcc_lo
	s_clause 0x7
	global_load_b32 v40, v[16:17], off
	global_load_b32 v41, v[18:19], off
	;; [unrolled: 1-line block ×8, first 2 shown]
	v_add_nc_u32_e32 v18, s41, v59
	v_ashrrev_i32_e32 v35, 31, v34
	v_add_nc_u32_e32 v24, s42, v59
	v_ashrrev_i32_e32 v37, 31, v36
	v_lshlrev_b64_e32 v[32:33], 2, v[32:33]
	v_add_nc_u32_e32 v26, s43, v59
	v_ashrrev_i32_e32 v19, 31, v18
	v_lshlrev_b64_e32 v[16:17], 2, v[34:35]
	;; [unrolled: 3-line block ×3, first 2 shown]
	v_add_nc_u32_e32 v30, s45, v59
	v_ashrrev_i32_e32 v27, 31, v26
	v_add_co_u32 v20, vcc_lo, s10, v32
	v_lshlrev_b64_e32 v[18:19], 2, v[18:19]
	v_ashrrev_i32_e32 v29, 31, v28
	s_wait_alu 0xfffd
	v_add_co_ci_u32_e64 v21, null, s11, v33, vcc_lo
	v_add_co_u32 v16, vcc_lo, s10, v16
	v_lshlrev_b64_e32 v[24:25], 2, v[24:25]
	v_ashrrev_i32_e32 v31, 31, v30
	s_wait_alu 0xfffd
	v_add_co_ci_u32_e64 v17, null, s11, v17, vcc_lo
	v_add_co_u32 v22, vcc_lo, s10, v22
	v_lshlrev_b64_e32 v[26:27], 2, v[26:27]
	s_wait_alu 0xfffd
	v_add_co_ci_u32_e64 v23, null, s11, v23, vcc_lo
	v_add_co_u32 v18, vcc_lo, s10, v18
	v_lshlrev_b64_e32 v[28:29], 2, v[28:29]
	;; [unrolled: 4-line block ×3, first 2 shown]
	s_wait_alu 0xfffd
	v_add_co_ci_u32_e64 v25, null, s11, v25, vcc_lo
	v_add_co_u32 v26, vcc_lo, s10, v26
	v_add_nc_u32_e32 v32, s46, v59
	s_wait_alu 0xfffd
	v_add_co_ci_u32_e64 v27, null, s11, v27, vcc_lo
	v_add_co_u32 v28, vcc_lo, s10, v28
	v_add_nc_u32_e32 v34, s47, v59
	;; [unrolled: 4-line block ×3, first 2 shown]
	v_ashrrev_i32_e32 v33, 31, v32
	s_wait_alu 0xfffd
	v_add_co_ci_u32_e64 v31, null, s11, v31, vcc_lo
	s_clause 0x7
	global_load_b32 v52, v[20:21], off
	global_load_b32 v53, v[16:17], off
	;; [unrolled: 1-line block ×8, first 2 shown]
	v_add_nc_u32_e32 v18, s49, v59
	v_ashrrev_i32_e32 v35, 31, v34
	v_add_nc_u32_e32 v24, s50, v59
	v_ashrrev_i32_e32 v37, 31, v36
	v_lshlrev_b64_e32 v[32:33], 2, v[32:33]
	v_add_nc_u32_e32 v26, s51, v59
	v_ashrrev_i32_e32 v19, 31, v18
	v_lshlrev_b64_e32 v[16:17], 2, v[34:35]
	;; [unrolled: 3-line block ×3, first 2 shown]
	v_add_nc_u32_e32 v30, s53, v59
	v_ashrrev_i32_e32 v27, 31, v26
	v_add_co_u32 v20, vcc_lo, s10, v32
	v_lshlrev_b64_e32 v[18:19], 2, v[18:19]
	v_ashrrev_i32_e32 v29, 31, v28
	s_wait_alu 0xfffd
	v_add_co_ci_u32_e64 v21, null, s11, v33, vcc_lo
	v_add_co_u32 v16, vcc_lo, s10, v16
	v_lshlrev_b64_e32 v[24:25], 2, v[24:25]
	v_ashrrev_i32_e32 v31, 31, v30
	s_wait_alu 0xfffd
	v_add_co_ci_u32_e64 v17, null, s11, v17, vcc_lo
	v_add_co_u32 v22, vcc_lo, s10, v22
	v_lshlrev_b64_e32 v[26:27], 2, v[26:27]
	s_wait_alu 0xfffd
	v_add_co_ci_u32_e64 v23, null, s11, v23, vcc_lo
	v_add_co_u32 v18, vcc_lo, s10, v18
	v_lshlrev_b64_e32 v[28:29], 2, v[28:29]
	s_wait_alu 0xfffd
	v_add_co_ci_u32_e64 v19, null, s11, v19, vcc_lo
	v_add_co_u32 v24, vcc_lo, s10, v24
	v_lshlrev_b64_e32 v[30:31], 2, v[30:31]
	s_wait_alu 0xfffd
	v_add_co_ci_u32_e64 v25, null, s11, v25, vcc_lo
	v_add_co_u32 v26, vcc_lo, s10, v26
	v_add_nc_u32_e32 v32, s54, v59
	s_wait_alu 0xfffd
	v_add_co_ci_u32_e64 v27, null, s11, v27, vcc_lo
	v_add_co_u32 v28, vcc_lo, s10, v28
	v_add_nc_u32_e32 v34, s55, v59
	;; [unrolled: 4-line block ×3, first 2 shown]
	v_ashrrev_i32_e32 v33, 31, v32
	s_wait_alu 0xfffd
	v_add_co_ci_u32_e64 v31, null, s11, v31, vcc_lo
	s_clause 0x7
	global_load_b32 v69, v[20:21], off
	global_load_b32 v70, v[16:17], off
	;; [unrolled: 1-line block ×8, first 2 shown]
	v_add_nc_u32_e32 v18, s57, v59
	v_ashrrev_i32_e32 v35, 31, v34
	v_add_nc_u32_e32 v24, s58, v59
	v_ashrrev_i32_e32 v37, 31, v36
	v_lshlrev_b64_e32 v[32:33], 2, v[32:33]
	v_add_nc_u32_e32 v26, s59, v59
	v_ashrrev_i32_e32 v19, 31, v18
	v_lshlrev_b64_e32 v[16:17], 2, v[34:35]
	v_ashrrev_i32_e32 v25, 31, v24
	v_lshlrev_b64_e32 v[22:23], 2, v[36:37]
	v_ashrrev_i32_e32 v27, 31, v26
	v_add_co_u32 v20, vcc_lo, s10, v32
	v_lshlrev_b64_e32 v[18:19], 2, v[18:19]
	s_wait_alu 0xfffd
	v_add_co_ci_u32_e64 v21, null, s11, v33, vcc_lo
	v_add_co_u32 v16, vcc_lo, s10, v16
	v_lshlrev_b64_e32 v[24:25], 2, v[24:25]
	s_wait_alu 0xfffd
	v_add_co_ci_u32_e64 v17, null, s11, v17, vcc_lo
	;; [unrolled: 4-line block ×3, first 2 shown]
	v_add_co_u32 v18, vcc_lo, s10, v18
	s_wait_alu 0xfffd
	v_add_co_ci_u32_e64 v19, null, s11, v19, vcc_lo
	v_add_co_u32 v24, vcc_lo, s10, v24
	s_wait_alu 0xfffd
	v_add_co_ci_u32_e64 v25, null, s11, v25, vcc_lo
	v_add_co_u32 v26, vcc_lo, s10, v26
	s_wait_alu 0xfffd
	v_add_co_ci_u32_e64 v27, null, s11, v27, vcc_lo
	s_clause 0x5
	global_load_b32 v20, v[20:21], off
	global_load_b32 v21, v[16:17], off
	;; [unrolled: 1-line block ×6, first 2 shown]
	s_and_not1_b32 vcc_lo, exec_lo, s1
	s_wait_loadcnt 0x1f
	ds_store_b32 v60, v38 offset:64
	s_wait_loadcnt 0x1e
	ds_store_b32 v60, v39 offset:208
	;; [unrolled: 2-line block ×16, first 2 shown]
	ds_load_b128 v[32:35], v61 offset:64
	ds_load_b128 v[28:31], v61 offset:96
	ds_load_b128 v[24:27], v61 offset:128
	ds_load_b128 v[16:19], v61 offset:160
	s_wait_loadcnt 0xf
	ds_store_b32 v60, v67 offset:64
	s_wait_loadcnt 0xe
	ds_store_b32 v60, v68 offset:208
	;; [unrolled: 2-line block ×16, first 2 shown]
	ds_load_b128 v[44:47], v61 offset:64
	ds_load_b128 v[40:43], v61 offset:96
	;; [unrolled: 1-line block ×4, first 2 shown]
	v_dual_mov_b32 v52, 0 :: v_dual_mov_b32 v53, 0
	s_wait_alu 0xfffe
	s_cbranch_vccnz .LBB70_30
; %bb.27:                               ;   in Loop: Header=BB70_26 Depth=1
	ds_load_b32 v52, v63
	s_wait_dscnt 0x0
	v_cmp_gt_i32_e32 vcc_lo, 0, v52
	s_cbranch_vccnz .LBB70_29
; %bb.28:                               ;   in Loop: Header=BB70_26 Depth=1
	v_mad_co_u64_u32 v[52:53], null, v52, s13, v[49:50]
	s_delay_alu instid0(VALU_DEP_1) | instskip(NEXT) | instid1(VALU_DEP_1)
	v_ashrrev_i32_e32 v53, 31, v52
	v_lshlrev_b64_e32 v[52:53], 2, v[52:53]
	s_delay_alu instid0(VALU_DEP_1) | instskip(SKIP_1) | instid1(VALU_DEP_2)
	v_add_co_u32 v52, vcc_lo, s18, v52
	s_wait_alu 0xfffd
	v_add_co_ci_u32_e64 v53, null, s19, v53, vcc_lo
	global_load_b64 v[52:53], v[52:53], off
	s_branch .LBB70_30
.LBB70_29:                              ;   in Loop: Header=BB70_26 Depth=1
	v_dual_mov_b32 v52, 0 :: v_dual_mov_b32 v53, 0
.LBB70_30:                              ;   in Loop: Header=BB70_26 Depth=1
	s_wait_loadcnt 0x0
	s_delay_alu instid0(VALU_DEP_1) | instskip(NEXT) | instid1(VALU_DEP_2)
	v_bfe_u32 v54, v52, 16, 1
	v_bfe_u32 v64, v53, 16, 1
	v_or_b32_e32 v65, 0x400000, v52
	v_cmp_u_f32_e32 vcc_lo, v52, v52
	v_or_b32_e32 v66, 0x400000, v53
	v_add3_u32 v54, v54, v52, 0x7fff
	v_add3_u32 v64, v64, v53, 0x7fff
	v_mov_b32_e32 v52, 0
	s_wait_alu 0xfffd
	s_delay_alu instid0(VALU_DEP_3) | instskip(SKIP_4) | instid1(VALU_DEP_1)
	v_cndmask_b32_e32 v54, v54, v65, vcc_lo
	v_cmp_u_f32_e32 vcc_lo, v53, v53
	s_wait_alu 0xfffd
	v_cndmask_b32_e32 v53, v64, v66, vcc_lo
	s_and_not1_b32 vcc_lo, exec_lo, s12
	v_perm_b32 v64, v53, v54, 0x7060302
	v_dual_mov_b32 v53, 0 :: v_dual_mov_b32 v54, 0
	ds_store_b32 v60, v64 offset:64
	s_wait_alu 0xfffe
	s_cbranch_vccnz .LBB70_34
; %bb.31:                               ;   in Loop: Header=BB70_26 Depth=1
	ds_load_b32 v53, v63 offset:4
	s_wait_dscnt 0x0
	v_cmp_gt_i32_e32 vcc_lo, 0, v53
	s_cbranch_vccnz .LBB70_33
; %bb.32:                               ;   in Loop: Header=BB70_26 Depth=1
	v_mul_lo_u32 v53, v53, s13
	s_delay_alu instid0(VALU_DEP_1) | instskip(NEXT) | instid1(VALU_DEP_1)
	v_add3_u32 v53, v53, s17, v49
	v_ashrrev_i32_e32 v54, 31, v53
	s_delay_alu instid0(VALU_DEP_1) | instskip(NEXT) | instid1(VALU_DEP_1)
	v_lshlrev_b64_e32 v[53:54], 2, v[53:54]
	v_add_co_u32 v53, vcc_lo, s18, v53
	s_wait_alu 0xfffd
	s_delay_alu instid0(VALU_DEP_2)
	v_add_co_ci_u32_e64 v54, null, s19, v54, vcc_lo
	global_load_b64 v[53:54], v[53:54], off
	s_branch .LBB70_34
.LBB70_33:                              ;   in Loop: Header=BB70_26 Depth=1
	v_dual_mov_b32 v53, 0 :: v_dual_mov_b32 v54, 0
.LBB70_34:                              ;   in Loop: Header=BB70_26 Depth=1
	s_wait_loadcnt 0x0
	s_delay_alu instid0(VALU_DEP_1) | instskip(NEXT) | instid1(VALU_DEP_2)
	v_bfe_u32 v64, v53, 16, 1
	v_bfe_u32 v65, v54, 16, 1
	v_or_b32_e32 v66, 0x400000, v53
	v_cmp_u_f32_e32 vcc_lo, v53, v53
	v_or_b32_e32 v67, 0x400000, v54
	v_add3_u32 v64, v64, v53, 0x7fff
	v_add3_u32 v65, v65, v54, 0x7fff
	s_wait_alu 0xfffd
	s_delay_alu instid0(VALU_DEP_2) | instskip(SKIP_4) | instid1(VALU_DEP_1)
	v_cndmask_b32_e32 v53, v64, v66, vcc_lo
	v_cmp_u_f32_e32 vcc_lo, v54, v54
	s_wait_alu 0xfffd
	v_cndmask_b32_e32 v54, v65, v67, vcc_lo
	s_and_not1_b32 vcc_lo, exec_lo, s20
	v_perm_b32 v54, v54, v53, 0x7060302
	v_mov_b32_e32 v53, 0
	ds_store_b32 v60, v54 offset:208
	s_wait_alu 0xfffe
	s_cbranch_vccnz .LBB70_38
; %bb.35:                               ;   in Loop: Header=BB70_26 Depth=1
	ds_load_b32 v52, v63 offset:8
	s_wait_dscnt 0x0
	v_cmp_gt_i32_e32 vcc_lo, 0, v52
	s_cbranch_vccnz .LBB70_37
; %bb.36:                               ;   in Loop: Header=BB70_26 Depth=1
	v_mul_lo_u32 v52, v52, s13
	s_delay_alu instid0(VALU_DEP_1) | instskip(NEXT) | instid1(VALU_DEP_1)
	v_add3_u32 v52, v52, s21, v49
	v_ashrrev_i32_e32 v53, 31, v52
	s_delay_alu instid0(VALU_DEP_1) | instskip(NEXT) | instid1(VALU_DEP_1)
	v_lshlrev_b64_e32 v[52:53], 2, v[52:53]
	v_add_co_u32 v52, vcc_lo, s18, v52
	s_wait_alu 0xfffd
	s_delay_alu instid0(VALU_DEP_2)
	v_add_co_ci_u32_e64 v53, null, s19, v53, vcc_lo
	global_load_b64 v[52:53], v[52:53], off
	s_branch .LBB70_38
.LBB70_37:                              ;   in Loop: Header=BB70_26 Depth=1
	v_dual_mov_b32 v52, 0 :: v_dual_mov_b32 v53, 0
.LBB70_38:                              ;   in Loop: Header=BB70_26 Depth=1
	s_wait_loadcnt 0x0
	s_delay_alu instid0(VALU_DEP_1) | instskip(NEXT) | instid1(VALU_DEP_2)
	v_bfe_u32 v54, v52, 16, 1
	v_bfe_u32 v64, v53, 16, 1
	v_or_b32_e32 v65, 0x400000, v52
	v_cmp_u_f32_e32 vcc_lo, v52, v52
	v_or_b32_e32 v66, 0x400000, v53
	v_add3_u32 v54, v54, v52, 0x7fff
	v_add3_u32 v64, v64, v53, 0x7fff
	s_wait_alu 0xfffd
	s_delay_alu instid0(VALU_DEP_2) | instskip(SKIP_4) | instid1(VALU_DEP_1)
	v_cndmask_b32_e32 v52, v54, v65, vcc_lo
	v_cmp_u_f32_e32 vcc_lo, v53, v53
	s_wait_alu 0xfffd
	v_cndmask_b32_e32 v53, v64, v66, vcc_lo
	s_and_not1_b32 vcc_lo, exec_lo, s28
	v_perm_b32 v54, v53, v52, 0x7060302
	v_dual_mov_b32 v52, 0 :: v_dual_mov_b32 v53, 0
	ds_store_b32 v60, v54 offset:352
	s_wait_alu 0xfffe
	s_cbranch_vccnz .LBB70_25
; %bb.39:                               ;   in Loop: Header=BB70_26 Depth=1
	ds_load_b32 v52, v63 offset:12
	s_wait_dscnt 0x0
	v_cmp_gt_i32_e32 vcc_lo, 0, v52
	s_cbranch_vccz .LBB70_24
; %bb.40:                               ;   in Loop: Header=BB70_26 Depth=1
	v_dual_mov_b32 v52, 0 :: v_dual_mov_b32 v53, 0
	s_branch .LBB70_25
.LBB70_41:
	s_or_b32 exec_lo, exec_lo, s8
.LBB70_42:
	s_delay_alu instid0(SALU_CYCLE_1)
	s_or_b32 exec_lo, exec_lo, s23
	v_lshl_add_u32 v16, v56, 2, 0x100
	v_mul_u32_u24_e32 v17, 0x390, v57
	v_and_b32_e32 v18, 0x7e0, v58
	v_cmp_gt_u32_e32 vcc_lo, 4, v55
	s_wait_loadcnt_dscnt 0x0
	s_barrier_signal -1
	s_barrier_wait -1
	v_add3_u32 v17, v16, v17, v18
	global_inv scope:SCOPE_SE
	ds_store_2addr_b32 v17, v8, v9 offset0:16 offset1:17
	ds_store_2addr_b32 v17, v10, v11 offset0:18 offset1:19
	;; [unrolled: 1-line block ×8, first 2 shown]
	s_wait_loadcnt_dscnt 0x0
	s_barrier_signal -1
	s_barrier_wait -1
	global_inv scope:SCOPE_SE
	s_and_b32 exec_lo, exec_lo, vcc_lo
	s_cbranch_execz .LBB70_45
; %bb.43:
	v_mad_i32_i24 v0, 0xffffff84, v55, v16
	v_or_b32_e32 v1, s26, v55
	ds_load_b32 v0, v0
	v_cmp_gt_i32_e64 s0, s5, v1
	s_wait_dscnt 0x0
	v_cmp_lt_i32_e32 vcc_lo, -1, v0
	s_and_b32 s0, vcc_lo, s0
	s_wait_alu 0xfffe
	s_and_b32 exec_lo, exec_lo, s0
	s_cbranch_execz .LBB70_45
; %bb.44:
	v_lshlrev_b32_e32 v1, 2, v48
	v_mul_u32_u24_e32 v2, 0x390, v55
	v_mul_lo_u32 v0, v0, s14
	s_ashr_i32 s1, s22, 31
	s_mov_b32 s0, s22
	s_ashr_i32 s5, s9, 31
	v_add3_u32 v7, 0x100, v1, v2
	s_mov_b32 s4, s9
	s_wait_alu 0xfffe
	s_mul_u64 s[0:1], s[0:1], s[24:25]
	s_mul_u64 s[4:5], s[26:27], s[4:5]
	ds_load_2addr_b32 v[1:2], v7 offset0:16 offset1:48
	ds_load_2addr_b32 v[3:4], v7 offset0:80 offset1:112
	;; [unrolled: 1-line block ×3, first 2 shown]
	ds_load_b32 v7, v7 offset:832
	s_wait_alu 0xfffe
	s_lshl_b64 s[0:1], s[0:1], 2
	s_lshl_b64 s[4:5], s[4:5], 2
	s_wait_kmcnt 0x0
	s_wait_alu 0xfffe
	s_add_nc_u64 s[0:1], s[2:3], s[0:1]
	s_wait_alu 0xfffe
	s_add_nc_u64 s[0:1], s[0:1], s[4:5]
	s_wait_dscnt 0x3
	v_add_f32_e32 v1, 0, v1
	s_delay_alu instid0(VALU_DEP_1) | instskip(SKIP_1) | instid1(VALU_DEP_1)
	v_dual_add_f32 v1, v1, v2 :: v_dual_add_nc_u32 v2, s15, v48
	s_wait_dscnt 0x2
	v_add_f32_e32 v1, v1, v3
	v_mul_lo_u32 v3, v55, s9
	s_delay_alu instid0(VALU_DEP_2) | instskip(NEXT) | instid1(VALU_DEP_2)
	v_dual_add_f32 v4, v1, v4 :: v_dual_mov_b32 v1, 0
	v_add3_u32 v0, v2, v3, v0
	s_wait_dscnt 0x1
	s_delay_alu instid0(VALU_DEP_2) | instskip(NEXT) | instid1(VALU_DEP_2)
	v_add_f32_e32 v4, v4, v5
	v_lshlrev_b64_e32 v[0:1], 2, v[0:1]
	s_delay_alu instid0(VALU_DEP_2) | instskip(SKIP_1) | instid1(VALU_DEP_2)
	v_add_f32_e32 v2, v4, v6
	s_wait_alu 0xfffe
	v_add_co_u32 v0, vcc_lo, s0, v0
	s_wait_dscnt 0x0
	s_delay_alu instid0(VALU_DEP_2)
	v_add_f32_e32 v2, v2, v7
	s_wait_alu 0xfffd
	v_add_co_ci_u32_e64 v1, null, s1, v1, vcc_lo
	global_store_b32 v[0:1], v2, off
.LBB70_45:
	s_endpgm
	.section	.rodata,"a",@progbits
	.p2align	6, 0x0
	.amdhsa_kernel _ZL9mul_mat_fI15__hip_bfloat162Li32ELi4ELi7ELb1EEvPKT_PKfPKiPfiiiiiiiiiiiiiiii
		.amdhsa_group_segment_fixed_size 256
		.amdhsa_private_segment_fixed_size 0
		.amdhsa_kernarg_size 352
		.amdhsa_user_sgpr_count 2
		.amdhsa_user_sgpr_dispatch_ptr 0
		.amdhsa_user_sgpr_queue_ptr 0
		.amdhsa_user_sgpr_kernarg_segment_ptr 1
		.amdhsa_user_sgpr_dispatch_id 0
		.amdhsa_user_sgpr_private_segment_size 0
		.amdhsa_wavefront_size32 1
		.amdhsa_uses_dynamic_stack 0
		.amdhsa_enable_private_segment 0
		.amdhsa_system_sgpr_workgroup_id_x 1
		.amdhsa_system_sgpr_workgroup_id_y 1
		.amdhsa_system_sgpr_workgroup_id_z 1
		.amdhsa_system_sgpr_workgroup_info 0
		.amdhsa_system_vgpr_workitem_id 2
		.amdhsa_next_free_vgpr 80
		.amdhsa_next_free_sgpr 68
		.amdhsa_reserve_vcc 1
		.amdhsa_float_round_mode_32 0
		.amdhsa_float_round_mode_16_64 0
		.amdhsa_float_denorm_mode_32 3
		.amdhsa_float_denorm_mode_16_64 3
		.amdhsa_fp16_overflow 0
		.amdhsa_workgroup_processor_mode 1
		.amdhsa_memory_ordered 1
		.amdhsa_forward_progress 1
		.amdhsa_inst_pref_size 43
		.amdhsa_round_robin_scheduling 0
		.amdhsa_exception_fp_ieee_invalid_op 0
		.amdhsa_exception_fp_denorm_src 0
		.amdhsa_exception_fp_ieee_div_zero 0
		.amdhsa_exception_fp_ieee_overflow 0
		.amdhsa_exception_fp_ieee_underflow 0
		.amdhsa_exception_fp_ieee_inexact 0
		.amdhsa_exception_int_div_zero 0
	.end_amdhsa_kernel
	.section	.text._ZL9mul_mat_fI15__hip_bfloat162Li32ELi4ELi7ELb1EEvPKT_PKfPKiPfiiiiiiiiiiiiiiii,"axG",@progbits,_ZL9mul_mat_fI15__hip_bfloat162Li32ELi4ELi7ELb1EEvPKT_PKfPKiPfiiiiiiiiiiiiiiii,comdat
.Lfunc_end70:
	.size	_ZL9mul_mat_fI15__hip_bfloat162Li32ELi4ELi7ELb1EEvPKT_PKfPKiPfiiiiiiiiiiiiiiii, .Lfunc_end70-_ZL9mul_mat_fI15__hip_bfloat162Li32ELi4ELi7ELb1EEvPKT_PKfPKiPfiiiiiiiiiiiiiiii
                                        ; -- End function
	.set _ZL9mul_mat_fI15__hip_bfloat162Li32ELi4ELi7ELb1EEvPKT_PKfPKiPfiiiiiiiiiiiiiiii.num_vgpr, 80
	.set _ZL9mul_mat_fI15__hip_bfloat162Li32ELi4ELi7ELb1EEvPKT_PKfPKiPfiiiiiiiiiiiiiiii.num_agpr, 0
	.set _ZL9mul_mat_fI15__hip_bfloat162Li32ELi4ELi7ELb1EEvPKT_PKfPKiPfiiiiiiiiiiiiiiii.numbered_sgpr, 68
	.set _ZL9mul_mat_fI15__hip_bfloat162Li32ELi4ELi7ELb1EEvPKT_PKfPKiPfiiiiiiiiiiiiiiii.num_named_barrier, 0
	.set _ZL9mul_mat_fI15__hip_bfloat162Li32ELi4ELi7ELb1EEvPKT_PKfPKiPfiiiiiiiiiiiiiiii.private_seg_size, 0
	.set _ZL9mul_mat_fI15__hip_bfloat162Li32ELi4ELi7ELb1EEvPKT_PKfPKiPfiiiiiiiiiiiiiiii.uses_vcc, 1
	.set _ZL9mul_mat_fI15__hip_bfloat162Li32ELi4ELi7ELb1EEvPKT_PKfPKiPfiiiiiiiiiiiiiiii.uses_flat_scratch, 0
	.set _ZL9mul_mat_fI15__hip_bfloat162Li32ELi4ELi7ELb1EEvPKT_PKfPKiPfiiiiiiiiiiiiiiii.has_dyn_sized_stack, 0
	.set _ZL9mul_mat_fI15__hip_bfloat162Li32ELi4ELi7ELb1EEvPKT_PKfPKiPfiiiiiiiiiiiiiiii.has_recursion, 0
	.set _ZL9mul_mat_fI15__hip_bfloat162Li32ELi4ELi7ELb1EEvPKT_PKfPKiPfiiiiiiiiiiiiiiii.has_indirect_call, 0
	.section	.AMDGPU.csdata,"",@progbits
; Kernel info:
; codeLenInByte = 5428
; TotalNumSgprs: 70
; NumVgprs: 80
; ScratchSize: 0
; MemoryBound: 0
; FloatMode: 240
; IeeeMode: 1
; LDSByteSize: 256 bytes/workgroup (compile time only)
; SGPRBlocks: 0
; VGPRBlocks: 9
; NumSGPRsForWavesPerEU: 70
; NumVGPRsForWavesPerEU: 80
; Occupancy: 16
; WaveLimiterHint : 0
; COMPUTE_PGM_RSRC2:SCRATCH_EN: 0
; COMPUTE_PGM_RSRC2:USER_SGPR: 2
; COMPUTE_PGM_RSRC2:TRAP_HANDLER: 0
; COMPUTE_PGM_RSRC2:TGID_X_EN: 1
; COMPUTE_PGM_RSRC2:TGID_Y_EN: 1
; COMPUTE_PGM_RSRC2:TGID_Z_EN: 1
; COMPUTE_PGM_RSRC2:TIDIG_COMP_CNT: 2
	.section	.text._ZL9mul_mat_fI15__hip_bfloat162Li32ELi4ELi7ELb0EEvPKT_PKfPKiPfiiiiiiiiiiiiiiii,"axG",@progbits,_ZL9mul_mat_fI15__hip_bfloat162Li32ELi4ELi7ELb0EEvPKT_PKfPKiPfiiiiiiiiiiiiiiii,comdat
	.globl	_ZL9mul_mat_fI15__hip_bfloat162Li32ELi4ELi7ELb0EEvPKT_PKfPKiPfiiiiiiiiiiiiiiii ; -- Begin function _ZL9mul_mat_fI15__hip_bfloat162Li32ELi4ELi7ELb0EEvPKT_PKfPKiPfiiiiiiiiiiiiiiii
	.p2align	8
	.type	_ZL9mul_mat_fI15__hip_bfloat162Li32ELi4ELi7ELb0EEvPKT_PKfPKiPfiiiiiiiiiiiiiiii,@function
_ZL9mul_mat_fI15__hip_bfloat162Li32ELi4ELi7ELb0EEvPKT_PKfPKiPfiiiiiiiiiiiiiiii: ; @_ZL9mul_mat_fI15__hip_bfloat162Li32ELi4ELi7ELb0EEvPKT_PKfPKiPfiiiiiiiiiiiiiiii
; %bb.0:
	s_clause 0x1
	s_load_b256 s[4:11], s[0:1], 0x40
	s_load_b32 s21, s[0:1], 0x20
	v_bfe_u32 v37, v0, 10, 10
	v_and_b32_e32 v36, 0x3ff, v0
	s_mov_b32 s15, exec_lo
	s_delay_alu instid0(VALU_DEP_2) | instskip(NEXT) | instid1(VALU_DEP_2)
	v_lshlrev_b32_e32 v39, 5, v37
	v_and_b32_e32 v40, 15, v36
	s_delay_alu instid0(VALU_DEP_2)
	v_add_nc_u32_e32 v41, v39, v36
	s_wait_kmcnt 0x0
	s_abs_i32 s12, s4
	s_abs_i32 s23, s8
	s_cvt_f32_u32 s2, s12
	s_cvt_f32_u32 s3, s23
	s_delay_alu instid0(SALU_CYCLE_2) | instskip(NEXT) | instid1(SALU_CYCLE_2)
	v_rcp_iflag_f32_e32 v0, s2
	v_rcp_iflag_f32_e32 v1, s3
	s_mov_b32 s3, 0
	s_lshr_b32 s2, ttmp7, 16
	s_delay_alu instid0(TRANS32_DEP_2) | instskip(NEXT) | instid1(TRANS32_DEP_1)
	v_readfirstlane_b32 s13, v0
	v_readfirstlane_b32 s14, v1
	v_cmpx_le_i32_e64 s21, v41
	s_xor_b32 s15, exec_lo, s15
; %bb.1:
	v_and_b32_e32 v40, 15, v36
                                        ; implicit-def: $vgpr41
; %bb.2:
	s_or_saveexec_b32 s22, s15
	s_load_b96 s[16:18], s[0:1], 0x2c
	v_dual_mov_b32 v15, 0 :: v_dual_lshlrev_b32 v38, 2, v36
	s_and_b32 s19, ttmp7, 0xffff
	s_lshl_b32 s20, ttmp9, 5
	s_delay_alu instid0(VALU_DEP_1)
	v_dual_mov_b32 v14, v15 :: v_dual_mov_b32 v13, v15
	v_dual_mov_b32 v12, v15 :: v_dual_mov_b32 v11, v15
	;; [unrolled: 1-line block ×7, first 2 shown]
	v_mov_b32_e32 v0, v15
	s_xor_b32 exec_lo, exec_lo, s22
	s_cbranch_execz .LBB71_6
; %bb.3:
	s_mul_f32 s13, s13, 0x4f7ffffe
	s_mul_f32 s14, s14, 0x4f7ffffe
	s_sub_co_i32 s24, 0, s12
	s_sub_co_i32 s25, 0, s23
	s_cvt_u32_f32 s13, s13
	s_cvt_u32_f32 s27, s14
	s_abs_i32 s14, s19
	s_mov_b32 s15, s3
	s_mul_i32 s24, s24, s13
	s_mul_i32 s25, s25, s27
	s_mul_hi_u32 s24, s13, s24
	s_mul_hi_u32 s28, s27, s25
	s_add_co_i32 s24, s13, s24
	s_mov_b32 s25, s3
	s_abs_i32 s26, s2
	s_mul_u64 s[24:25], s[14:15], s[24:25]
	s_ashr_i32 s24, s8, 31
	s_mul_i32 s13, s25, s12
	s_add_co_i32 s28, s27, s28
	s_sub_co_i32 s8, s14, s13
	s_ashr_i32 s4, s4, 31
	s_add_co_i32 s13, s25, 1
	s_sub_co_i32 s14, s8, s12
	s_cmp_ge_u32 s8, s12
	s_mov_b32 s27, s3
	s_cselect_b32 s13, s13, s25
	s_mov_b32 s29, s3
	s_cselect_b32 s8, s14, s8
	s_add_co_i32 s14, s13, 1
	s_mul_u64 s[28:29], s[26:27], s[28:29]
	s_cmp_ge_u32 s8, s12
	s_mul_i32 s12, s29, s23
	s_cselect_b32 s8, s14, s13
	s_sub_co_i32 s25, s26, s12
	s_xor_b32 s8, s8, s4
	s_load_b128 s[12:15], s[0:1], 0x0
	s_sub_co_i32 s26, s8, s4
	s_add_co_i32 s4, s29, 1
	s_sub_co_i32 s8, s25, s23
	s_cmp_ge_u32 s25, s23
	v_mad_u32_u24 v0, 0x900, v37, 0
	s_cselect_b32 s4, s4, s29
	s_cselect_b32 s8, s8, s25
	s_add_co_i32 s25, s4, 1
	s_cmp_ge_u32 s8, s23
	s_mov_b32 s8, s9
	s_cselect_b32 s4, s25, s4
	s_ashr_i32 s9, s9, 31
	s_xor_b32 s4, s4, s24
	v_mul_u32_u24_e32 v1, 0x90, v40
	s_sub_co_i32 s24, s4, s24
	v_and_b32_e32 v2, 0x3f0, v36
	s_ashr_i32 s25, s24, 31
	v_add_nc_u32_e32 v42, v0, v38
	s_mul_u64 s[8:9], s[24:25], s[8:9]
	s_mul_i32 s24, s26, s5
	s_lshl_b64 s[54:55], s[8:9], 2
	s_ashr_i32 s25, s24, 31
	s_wait_kmcnt 0x0
	s_add_nc_u64 s[8:9], s[12:13], s[54:55]
	s_lshl_b64 s[56:57], s[24:25], 2
	s_mul_i32 s24, s16, s20
	v_add3_u32 v43, v0, v1, v2
	s_ashr_i32 s25, s24, 31
	v_dual_mov_b32 v0, 0 :: v_dual_lshlrev_b32 v1, 7, v37
	s_lshl_b64 s[60:61], s[24:25], 2
	s_add_nc_u64 s[8:9], s[8:9], s[56:57]
	s_add_nc_u64 s[56:57], s[56:57], s[60:61]
	s_mov_b32 s4, s10
	s_add_nc_u64 s[54:55], s[56:57], s[54:55]
	s_ashr_i32 s5, s10, 31
	v_add_co_u32 v1, s53, s54, v1
	s_delay_alu instid0(VALU_DEP_1) | instskip(SKIP_2) | instid1(VALU_DEP_3)
	v_add_co_ci_u32_e64 v2, null, s55, 0, s53
	v_dual_mov_b32 v44, 0 :: v_dual_lshlrev_b32 v3, 8, v37
	s_mul_u64 s[4:5], s[4:5], s[2:3]
	v_add_co_u32 v1, vcc_lo, v1, v38
	s_lshl_b64 s[58:59], s[4:5], 2
	v_add_co_ci_u32_e64 v2, null, 0, v2, vcc_lo
	v_add_co_u32 v3, s53, s58, v3
	v_lshlrev_b32_e32 v5, 3, v36
	s_mul_i32 s4, s6, s19
	s_wait_alu 0xf1ff
	v_add_co_ci_u32_e64 v4, null, s59, 0, s53
	v_add_co_u32 v32, vcc_lo, s12, v1
	s_ashr_i32 s5, s4, 31
	s_wait_alu 0xfffd
	v_add_co_ci_u32_e64 v33, null, s13, v2, vcc_lo
	v_add_co_u32 v1, vcc_lo, v3, v5
	s_lshl_b64 s[62:63], s[4:5], 2
	s_wait_alu 0xfffd
	v_add_co_ci_u32_e64 v2, null, 0, v4, vcc_lo
	s_add_nc_u64 s[12:13], s[14:15], s[62:63]
	v_dual_mov_b32 v3, v0 :: v_dual_mov_b32 v4, v0
	s_wait_alu 0xfffe
	v_add_co_u32 v34, vcc_lo, s12, v1
	s_wait_alu 0xfffd
	v_add_co_ci_u32_e64 v35, null, s13, v2, vcc_lo
	v_dual_mov_b32 v1, v0 :: v_dual_mov_b32 v2, v0
	v_dual_mov_b32 v5, v0 :: v_dual_mov_b32 v6, v0
	;; [unrolled: 1-line block ×6, first 2 shown]
	v_mov_b32_e32 v15, v0
	s_add_nc_u64 s[26:27], s[14:15], s[58:59]
	s_ashr_i32 s65, s16, 31
	s_mov_b32 s64, s16
	s_ashr_i32 s67, s17, 31
	s_mov_b32 s66, s17
	s_add_nc_u64 s[4:5], s[8:9], s[60:61]
	s_add_nc_u64 s[8:9], s[26:27], s[62:63]
	s_mov_b32 s6, 0
	s_add_co_i32 s10, s16, s16
	s_add_co_i32 s23, s17, s17
	s_mul_i32 s17, s17, 3
	s_mul_i32 s24, s16, 3
	s_lshl_b32 s25, s16, 2
	s_mul_i32 s26, s16, 5
	s_mul_i32 s27, s16, 6
	;; [unrolled: 1-line block ×3, first 2 shown]
	s_lshl_b32 s29, s16, 3
	s_mul_i32 s30, s16, 9
	s_mul_i32 s31, s16, 10
	;; [unrolled: 1-line block ×7, first 2 shown]
	s_lshl_b32 s38, s16, 4
	s_mul_i32 s39, s16, 17
	s_mul_i32 s40, s16, 18
	;; [unrolled: 1-line block ×15, first 2 shown]
	s_lshl_b64 s[12:13], s[64:65], 2
	s_lshl_b64 s[14:15], s[66:67], 3
.LBB71_4:                               ; =>This Inner Loop Header: Depth=1
	global_load_b32 v16, v[32:33], off
	v_add_nc_u32_e32 v45, s38, v41
	s_delay_alu instid0(VALU_DEP_1) | instskip(NEXT) | instid1(VALU_DEP_1)
	v_ashrrev_i32_e32 v46, 31, v45
	v_lshlrev_b64_e32 v[45:46], 2, v[45:46]
	s_wait_loadcnt 0x0
	ds_store_b32 v42, v16
	s_wait_alu 0xfffe
	v_add_co_u32 v16, vcc_lo, v32, s12
	s_wait_alu 0xfffd
	v_add_co_ci_u32_e64 v17, null, s13, v33, vcc_lo
	global_load_b32 v16, v[16:17], off
	s_wait_loadcnt 0x0
	ds_store_b32 v42, v16 offset:144
	v_add_nc_u32_e32 v16, s10, v41
	s_delay_alu instid0(VALU_DEP_1) | instskip(NEXT) | instid1(VALU_DEP_1)
	v_ashrrev_i32_e32 v17, 31, v16
	v_lshlrev_b64_e32 v[16:17], 2, v[16:17]
	s_delay_alu instid0(VALU_DEP_1) | instskip(SKIP_1) | instid1(VALU_DEP_2)
	v_add_co_u32 v16, vcc_lo, s4, v16
	s_wait_alu 0xfffd
	v_add_co_ci_u32_e64 v17, null, s5, v17, vcc_lo
	global_load_b32 v16, v[16:17], off
	s_wait_loadcnt 0x0
	ds_store_b32 v42, v16 offset:288
	v_add_nc_u32_e32 v16, s24, v41
	s_delay_alu instid0(VALU_DEP_1) | instskip(NEXT) | instid1(VALU_DEP_1)
	v_ashrrev_i32_e32 v17, 31, v16
	v_lshlrev_b64_e32 v[16:17], 2, v[16:17]
	s_delay_alu instid0(VALU_DEP_1) | instskip(SKIP_1) | instid1(VALU_DEP_2)
	;; [unrolled: 11-line block ×14, first 2 shown]
	v_add_co_u32 v16, vcc_lo, s4, v16
	s_wait_alu 0xfffd
	v_add_co_ci_u32_e64 v17, null, s5, v17, vcc_lo
	v_add_co_u32 v45, vcc_lo, s4, v45
	s_wait_alu 0xfffd
	v_add_co_ci_u32_e64 v46, null, s5, v46, vcc_lo
	global_load_b32 v16, v[16:17], off
	s_wait_loadcnt 0x0
	ds_store_b32 v42, v16 offset:2160
	ds_load_b128 v[28:31], v43
	ds_load_b128 v[24:27], v43 offset:32
	ds_load_b128 v[20:23], v43 offset:64
	;; [unrolled: 1-line block ×3, first 2 shown]
	global_load_b32 v45, v[45:46], off
	s_wait_loadcnt 0x0
	ds_store_b32 v42, v45
	v_add_nc_u32_e32 v45, s39, v41
	s_delay_alu instid0(VALU_DEP_1) | instskip(NEXT) | instid1(VALU_DEP_1)
	v_ashrrev_i32_e32 v46, 31, v45
	v_lshlrev_b64_e32 v[45:46], 2, v[45:46]
	s_delay_alu instid0(VALU_DEP_1) | instskip(SKIP_1) | instid1(VALU_DEP_2)
	v_add_co_u32 v45, vcc_lo, s4, v45
	s_wait_alu 0xfffd
	v_add_co_ci_u32_e64 v46, null, s5, v46, vcc_lo
	global_load_b32 v45, v[45:46], off
	s_wait_loadcnt 0x0
	ds_store_b32 v42, v45 offset:144
	v_add_nc_u32_e32 v45, s40, v41
	s_delay_alu instid0(VALU_DEP_1) | instskip(NEXT) | instid1(VALU_DEP_1)
	v_ashrrev_i32_e32 v46, 31, v45
	v_lshlrev_b64_e32 v[45:46], 2, v[45:46]
	s_delay_alu instid0(VALU_DEP_1) | instskip(SKIP_1) | instid1(VALU_DEP_2)
	v_add_co_u32 v45, vcc_lo, s4, v45
	s_wait_alu 0xfffd
	v_add_co_ci_u32_e64 v46, null, s5, v46, vcc_lo
	global_load_b32 v45, v[45:46], off
	s_wait_loadcnt 0x0
	ds_store_b32 v42, v45 offset:288
	;; [unrolled: 11-line block ×15, first 2 shown]
	ds_load_b128 v[45:48], v43
	ds_load_b128 v[49:52], v43 offset:32
	ds_load_b128 v[53:56], v43 offset:64
	;; [unrolled: 1-line block ×3, first 2 shown]
	global_load_b64 v[61:62], v[34:35], off
	s_wait_loadcnt 0x0
	v_bfe_u32 v63, v61, 16, 1
	v_or_b32_e32 v64, 0x400000, v61
	v_cmp_u_f32_e32 vcc_lo, v61, v61
	s_delay_alu instid0(VALU_DEP_3) | instskip(SKIP_1) | instid1(VALU_DEP_1)
	v_add3_u32 v63, v63, v61, 0x7fff
	s_wait_alu 0xfffd
	v_cndmask_b32_e32 v61, v63, v64, vcc_lo
	v_bfe_u32 v63, v62, 16, 1
	v_or_b32_e32 v64, 0x400000, v62
	v_cmp_u_f32_e32 vcc_lo, v62, v62
	s_delay_alu instid0(VALU_DEP_3) | instskip(SKIP_1) | instid1(VALU_DEP_1)
	v_add3_u32 v63, v63, v62, 0x7fff
	s_wait_alu 0xfffd
	v_cndmask_b32_e32 v62, v63, v64, vcc_lo
	s_delay_alu instid0(VALU_DEP_1)
	v_perm_b32 v61, v62, v61, 0x7060302
	ds_store_b32 v42, v61
	v_add_co_u32 v61, vcc_lo, v34, s14
	s_wait_alu 0xfffd
	v_add_co_ci_u32_e64 v62, null, s15, v35, vcc_lo
	global_load_b64 v[61:62], v[61:62], off
	s_wait_loadcnt 0x0
	v_bfe_u32 v63, v61, 16, 1
	v_or_b32_e32 v64, 0x400000, v61
	v_cmp_u_f32_e32 vcc_lo, v61, v61
	s_delay_alu instid0(VALU_DEP_3) | instskip(SKIP_1) | instid1(VALU_DEP_1)
	v_add3_u32 v63, v63, v61, 0x7fff
	s_wait_alu 0xfffd
	v_cndmask_b32_e32 v61, v63, v64, vcc_lo
	v_bfe_u32 v63, v62, 16, 1
	v_or_b32_e32 v64, 0x400000, v62
	v_cmp_u_f32_e32 vcc_lo, v62, v62
	s_delay_alu instid0(VALU_DEP_3) | instskip(SKIP_1) | instid1(VALU_DEP_1)
	v_add3_u32 v63, v63, v62, 0x7fff
	s_wait_alu 0xfffd
	v_cndmask_b32_e32 v62, v63, v64, vcc_lo
	s_delay_alu instid0(VALU_DEP_1) | instskip(SKIP_2) | instid1(VALU_DEP_1)
	v_perm_b32 v61, v62, v61, 0x7060302
	ds_store_b32 v42, v61 offset:144
	v_add_nc_u32_e32 v61, s23, v41
	v_ashrrev_i32_e32 v62, 31, v61
	s_delay_alu instid0(VALU_DEP_1) | instskip(NEXT) | instid1(VALU_DEP_1)
	v_lshlrev_b64_e32 v[61:62], 3, v[61:62]
	v_add_co_u32 v61, vcc_lo, s8, v61
	s_wait_alu 0xfffd
	s_delay_alu instid0(VALU_DEP_2)
	v_add_co_ci_u32_e64 v62, null, s9, v62, vcc_lo
	global_load_b64 v[61:62], v[61:62], off
	s_wait_loadcnt 0x0
	v_bfe_u32 v63, v61, 16, 1
	v_or_b32_e32 v64, 0x400000, v61
	v_cmp_u_f32_e32 vcc_lo, v61, v61
	s_delay_alu instid0(VALU_DEP_3) | instskip(SKIP_1) | instid1(VALU_DEP_1)
	v_add3_u32 v63, v63, v61, 0x7fff
	s_wait_alu 0xfffd
	v_cndmask_b32_e32 v61, v63, v64, vcc_lo
	v_bfe_u32 v63, v62, 16, 1
	v_or_b32_e32 v64, 0x400000, v62
	v_cmp_u_f32_e32 vcc_lo, v62, v62
	s_delay_alu instid0(VALU_DEP_3) | instskip(SKIP_1) | instid1(VALU_DEP_1)
	v_add3_u32 v63, v63, v62, 0x7fff
	s_wait_alu 0xfffd
	v_cndmask_b32_e32 v62, v63, v64, vcc_lo
	s_delay_alu instid0(VALU_DEP_1) | instskip(SKIP_3) | instid1(VALU_DEP_2)
	v_perm_b32 v61, v62, v61, 0x7060302
	ds_store_b32 v42, v61 offset:288
	v_add_nc_u32_e32 v61, s17, v41
	v_add_nc_u32_e32 v41, 0xe0, v41
	v_ashrrev_i32_e32 v62, 31, v61
	s_delay_alu instid0(VALU_DEP_1) | instskip(NEXT) | instid1(VALU_DEP_1)
	v_lshlrev_b64_e32 v[61:62], 3, v[61:62]
	v_add_co_u32 v61, vcc_lo, s8, v61
	s_wait_alu 0xfffd
	s_delay_alu instid0(VALU_DEP_2)
	v_add_co_ci_u32_e64 v62, null, s9, v62, vcc_lo
	global_load_b64 v[61:62], v[61:62], off
	s_wait_loadcnt 0x0
	v_bfe_u32 v63, v61, 16, 1
	v_or_b32_e32 v64, 0x400000, v61
	v_cmp_u_f32_e32 vcc_lo, v61, v61
	s_delay_alu instid0(VALU_DEP_3) | instskip(SKIP_1) | instid1(VALU_DEP_1)
	v_add3_u32 v63, v63, v61, 0x7fff
	s_wait_alu 0xfffd
	v_cndmask_b32_e32 v61, v63, v64, vcc_lo
	v_bfe_u32 v63, v62, 16, 1
	v_or_b32_e32 v64, 0x400000, v62
	v_cmp_u_f32_e32 vcc_lo, v62, v62
	s_delay_alu instid0(VALU_DEP_3) | instskip(SKIP_1) | instid1(VALU_DEP_1)
	v_add3_u32 v63, v63, v62, 0x7fff
	s_wait_alu 0xfffd
	v_cndmask_b32_e32 v62, v63, v64, vcc_lo
	v_add_co_u32 v32, vcc_lo, 0x380, v32
	s_wait_alu 0xfffd
	v_add_co_ci_u32_e64 v33, null, 0, v33, vcc_lo
	s_delay_alu instid0(VALU_DEP_3)
	v_perm_b32 v61, v62, v61, 0x7060302
	ds_store_b32 v42, v61 offset:432
	ds_store_b32 v42, v44 offset:576
	;; [unrolled: 1-line block ×13, first 2 shown]
	ds_load_b128 v[61:64], v43
	ds_load_b128 v[65:68], v43 offset:32
	v_add_co_u32 v34, vcc_lo, 0x700, v34
	s_wait_alu 0xfffd
	v_add_co_ci_u32_e64 v35, null, 0, v35, vcc_lo
	v_cmp_le_i32_e32 vcc_lo, s21, v41
	s_or_b32 s6, vcc_lo, s6
	s_wait_dscnt 0x1
	v_wmma_f32_16x16x16_bf16 v[8:15], v[28:31], v[61:64], v[8:15]
	v_wmma_f32_16x16x16_bf16 v[0:7], v[45:48], v[61:64], v[0:7]
	s_wait_dscnt 0x0
	s_delay_alu instid0(VALU_DEP_2)
	v_wmma_f32_16x16x16_bf16 v[8:15], v[24:27], v[65:68], v[8:15]
	ds_load_b128 v[24:27], v43 offset:64
	v_wmma_f32_16x16x16_bf16 v[0:7], v[49:52], v[65:68], v[0:7]
	s_wait_dscnt 0x0
	v_wmma_f32_16x16x16_bf16 v[8:15], v[20:23], v[24:27], v[8:15]
	ds_load_b128 v[20:23], v43 offset:96
	v_wmma_f32_16x16x16_bf16 v[0:7], v[53:56], v[24:27], v[0:7]
	s_wait_dscnt 0x0
	v_wmma_f32_16x16x16_bf16 v[8:15], v[16:19], v[20:23], v[8:15]
	s_delay_alu instid0(VALU_DEP_2)
	v_wmma_f32_16x16x16_bf16 v[0:7], v[57:60], v[20:23], v[0:7]
	s_and_not1_b32 exec_lo, exec_lo, s6
	s_cbranch_execnz .LBB71_4
; %bb.5:
	s_or_b32 exec_lo, exec_lo, s6
.LBB71_6:
	s_delay_alu instid0(SALU_CYCLE_1)
	s_or_b32 exec_lo, exec_lo, s22
	s_load_b64 s[0:1], s[0:1], 0x18
	v_lshlrev_b32_e32 v16, 1, v36
	v_lshl_add_u32 v17, v39, 2, 0
	v_mul_u32_u24_e32 v18, 0x390, v40
	s_barrier_signal -1
	s_delay_alu instid0(VALU_DEP_3)
	v_and_b32_e32 v16, 0x7e0, v16
	s_barrier_wait -1
	global_inv scope:SCOPE_SE
	s_mov_b32 s4, exec_lo
	v_add3_u32 v16, v17, v18, v16
	ds_store_2addr_b32 v16, v8, v9 offset1:1
	ds_store_2addr_b32 v16, v10, v11 offset0:2 offset1:3
	ds_store_2addr_b32 v16, v12, v13 offset0:4 offset1:5
	;; [unrolled: 1-line block ×7, first 2 shown]
	s_wait_loadcnt_dscnt 0x0
	s_barrier_signal -1
	s_barrier_wait -1
	global_inv scope:SCOPE_SE
	v_cmpx_gt_u32_e32 4, v37
	s_cbranch_execz .LBB71_8
; %bb.7:
	v_mul_u32_u24_e32 v0, 0x390, v37
	s_ashr_i32 s5, s11, 31
	s_mov_b32 s4, s11
	s_mul_i32 s6, s7, s19
	s_wait_alu 0xfffe
	s_mul_u64 s[2:3], s[4:5], s[2:3]
	v_add3_u32 v6, 0, v38, v0
	s_ashr_i32 s7, s6, 31
	s_wait_alu 0xfffe
	s_lshl_b64 s[2:3], s[2:3], 2
	s_lshl_b64 s[4:5], s[6:7], 2
	s_wait_kmcnt 0x0
	s_wait_alu 0xfffe
	s_add_nc_u64 s[0:1], s[0:1], s[2:3]
	ds_load_2addr_b32 v[0:1], v6 offset1:32
	ds_load_2addr_b32 v[2:3], v6 offset0:64 offset1:96
	ds_load_2addr_b32 v[4:5], v6 offset0:128 offset1:160
	ds_load_b32 v6, v6 offset:768
	s_add_nc_u64 s[0:1], s[0:1], s[4:5]
	s_wait_dscnt 0x3
	v_add_f32_e32 v0, 0, v0
	s_delay_alu instid0(VALU_DEP_1) | instskip(SKIP_1) | instid1(VALU_DEP_1)
	v_dual_add_f32 v0, v0, v1 :: v_dual_mov_b32 v1, 0
	s_wait_dscnt 0x2
	v_add_f32_e32 v0, v0, v2
	v_mul_lo_u32 v2, v37, s18
	s_delay_alu instid0(VALU_DEP_2) | instskip(SKIP_1) | instid1(VALU_DEP_1)
	v_add_f32_e32 v0, v0, v3
	s_wait_dscnt 0x1
	v_add_f32_e32 v3, v0, v4
	s_delay_alu instid0(VALU_DEP_3) | instskip(NEXT) | instid1(VALU_DEP_2)
	v_add3_u32 v0, s20, v36, v2
	v_add_f32_e32 v2, v3, v5
	s_delay_alu instid0(VALU_DEP_2) | instskip(SKIP_1) | instid1(VALU_DEP_2)
	v_lshlrev_b64_e32 v[0:1], 2, v[0:1]
	s_wait_dscnt 0x0
	v_add_f32_e32 v2, v2, v6
	s_delay_alu instid0(VALU_DEP_2) | instskip(SKIP_1) | instid1(VALU_DEP_3)
	v_add_co_u32 v0, vcc_lo, s0, v0
	s_wait_alu 0xfffd
	v_add_co_ci_u32_e64 v1, null, s1, v1, vcc_lo
	global_store_b32 v[0:1], v2, off
.LBB71_8:
	s_endpgm
	.section	.rodata,"a",@progbits
	.p2align	6, 0x0
	.amdhsa_kernel _ZL9mul_mat_fI15__hip_bfloat162Li32ELi4ELi7ELb0EEvPKT_PKfPKiPfiiiiiiiiiiiiiiii
		.amdhsa_group_segment_fixed_size 0
		.amdhsa_private_segment_fixed_size 0
		.amdhsa_kernarg_size 96
		.amdhsa_user_sgpr_count 2
		.amdhsa_user_sgpr_dispatch_ptr 0
		.amdhsa_user_sgpr_queue_ptr 0
		.amdhsa_user_sgpr_kernarg_segment_ptr 1
		.amdhsa_user_sgpr_dispatch_id 0
		.amdhsa_user_sgpr_private_segment_size 0
		.amdhsa_wavefront_size32 1
		.amdhsa_uses_dynamic_stack 0
		.amdhsa_enable_private_segment 0
		.amdhsa_system_sgpr_workgroup_id_x 1
		.amdhsa_system_sgpr_workgroup_id_y 1
		.amdhsa_system_sgpr_workgroup_id_z 1
		.amdhsa_system_sgpr_workgroup_info 0
		.amdhsa_system_vgpr_workitem_id 1
		.amdhsa_next_free_vgpr 69
		.amdhsa_next_free_sgpr 68
		.amdhsa_reserve_vcc 1
		.amdhsa_float_round_mode_32 0
		.amdhsa_float_round_mode_16_64 0
		.amdhsa_float_denorm_mode_32 3
		.amdhsa_float_denorm_mode_16_64 3
		.amdhsa_fp16_overflow 0
		.amdhsa_workgroup_processor_mode 1
		.amdhsa_memory_ordered 1
		.amdhsa_forward_progress 1
		.amdhsa_inst_pref_size 34
		.amdhsa_round_robin_scheduling 0
		.amdhsa_exception_fp_ieee_invalid_op 0
		.amdhsa_exception_fp_denorm_src 0
		.amdhsa_exception_fp_ieee_div_zero 0
		.amdhsa_exception_fp_ieee_overflow 0
		.amdhsa_exception_fp_ieee_underflow 0
		.amdhsa_exception_fp_ieee_inexact 0
		.amdhsa_exception_int_div_zero 0
	.end_amdhsa_kernel
	.section	.text._ZL9mul_mat_fI15__hip_bfloat162Li32ELi4ELi7ELb0EEvPKT_PKfPKiPfiiiiiiiiiiiiiiii,"axG",@progbits,_ZL9mul_mat_fI15__hip_bfloat162Li32ELi4ELi7ELb0EEvPKT_PKfPKiPfiiiiiiiiiiiiiiii,comdat
.Lfunc_end71:
	.size	_ZL9mul_mat_fI15__hip_bfloat162Li32ELi4ELi7ELb0EEvPKT_PKfPKiPfiiiiiiiiiiiiiiii, .Lfunc_end71-_ZL9mul_mat_fI15__hip_bfloat162Li32ELi4ELi7ELb0EEvPKT_PKfPKiPfiiiiiiiiiiiiiiii
                                        ; -- End function
	.set _ZL9mul_mat_fI15__hip_bfloat162Li32ELi4ELi7ELb0EEvPKT_PKfPKiPfiiiiiiiiiiiiiiii.num_vgpr, 69
	.set _ZL9mul_mat_fI15__hip_bfloat162Li32ELi4ELi7ELb0EEvPKT_PKfPKiPfiiiiiiiiiiiiiiii.num_agpr, 0
	.set _ZL9mul_mat_fI15__hip_bfloat162Li32ELi4ELi7ELb0EEvPKT_PKfPKiPfiiiiiiiiiiiiiiii.numbered_sgpr, 68
	.set _ZL9mul_mat_fI15__hip_bfloat162Li32ELi4ELi7ELb0EEvPKT_PKfPKiPfiiiiiiiiiiiiiiii.num_named_barrier, 0
	.set _ZL9mul_mat_fI15__hip_bfloat162Li32ELi4ELi7ELb0EEvPKT_PKfPKiPfiiiiiiiiiiiiiiii.private_seg_size, 0
	.set _ZL9mul_mat_fI15__hip_bfloat162Li32ELi4ELi7ELb0EEvPKT_PKfPKiPfiiiiiiiiiiiiiiii.uses_vcc, 1
	.set _ZL9mul_mat_fI15__hip_bfloat162Li32ELi4ELi7ELb0EEvPKT_PKfPKiPfiiiiiiiiiiiiiiii.uses_flat_scratch, 0
	.set _ZL9mul_mat_fI15__hip_bfloat162Li32ELi4ELi7ELb0EEvPKT_PKfPKiPfiiiiiiiiiiiiiiii.has_dyn_sized_stack, 0
	.set _ZL9mul_mat_fI15__hip_bfloat162Li32ELi4ELi7ELb0EEvPKT_PKfPKiPfiiiiiiiiiiiiiiii.has_recursion, 0
	.set _ZL9mul_mat_fI15__hip_bfloat162Li32ELi4ELi7ELb0EEvPKT_PKfPKiPfiiiiiiiiiiiiiiii.has_indirect_call, 0
	.section	.AMDGPU.csdata,"",@progbits
; Kernel info:
; codeLenInByte = 4292
; TotalNumSgprs: 70
; NumVgprs: 69
; ScratchSize: 0
; MemoryBound: 0
; FloatMode: 240
; IeeeMode: 1
; LDSByteSize: 0 bytes/workgroup (compile time only)
; SGPRBlocks: 0
; VGPRBlocks: 8
; NumSGPRsForWavesPerEU: 70
; NumVGPRsForWavesPerEU: 69
; Occupancy: 16
; WaveLimiterHint : 0
; COMPUTE_PGM_RSRC2:SCRATCH_EN: 0
; COMPUTE_PGM_RSRC2:USER_SGPR: 2
; COMPUTE_PGM_RSRC2:TRAP_HANDLER: 0
; COMPUTE_PGM_RSRC2:TGID_X_EN: 1
; COMPUTE_PGM_RSRC2:TGID_Y_EN: 1
; COMPUTE_PGM_RSRC2:TGID_Z_EN: 1
; COMPUTE_PGM_RSRC2:TIDIG_COMP_CNT: 1
	.section	.text._ZL13mul_mat_f_idsI15__hip_bfloat162Li32ELi4ELi8EEvPKT_PKfPKiS7_S7_Pfiiiiiiiiiiiiii15HIP_vector_typeIjLj3EESA_,"axG",@progbits,_ZL13mul_mat_f_idsI15__hip_bfloat162Li32ELi4ELi8EEvPKT_PKfPKiS7_S7_Pfiiiiiiiiiiiiii15HIP_vector_typeIjLj3EESA_,comdat
	.globl	_ZL13mul_mat_f_idsI15__hip_bfloat162Li32ELi4ELi8EEvPKT_PKfPKiS7_S7_Pfiiiiiiiiiiiiii15HIP_vector_typeIjLj3EESA_ ; -- Begin function _ZL13mul_mat_f_idsI15__hip_bfloat162Li32ELi4ELi8EEvPKT_PKfPKiS7_S7_Pfiiiiiiiiiiiiii15HIP_vector_typeIjLj3EESA_
	.p2align	8
	.type	_ZL13mul_mat_f_idsI15__hip_bfloat162Li32ELi4ELi8EEvPKT_PKfPKiS7_S7_Pfiiiiiiiiiiiiii15HIP_vector_typeIjLj3EESA_,@function
_ZL13mul_mat_f_idsI15__hip_bfloat162Li32ELi4ELi8EEvPKT_PKfPKiS7_S7_Pfiiiiiiiiiiiiii15HIP_vector_typeIjLj3EESA_: ; @_ZL13mul_mat_f_idsI15__hip_bfloat162Li32ELi4ELi8EEvPKT_PKfPKiS7_S7_Pfiiiiiiiiiiiiii15HIP_vector_typeIjLj3EESA_
; %bb.0:
	s_load_b64 s[4:5], s[0:1], 0x20
	s_and_b32 s2, ttmp7, 0xffff
	s_delay_alu instid0(SALU_CYCLE_1) | instskip(SKIP_4) | instid1(SALU_CYCLE_1)
	s_lshl_b32 s3, s2, 2
	s_wait_kmcnt 0x0
	s_load_b64 s[24:25], s[4:5], s3 offset:0x0
	s_wait_kmcnt 0x0
	s_sub_co_i32 s19, s25, s24
	s_add_co_i32 s3, s19, 3
	s_delay_alu instid0(SALU_CYCLE_1) | instskip(NEXT) | instid1(SALU_CYCLE_1)
	s_ashr_i32 s4, s3, 31
	s_lshr_b32 s4, s4, 30
	s_delay_alu instid0(SALU_CYCLE_1) | instskip(NEXT) | instid1(SALU_CYCLE_1)
	s_add_co_i32 s3, s3, s4
	s_ashr_i32 s4, s3, 2
	s_lshr_b32 s3, ttmp7, 16
	s_delay_alu instid0(SALU_CYCLE_1)
	s_cmp_ge_i32 s3, s4
	s_cbranch_scc1 .LBB72_23
; %bb.1:
	s_clause 0x3
	s_load_b128 s[4:7], s[0:1], 0x30
	s_load_b64 s[20:21], s[0:1], 0x40
	s_load_b128 s[8:11], s[0:1], 0x68
	s_load_b64 s[22:23], s[0:1], 0x78
	v_bfe_u32 v52, v0, 10, 10
	v_and_b32_e32 v51, 0x3ff, v0
	s_ashr_i32 s25, s24, 31
	s_mov_b32 s12, exec_lo
	s_delay_alu instid0(VALU_DEP_2) | instskip(NEXT) | instid1(VALU_DEP_2)
	v_lshlrev_b32_e32 v53, 5, v52
	v_and_b32_e32 v54, 15, v51
	s_delay_alu instid0(VALU_DEP_2) | instskip(SKIP_1) | instid1(VALU_DEP_1)
	v_add_nc_u32_e32 v48, v53, v51
	s_wait_kmcnt 0x0
	v_cmpx_le_i32_e64 s4, v48
	s_xor_b32 s12, exec_lo, s12
; %bb.2:
	v_and_b32_e32 v54, 15, v51
                                        ; implicit-def: $vgpr48
; %bb.3:
	s_or_saveexec_b32 s37, s12
	s_clause 0x1
	s_load_b64 s[26:27], s[0:1], 0x28
	s_load_b96 s[16:18], s[0:1], 0x4c
	v_mov_b32_e32 v7, 0
	s_lshl_b32 s33, ttmp9, 5
	s_lshl_b32 s36, s3, 2
	s_delay_alu instid0(VALU_DEP_1)
	v_dual_mov_b32 v6, v7 :: v_dual_mov_b32 v5, v7
	v_dual_mov_b32 v4, v7 :: v_dual_mov_b32 v3, v7
	v_dual_mov_b32 v2, v7 :: v_dual_mov_b32 v1, v7
	v_dual_mov_b32 v0, v7 :: v_dual_mov_b32 v15, v7
	v_dual_mov_b32 v14, v7 :: v_dual_mov_b32 v13, v7
	v_dual_mov_b32 v12, v7 :: v_dual_mov_b32 v11, v7
	v_dual_mov_b32 v10, v7 :: v_dual_mov_b32 v9, v7
	v_mov_b32_e32 v8, v7
	s_xor_b32 exec_lo, exec_lo, s37
	s_cbranch_execz .LBB72_19
; %bb.4:
	s_clause 0x1
	s_load_b128 s[12:15], s[0:1], 0x0
	s_load_b64 s[28:29], s[0:1], 0x10
	s_wait_kmcnt 0x0
	s_mul_i32 s30, s16, s2
	s_mul_i32 s34, s7, s33
	s_ashr_i32 s31, s30, 31
	s_ashr_i32 s35, s34, 31
	s_lshl_b64 s[38:39], s[24:25], 2
	s_lshl_b64 s[68:69], s[30:31], 2
	;; [unrolled: 1-line block ×3, first 2 shown]
	s_cmp_lt_i32 s36, s19
	v_mad_u32_u24 v0, 0x900, v52, 0
	v_dual_mov_b32 v8, 0 :: v_dual_lshlrev_b32 v1, 2, v51
	v_mul_u32_u24_e32 v2, 0x90, v54
	s_cselect_b32 s16, -1, 0
	s_or_b32 s30, s36, 1
	v_mov_b32_e32 v57, 0
	v_and_b32_e32 v3, 0x3f0, v51
	s_lshl_b32 s2, s36, 2
	s_cmp_lt_i32 s30, s19
	s_add_nc_u64 s[30:31], s[12:13], s[68:69]
	s_add_nc_u64 s[34:35], s[28:29], s[38:39]
	;; [unrolled: 1-line block ×3, first 2 shown]
	s_cselect_b32 s38, -1, 0
	s_or_b32 s30, s36, 2
	v_dual_mov_b32 v10, v57 :: v_dual_add_nc_u32 v55, v0, v1
	v_add3_u32 v56, v0, v2, v3
	v_dual_mov_b32 v9, v57 :: v_dual_lshlrev_b32 v0, 7, v52
	s_mov_b32 s3, 0
	s_cmp_lt_i32 s30, s19
	s_add_nc_u64 s[30:31], s[34:35], s[2:3]
	s_cselect_b32 s39, -1, 0
	s_or_b32 s2, s36, 3
	s_add_nc_u64 s[68:69], s[68:69], s[70:71]
	s_cmp_lt_i32 s2, s19
	v_add_co_u32 v0, s2, s68, v0
	s_delay_alu instid0(VALU_DEP_1) | instskip(SKIP_2) | instid1(VALU_DEP_1)
	v_add_co_ci_u32_e64 v2, null, s69, 0, s2
	s_mov_b32 s34, s8
	v_add_co_u32 v0, vcc_lo, v0, v1
	v_add_co_ci_u32_e64 v1, null, 0, v2, vcc_lo
	s_cselect_b32 s8, -1, 0
	v_add_co_u32 v49, vcc_lo, s12, v0
	s_wait_alu 0xfffd
	v_add_co_ci_u32_e64 v50, null, s13, v1, vcc_lo
	v_dual_mov_b32 v0, 0 :: v_dual_mov_b32 v11, v57
	v_mov_b32_e32 v14, v57
	v_dual_mov_b32 v12, v57 :: v_dual_mov_b32 v13, v57
	v_dual_mov_b32 v2, v57 :: v_dual_mov_b32 v15, v57
	;; [unrolled: 1-line block ×4, first 2 shown]
	v_mov_b32_e32 v5, v57
	v_mov_b32_e32 v7, v57
	s_ashr_i32 s73, s7, 31
	s_mov_b32 s72, s7
	s_mov_b32 s35, s3
	s_add_co_i32 s40, s7, s7
	s_mul_i32 s41, s7, 3
	s_lshl_b32 s42, s7, 2
	s_mul_i32 s43, s7, 5
	s_mul_i32 s44, s7, 6
	;; [unrolled: 1-line block ×3, first 2 shown]
	s_lshl_b32 s46, s7, 3
	s_mul_i32 s47, s7, 9
	s_mul_i32 s48, s7, 10
	;; [unrolled: 1-line block ×7, first 2 shown]
	s_lshl_b32 s54, s7, 4
	s_mul_i32 s55, s7, 17
	s_mul_i32 s56, s7, 18
	;; [unrolled: 1-line block ×15, first 2 shown]
	s_lshl_b64 s[12:13], s[72:73], 2
	s_mov_b32 s69, 0
	s_branch .LBB72_6
.LBB72_5:                               ;   in Loop: Header=BB72_6 Depth=1
	v_perm_b32 v58, v58, v59, 0x5040100
	v_perm_b32 v59, v61, v62, 0x5040100
	;; [unrolled: 1-line block ×4, first 2 shown]
	v_add_nc_u32_e32 v62, 0x400, v55
	ds_store_2addr_b32 v55, v58, v59 offset1:36
	ds_store_2addr_b32 v55, v60, v61 offset0:72 offset1:108
	ds_store_2addr_b32 v55, v57, v57 offset0:144 offset1:180
	v_add_nc_u32_e32 v58, 0x600, v55
	ds_store_2addr_b32 v55, v57, v57 offset0:216 offset1:252
	ds_store_2addr_b32 v62, v57, v57 offset0:32 offset1:68
	;; [unrolled: 1-line block ×5, first 2 shown]
	ds_load_b128 v[58:61], v56
	ds_load_b128 v[62:65], v56 offset:32
	ds_load_b128 v[66:69], v56 offset:64
	;; [unrolled: 1-line block ×3, first 2 shown]
	v_add_nc_u32_e32 v48, 0x100, v48
	v_add_co_u32 v49, s2, 0x400, v49
	s_wait_alu 0xf1ff
	v_add_co_ci_u32_e64 v50, null, 0, v50, s2
	s_delay_alu instid0(VALU_DEP_3)
	v_cmp_le_i32_e32 vcc_lo, s4, v48
	s_or_b32 s69, vcc_lo, s69
	s_wait_dscnt 0x3
	v_wmma_f32_16x16x16_bf16 v[8:15], v[32:35], v[58:61], v[8:15]
	v_wmma_f32_16x16x16_bf16 v[0:7], v[44:47], v[58:61], v[0:7]
	s_wait_dscnt 0x2
	s_delay_alu instid0(VALU_DEP_2) | instskip(NEXT) | instid1(VALU_DEP_2)
	v_wmma_f32_16x16x16_bf16 v[8:15], v[28:31], v[62:65], v[8:15]
	v_wmma_f32_16x16x16_bf16 v[0:7], v[40:43], v[62:65], v[0:7]
	s_wait_dscnt 0x1
	s_delay_alu instid0(VALU_DEP_2) | instskip(NEXT) | instid1(VALU_DEP_2)
	;; [unrolled: 4-line block ×3, first 2 shown]
	v_wmma_f32_16x16x16_bf16 v[8:15], v[16:19], v[70:73], v[8:15]
	v_wmma_f32_16x16x16_bf16 v[0:7], v[20:23], v[70:73], v[0:7]
	s_wait_alu 0xfffe
	s_and_not1_b32 exec_lo, exec_lo, s69
	s_cbranch_execz .LBB72_18
.LBB72_6:                               ; =>This Inner Loop Header: Depth=1
	v_add_nc_u32_e32 v22, s42, v48
	v_add_nc_u32_e32 v16, s40, v48
	s_wait_alu 0xfffe
	v_add_co_u32 v20, vcc_lo, v49, s12
	v_add_nc_u32_e32 v18, s41, v48
	s_wait_alu 0xfffd
	v_add_co_ci_u32_e64 v21, null, s13, v50, vcc_lo
	v_ashrrev_i32_e32 v23, 31, v22
	v_ashrrev_i32_e32 v17, 31, v16
	v_add_nc_u32_e32 v24, s43, v48
	v_ashrrev_i32_e32 v19, 31, v18
	s_clause 0x1
	global_load_b32 v38, v[49:50], off
	global_load_b32 v39, v[20:21], off
	v_lshlrev_b64_e32 v[20:21], 2, v[22:23]
	v_add_nc_u32_e32 v22, s44, v48
	v_lshlrev_b64_e32 v[16:17], 2, v[16:17]
	v_add_nc_u32_e32 v26, s45, v48
	v_ashrrev_i32_e32 v25, 31, v24
	v_lshlrev_b64_e32 v[18:19], 2, v[18:19]
	v_add_nc_u32_e32 v28, s46, v48
	v_ashrrev_i32_e32 v23, 31, v22
	v_add_nc_u32_e32 v30, s47, v48
	v_ashrrev_i32_e32 v27, 31, v26
	v_add_co_u32 v16, vcc_lo, s28, v16
	v_lshlrev_b64_e32 v[24:25], 2, v[24:25]
	v_ashrrev_i32_e32 v29, 31, v28
	s_wait_alu 0xfffd
	v_add_co_ci_u32_e64 v17, null, s29, v17, vcc_lo
	v_add_co_u32 v18, vcc_lo, s28, v18
	v_lshlrev_b64_e32 v[22:23], 2, v[22:23]
	v_ashrrev_i32_e32 v31, 31, v30
	s_wait_alu 0xfffd
	v_add_co_ci_u32_e64 v19, null, s29, v19, vcc_lo
	v_add_co_u32 v20, vcc_lo, s28, v20
	v_lshlrev_b64_e32 v[26:27], 2, v[26:27]
	s_wait_alu 0xfffd
	v_add_co_ci_u32_e64 v21, null, s29, v21, vcc_lo
	v_add_co_u32 v24, vcc_lo, s28, v24
	v_lshlrev_b64_e32 v[28:29], 2, v[28:29]
	;; [unrolled: 4-line block ×3, first 2 shown]
	s_wait_alu 0xfffd
	v_add_co_ci_u32_e64 v23, null, s29, v23, vcc_lo
	v_add_co_u32 v26, vcc_lo, s28, v26
	v_add_nc_u32_e32 v32, s48, v48
	s_wait_alu 0xfffd
	v_add_co_ci_u32_e64 v27, null, s29, v27, vcc_lo
	v_add_co_u32 v28, vcc_lo, s28, v28
	v_add_nc_u32_e32 v34, s49, v48
	;; [unrolled: 4-line block ×3, first 2 shown]
	v_ashrrev_i32_e32 v33, 31, v32
	s_wait_alu 0xfffd
	v_add_co_ci_u32_e64 v31, null, s29, v31, vcc_lo
	s_clause 0x7
	global_load_b32 v40, v[16:17], off
	global_load_b32 v41, v[18:19], off
	;; [unrolled: 1-line block ×8, first 2 shown]
	v_add_nc_u32_e32 v18, s51, v48
	v_ashrrev_i32_e32 v35, 31, v34
	v_add_nc_u32_e32 v24, s52, v48
	v_ashrrev_i32_e32 v37, 31, v36
	v_lshlrev_b64_e32 v[32:33], 2, v[32:33]
	v_add_nc_u32_e32 v26, s53, v48
	v_ashrrev_i32_e32 v19, 31, v18
	v_lshlrev_b64_e32 v[16:17], 2, v[34:35]
	;; [unrolled: 3-line block ×3, first 2 shown]
	v_add_nc_u32_e32 v30, s55, v48
	v_ashrrev_i32_e32 v27, 31, v26
	v_add_co_u32 v20, vcc_lo, s28, v32
	v_lshlrev_b64_e32 v[18:19], 2, v[18:19]
	v_ashrrev_i32_e32 v29, 31, v28
	s_wait_alu 0xfffd
	v_add_co_ci_u32_e64 v21, null, s29, v33, vcc_lo
	v_add_co_u32 v16, vcc_lo, s28, v16
	v_lshlrev_b64_e32 v[24:25], 2, v[24:25]
	v_ashrrev_i32_e32 v31, 31, v30
	s_wait_alu 0xfffd
	v_add_co_ci_u32_e64 v17, null, s29, v17, vcc_lo
	v_add_co_u32 v22, vcc_lo, s28, v22
	v_lshlrev_b64_e32 v[26:27], 2, v[26:27]
	s_wait_alu 0xfffd
	v_add_co_ci_u32_e64 v23, null, s29, v23, vcc_lo
	v_add_co_u32 v18, vcc_lo, s28, v18
	v_lshlrev_b64_e32 v[28:29], 2, v[28:29]
	;; [unrolled: 4-line block ×3, first 2 shown]
	s_wait_alu 0xfffd
	v_add_co_ci_u32_e64 v25, null, s29, v25, vcc_lo
	v_add_co_u32 v26, vcc_lo, s28, v26
	v_add_nc_u32_e32 v32, s56, v48
	s_wait_alu 0xfffd
	v_add_co_ci_u32_e64 v27, null, s29, v27, vcc_lo
	v_add_co_u32 v28, vcc_lo, s28, v28
	v_add_nc_u32_e32 v34, s57, v48
	;; [unrolled: 4-line block ×3, first 2 shown]
	v_ashrrev_i32_e32 v33, 31, v32
	s_wait_alu 0xfffd
	v_add_co_ci_u32_e64 v31, null, s29, v31, vcc_lo
	s_clause 0x7
	global_load_b32 v58, v[20:21], off
	global_load_b32 v59, v[16:17], off
	;; [unrolled: 1-line block ×8, first 2 shown]
	v_add_nc_u32_e32 v18, s59, v48
	v_ashrrev_i32_e32 v35, 31, v34
	v_add_nc_u32_e32 v24, s60, v48
	v_ashrrev_i32_e32 v37, 31, v36
	v_lshlrev_b64_e32 v[32:33], 2, v[32:33]
	v_add_nc_u32_e32 v26, s61, v48
	v_ashrrev_i32_e32 v19, 31, v18
	v_lshlrev_b64_e32 v[16:17], 2, v[34:35]
	;; [unrolled: 3-line block ×3, first 2 shown]
	v_add_nc_u32_e32 v30, s63, v48
	v_ashrrev_i32_e32 v27, 31, v26
	v_add_co_u32 v20, vcc_lo, s28, v32
	v_lshlrev_b64_e32 v[18:19], 2, v[18:19]
	v_ashrrev_i32_e32 v29, 31, v28
	s_wait_alu 0xfffd
	v_add_co_ci_u32_e64 v21, null, s29, v33, vcc_lo
	v_add_co_u32 v16, vcc_lo, s28, v16
	v_lshlrev_b64_e32 v[24:25], 2, v[24:25]
	v_ashrrev_i32_e32 v31, 31, v30
	s_wait_alu 0xfffd
	v_add_co_ci_u32_e64 v17, null, s29, v17, vcc_lo
	v_add_co_u32 v22, vcc_lo, s28, v22
	v_lshlrev_b64_e32 v[26:27], 2, v[26:27]
	s_wait_alu 0xfffd
	v_add_co_ci_u32_e64 v23, null, s29, v23, vcc_lo
	v_add_co_u32 v18, vcc_lo, s28, v18
	v_lshlrev_b64_e32 v[28:29], 2, v[28:29]
	;; [unrolled: 4-line block ×3, first 2 shown]
	s_wait_alu 0xfffd
	v_add_co_ci_u32_e64 v25, null, s29, v25, vcc_lo
	v_add_co_u32 v26, vcc_lo, s28, v26
	v_add_nc_u32_e32 v32, s64, v48
	s_wait_alu 0xfffd
	v_add_co_ci_u32_e64 v27, null, s29, v27, vcc_lo
	v_add_co_u32 v28, vcc_lo, s28, v28
	v_add_nc_u32_e32 v34, s65, v48
	s_wait_alu 0xfffd
	v_add_co_ci_u32_e64 v29, null, s29, v29, vcc_lo
	v_add_co_u32 v30, vcc_lo, s28, v30
	v_add_nc_u32_e32 v36, s66, v48
	v_ashrrev_i32_e32 v33, 31, v32
	s_wait_alu 0xfffd
	v_add_co_ci_u32_e64 v31, null, s29, v31, vcc_lo
	s_clause 0x7
	global_load_b32 v66, v[20:21], off
	global_load_b32 v67, v[16:17], off
	;; [unrolled: 1-line block ×8, first 2 shown]
	v_add_nc_u32_e32 v18, s67, v48
	v_ashrrev_i32_e32 v35, 31, v34
	v_add_nc_u32_e32 v24, s68, v48
	v_ashrrev_i32_e32 v37, 31, v36
	v_lshlrev_b64_e32 v[32:33], 2, v[32:33]
	v_add_nc_u32_e32 v26, s7, v48
	v_ashrrev_i32_e32 v19, 31, v18
	v_lshlrev_b64_e32 v[16:17], 2, v[34:35]
	v_ashrrev_i32_e32 v25, 31, v24
	v_lshlrev_b64_e32 v[22:23], 2, v[36:37]
	v_ashrrev_i32_e32 v27, 31, v26
	v_add_co_u32 v20, vcc_lo, s28, v32
	v_lshlrev_b64_e32 v[18:19], 2, v[18:19]
	s_wait_alu 0xfffd
	v_add_co_ci_u32_e64 v21, null, s29, v33, vcc_lo
	v_add_co_u32 v16, vcc_lo, s28, v16
	v_lshlrev_b64_e32 v[24:25], 2, v[24:25]
	s_wait_alu 0xfffd
	v_add_co_ci_u32_e64 v17, null, s29, v17, vcc_lo
	;; [unrolled: 4-line block ×3, first 2 shown]
	v_add_co_u32 v18, vcc_lo, s28, v18
	s_wait_alu 0xfffd
	v_add_co_ci_u32_e64 v19, null, s29, v19, vcc_lo
	v_add_co_u32 v24, vcc_lo, s28, v24
	s_wait_alu 0xfffd
	v_add_co_ci_u32_e64 v25, null, s29, v25, vcc_lo
	;; [unrolled: 3-line block ×3, first 2 shown]
	s_clause 0x5
	global_load_b32 v20, v[20:21], off
	global_load_b32 v21, v[16:17], off
	;; [unrolled: 1-line block ×6, first 2 shown]
	s_and_not1_b32 vcc_lo, exec_lo, s16
	s_wait_loadcnt 0x1f
	ds_store_b32 v55, v38
	s_wait_loadcnt 0x1e
	ds_store_b32 v55, v39 offset:144
	s_wait_loadcnt 0x1d
	ds_store_b32 v55, v40 offset:288
	;; [unrolled: 2-line block ×15, first 2 shown]
	ds_load_b128 v[32:35], v56
	ds_load_b128 v[28:31], v56 offset:32
	ds_load_b128 v[24:27], v56 offset:64
	ds_load_b128 v[16:19], v56 offset:96
	s_wait_loadcnt 0xf
	ds_store_b32 v55, v64
	s_wait_loadcnt 0xe
	ds_store_b32 v55, v65 offset:144
	s_wait_loadcnt 0xd
	ds_store_b32 v55, v66 offset:288
	;; [unrolled: 2-line block ×15, first 2 shown]
	ds_load_b128 v[44:47], v56
	ds_load_b128 v[40:43], v56 offset:32
	ds_load_b128 v[36:39], v56 offset:64
	ds_load_b128 v[20:23], v56 offset:96
	v_dual_mov_b32 v59, 0 :: v_dual_mov_b32 v58, 0
	s_wait_alu 0xfffe
	s_cbranch_vccnz .LBB72_9
; %bb.7:                                ;   in Loop: Header=BB72_6 Depth=1
	s_load_b32 s2, s[30:31], 0x0
	v_dual_mov_b32 v58, 0 :: v_dual_mov_b32 v59, 0
	s_wait_kmcnt 0x0
	s_mul_u64 s[70:71], s[2:3], s[34:35]
	s_wait_alu 0xfffe
	s_add_co_i32 s70, s2, s71
	s_wait_alu 0xfffe
	s_lshr_b32 s70, s70, s9
	s_wait_alu 0xfffe
	s_cmp_ge_i32 s70, s5
	s_cbranch_scc1 .LBB72_9
; %bb.8:                                ;   in Loop: Header=BB72_6 Depth=1
	v_mad_co_u64_u32 v[58:59], null, s70, s20, v[48:49]
	s_mul_i32 s70, s70, s10
	s_wait_alu 0xfffe
	s_sub_co_i32 s2, s2, s70
	s_wait_alu 0xfffe
	s_mul_i32 s2, s2, s17
	s_wait_alu 0xfffe
	v_lshl_add_u32 v58, v58, 1, s2
	s_delay_alu instid0(VALU_DEP_1) | instskip(NEXT) | instid1(VALU_DEP_1)
	v_ashrrev_i32_e32 v59, 31, v58
	v_lshlrev_b64_e32 v[58:59], 2, v[58:59]
	s_delay_alu instid0(VALU_DEP_1) | instskip(SKIP_1) | instid1(VALU_DEP_2)
	v_add_co_u32 v58, vcc_lo, s14, v58
	s_wait_alu 0xfffd
	v_add_co_ci_u32_e64 v59, null, s15, v59, vcc_lo
	global_load_b64 v[58:59], v[58:59], off
	s_wait_loadcnt 0x0
	v_bfe_u32 v60, v58, 16, 1
	v_bfe_u32 v61, v59, 16, 1
	v_or_b32_e32 v62, 0x400000, v58
	v_cmp_u_f32_e32 vcc_lo, v58, v58
	v_or_b32_e32 v63, 0x400000, v59
	v_add3_u32 v60, v60, v58, 0x7fff
	v_add3_u32 v61, v61, v59, 0x7fff
	s_wait_alu 0xfffd
	s_delay_alu instid0(VALU_DEP_2) | instskip(SKIP_1) | instid1(VALU_DEP_2)
	v_cndmask_b32_e32 v58, v60, v62, vcc_lo
	v_cmp_u_f32_e32 vcc_lo, v59, v59
	v_lshrrev_b32_e32 v59, 16, v58
	s_wait_alu 0xfffd
	v_cndmask_b32_e32 v60, v61, v63, vcc_lo
	s_delay_alu instid0(VALU_DEP_1)
	v_lshrrev_b32_e32 v58, 16, v60
.LBB72_9:                               ;   in Loop: Header=BB72_6 Depth=1
	v_dual_mov_b32 v60, 0 :: v_dual_mov_b32 v61, 0
	v_mov_b32_e32 v62, 0
	s_and_not1_b32 vcc_lo, exec_lo, s38
	s_wait_alu 0xfffe
	s_cbranch_vccnz .LBB72_12
; %bb.10:                               ;   in Loop: Header=BB72_6 Depth=1
	s_load_b32 s2, s[30:31], 0x4
	v_dual_mov_b32 v61, 0 :: v_dual_mov_b32 v62, 0
	s_wait_kmcnt 0x0
	s_mul_u64 s[70:71], s[2:3], s[34:35]
	s_wait_alu 0xfffe
	s_add_co_i32 s70, s2, s71
	s_wait_alu 0xfffe
	s_lshr_b32 s70, s70, s9
	s_wait_alu 0xfffe
	s_cmp_ge_i32 s70, s5
	s_cbranch_scc1 .LBB72_12
; %bb.11:                               ;   in Loop: Header=BB72_6 Depth=1
	v_mad_co_u64_u32 v[61:62], null, s70, s20, v[48:49]
	s_mul_i32 s70, s70, s10
	s_wait_alu 0xfffe
	s_sub_co_i32 s2, s2, s70
	s_wait_alu 0xfffe
	s_mul_i32 s2, s2, s17
	s_wait_alu 0xfffe
	v_lshl_add_u32 v61, v61, 1, s2
	s_delay_alu instid0(VALU_DEP_1) | instskip(NEXT) | instid1(VALU_DEP_1)
	v_ashrrev_i32_e32 v62, 31, v61
	v_lshlrev_b64_e32 v[61:62], 2, v[61:62]
	s_delay_alu instid0(VALU_DEP_1) | instskip(SKIP_1) | instid1(VALU_DEP_2)
	v_add_co_u32 v61, vcc_lo, s14, v61
	s_wait_alu 0xfffd
	v_add_co_ci_u32_e64 v62, null, s15, v62, vcc_lo
	global_load_b64 v[61:62], v[61:62], off
	s_wait_loadcnt 0x0
	v_bfe_u32 v63, v61, 16, 1
	v_bfe_u32 v64, v62, 16, 1
	v_or_b32_e32 v65, 0x400000, v61
	v_cmp_u_f32_e32 vcc_lo, v61, v61
	v_or_b32_e32 v66, 0x400000, v62
	v_add3_u32 v63, v63, v61, 0x7fff
	v_add3_u32 v64, v64, v62, 0x7fff
	s_wait_alu 0xfffd
	s_delay_alu instid0(VALU_DEP_2) | instskip(SKIP_1) | instid1(VALU_DEP_2)
	v_cndmask_b32_e32 v61, v63, v65, vcc_lo
	v_cmp_u_f32_e32 vcc_lo, v62, v62
	v_lshrrev_b32_e32 v62, 16, v61
	s_wait_alu 0xfffd
	v_cndmask_b32_e32 v63, v64, v66, vcc_lo
	s_delay_alu instid0(VALU_DEP_1)
	v_lshrrev_b32_e32 v61, 16, v63
.LBB72_12:                              ;   in Loop: Header=BB72_6 Depth=1
	v_mov_b32_e32 v63, 0
	s_and_not1_b32 vcc_lo, exec_lo, s39
	s_wait_alu 0xfffe
	s_cbranch_vccnz .LBB72_15
; %bb.13:                               ;   in Loop: Header=BB72_6 Depth=1
	s_load_b32 s2, s[30:31], 0x8
	v_dual_mov_b32 v63, 0 :: v_dual_mov_b32 v60, 0
	s_wait_kmcnt 0x0
	s_mul_u64 s[70:71], s[2:3], s[34:35]
	s_wait_alu 0xfffe
	s_add_co_i32 s70, s2, s71
	s_wait_alu 0xfffe
	s_lshr_b32 s70, s70, s9
	s_wait_alu 0xfffe
	s_cmp_ge_i32 s70, s5
	s_cbranch_scc1 .LBB72_15
; %bb.14:                               ;   in Loop: Header=BB72_6 Depth=1
	v_mad_co_u64_u32 v[63:64], null, s70, s20, v[48:49]
	s_mul_i32 s70, s70, s10
	s_wait_alu 0xfffe
	s_sub_co_i32 s2, s2, s70
	s_wait_alu 0xfffe
	s_mul_i32 s2, s2, s17
	s_wait_alu 0xfffe
	v_lshl_add_u32 v63, v63, 1, s2
	s_delay_alu instid0(VALU_DEP_1) | instskip(NEXT) | instid1(VALU_DEP_1)
	v_ashrrev_i32_e32 v64, 31, v63
	v_lshlrev_b64_e32 v[63:64], 2, v[63:64]
	s_delay_alu instid0(VALU_DEP_1) | instskip(SKIP_1) | instid1(VALU_DEP_2)
	v_add_co_u32 v63, vcc_lo, s14, v63
	s_wait_alu 0xfffd
	v_add_co_ci_u32_e64 v64, null, s15, v64, vcc_lo
	global_load_b64 v[63:64], v[63:64], off
	s_wait_loadcnt 0x0
	v_bfe_u32 v60, v63, 16, 1
	v_bfe_u32 v65, v64, 16, 1
	v_or_b32_e32 v66, 0x400000, v63
	v_cmp_u_f32_e32 vcc_lo, v63, v63
	v_or_b32_e32 v67, 0x400000, v64
	v_add3_u32 v60, v60, v63, 0x7fff
	v_add3_u32 v65, v65, v64, 0x7fff
	s_wait_alu 0xfffd
	s_delay_alu instid0(VALU_DEP_2) | instskip(SKIP_3) | instid1(VALU_DEP_3)
	v_cndmask_b32_e32 v60, v60, v66, vcc_lo
	v_cmp_u_f32_e32 vcc_lo, v64, v64
	s_wait_alu 0xfffd
	v_cndmask_b32_e32 v63, v65, v67, vcc_lo
	v_lshrrev_b32_e32 v60, 16, v60
	s_delay_alu instid0(VALU_DEP_2)
	v_lshrrev_b32_e32 v63, 16, v63
.LBB72_15:                              ;   in Loop: Header=BB72_6 Depth=1
	v_dual_mov_b32 v64, 0 :: v_dual_mov_b32 v65, 0
	s_and_not1_b32 vcc_lo, exec_lo, s8
	s_wait_alu 0xfffe
	s_cbranch_vccnz .LBB72_5
; %bb.16:                               ;   in Loop: Header=BB72_6 Depth=1
	s_load_b32 s2, s[30:31], 0xc
	v_dual_mov_b32 v65, 0 :: v_dual_mov_b32 v64, 0
	s_wait_kmcnt 0x0
	s_mul_u64 s[70:71], s[2:3], s[34:35]
	s_wait_alu 0xfffe
	s_add_co_i32 s70, s2, s71
	s_wait_alu 0xfffe
	s_lshr_b32 s70, s70, s9
	s_wait_alu 0xfffe
	s_cmp_ge_i32 s70, s5
	s_cbranch_scc1 .LBB72_5
; %bb.17:                               ;   in Loop: Header=BB72_6 Depth=1
	v_mad_co_u64_u32 v[64:65], null, s70, s20, v[48:49]
	s_mul_i32 s70, s70, s10
	s_wait_alu 0xfffe
	s_sub_co_i32 s2, s2, s70
	s_wait_alu 0xfffe
	s_mul_i32 s2, s2, s17
	s_wait_alu 0xfffe
	v_lshl_add_u32 v64, v64, 1, s2
	s_delay_alu instid0(VALU_DEP_1) | instskip(NEXT) | instid1(VALU_DEP_1)
	v_ashrrev_i32_e32 v65, 31, v64
	v_lshlrev_b64_e32 v[64:65], 2, v[64:65]
	s_delay_alu instid0(VALU_DEP_1) | instskip(SKIP_1) | instid1(VALU_DEP_2)
	v_add_co_u32 v64, vcc_lo, s14, v64
	s_wait_alu 0xfffd
	v_add_co_ci_u32_e64 v65, null, s15, v65, vcc_lo
	global_load_b64 v[64:65], v[64:65], off
	s_wait_loadcnt 0x0
	v_bfe_u32 v66, v64, 16, 1
	v_bfe_u32 v67, v65, 16, 1
	v_or_b32_e32 v68, 0x400000, v64
	v_cmp_u_f32_e32 vcc_lo, v64, v64
	v_or_b32_e32 v69, 0x400000, v65
	v_add3_u32 v66, v66, v64, 0x7fff
	v_add3_u32 v67, v67, v65, 0x7fff
	s_wait_alu 0xfffd
	s_delay_alu instid0(VALU_DEP_2) | instskip(SKIP_3) | instid1(VALU_DEP_3)
	v_cndmask_b32_e32 v64, v66, v68, vcc_lo
	v_cmp_u_f32_e32 vcc_lo, v65, v65
	s_wait_alu 0xfffd
	v_cndmask_b32_e32 v65, v67, v69, vcc_lo
	v_lshrrev_b32_e32 v64, 16, v64
	s_delay_alu instid0(VALU_DEP_2)
	v_lshrrev_b32_e32 v65, 16, v65
	s_branch .LBB72_5
.LBB72_18:
	s_or_b32 exec_lo, exec_lo, s69
.LBB72_19:
	s_delay_alu instid0(SALU_CYCLE_1)
	s_or_b32 exec_lo, exec_lo, s37
	s_load_b64 s[0:1], s[0:1], 0x18
	v_lshlrev_b32_e32 v16, 1, v51
	v_lshl_add_u32 v17, v53, 2, 0
	v_mul_u32_u24_e32 v18, 0x410, v54
	s_barrier_signal -1
	s_delay_alu instid0(VALU_DEP_3)
	v_and_b32_e32 v16, 0x7e0, v16
	s_barrier_wait -1
	global_inv scope:SCOPE_SE
	s_mov_b32 s2, exec_lo
	v_add3_u32 v16, v17, v18, v16
	ds_store_2addr_b32 v16, v8, v9 offset1:1
	ds_store_2addr_b32 v16, v10, v11 offset0:2 offset1:3
	ds_store_2addr_b32 v16, v12, v13 offset0:4 offset1:5
	ds_store_2addr_b32 v16, v14, v15 offset0:6 offset1:7
	ds_store_2addr_b32 v16, v0, v1 offset0:16 offset1:17
	ds_store_2addr_b32 v16, v2, v3 offset0:18 offset1:19
	ds_store_2addr_b32 v16, v4, v5 offset0:20 offset1:21
	ds_store_2addr_b32 v16, v6, v7 offset0:22 offset1:23
	s_wait_loadcnt_dscnt 0x0
	s_barrier_signal -1
	s_barrier_wait -1
	global_inv scope:SCOPE_SE
	v_cmpx_gt_u32_e32 4, v52
	s_cbranch_execz .LBB72_23
; %bb.20:
	v_or_b32_e32 v0, s36, v52
	s_cmp_gt_i32 s6, 0
	s_cselect_b32 s2, -1, 0
	s_delay_alu instid0(VALU_DEP_1)
	v_cmp_gt_i32_e32 vcc_lo, s19, v0
	s_wait_alu 0xfffe
	s_and_b32 s2, s2, vcc_lo
	s_wait_alu 0xfffe
	s_and_b32 exec_lo, exec_lo, s2
	s_cbranch_execz .LBB72_23
; %bb.21:
	v_lshlrev_b32_e32 v0, 2, v0
	s_lshl_b64 s[2:3], s[24:25], 2
	s_wait_kmcnt 0x0
	s_wait_alu 0xfffe
	s_add_nc_u64 s[0:1], s[0:1], s[2:3]
	global_load_b32 v0, v0, s[0:1]
	s_wait_loadcnt 0x0
	v_mul_hi_u32 v1, v0, s11
	s_delay_alu instid0(VALU_DEP_1) | instskip(NEXT) | instid1(VALU_DEP_1)
	v_add_nc_u32_e32 v1, v0, v1
	v_lshrrev_b32_e32 v1, s22, v1
	s_delay_alu instid0(VALU_DEP_1)
	v_cmp_gt_i32_e32 vcc_lo, s5, v1
	s_and_b32 exec_lo, exec_lo, vcc_lo
	s_cbranch_execz .LBB72_23
; %bb.22:
	v_lshlrev_b32_e32 v2, 2, v51
	v_mul_u32_u24_e32 v3, 0x410, v52
	v_mul_lo_u32 v9, v1, s23
	s_delay_alu instid0(VALU_DEP_2) | instskip(SKIP_4) | instid1(VALU_DEP_1)
	v_add3_u32 v8, 0, v2, v3
	ds_load_2addr_b32 v[2:3], v8 offset1:32
	ds_load_2addr_b32 v[4:5], v8 offset0:64 offset1:96
	ds_load_2addr_b32 v[6:7], v8 offset0:128 offset1:160
	v_sub_nc_u32_e32 v0, v0, v9
	v_mul_lo_u32 v0, v0, s18
	s_wait_dscnt 0x2
	v_add_f32_e32 v2, 0, v2
	s_delay_alu instid0(VALU_DEP_1) | instskip(SKIP_3) | instid1(VALU_DEP_1)
	v_add_f32_e32 v10, v2, v3
	ds_load_2addr_b32 v[2:3], v8 offset0:192 offset1:224
	s_wait_dscnt 0x2
	v_add_f32_e32 v4, v10, v4
	v_add_f32_e32 v4, v4, v5
	v_mul_lo_u32 v5, v1, s21
	s_wait_dscnt 0x1
	s_delay_alu instid0(VALU_DEP_2) | instskip(SKIP_1) | instid1(VALU_DEP_2)
	v_dual_mov_b32 v1, 0 :: v_dual_add_f32 v4, v4, v6
	v_add_nc_u32_e32 v6, s33, v51
	v_add_f32_e32 v4, v4, v7
	s_delay_alu instid0(VALU_DEP_2) | instskip(SKIP_1) | instid1(VALU_DEP_2)
	v_add3_u32 v0, v6, v5, v0
	s_wait_dscnt 0x0
	v_add_f32_e32 v2, v4, v2
	s_delay_alu instid0(VALU_DEP_2) | instskip(NEXT) | instid1(VALU_DEP_2)
	v_lshlrev_b64_e32 v[0:1], 2, v[0:1]
	v_add_f32_e32 v2, v2, v3
	s_delay_alu instid0(VALU_DEP_2) | instskip(SKIP_1) | instid1(VALU_DEP_3)
	v_add_co_u32 v0, vcc_lo, s26, v0
	s_wait_alu 0xfffd
	v_add_co_ci_u32_e64 v1, null, s27, v1, vcc_lo
	global_store_b32 v[0:1], v2, off
.LBB72_23:
	s_endpgm
	.section	.rodata,"a",@progbits
	.p2align	6, 0x0
	.amdhsa_kernel _ZL13mul_mat_f_idsI15__hip_bfloat162Li32ELi4ELi8EEvPKT_PKfPKiS7_S7_Pfiiiiiiiiiiiiii15HIP_vector_typeIjLj3EESA_
		.amdhsa_group_segment_fixed_size 0
		.amdhsa_private_segment_fixed_size 0
		.amdhsa_kernarg_size 128
		.amdhsa_user_sgpr_count 2
		.amdhsa_user_sgpr_dispatch_ptr 0
		.amdhsa_user_sgpr_queue_ptr 0
		.amdhsa_user_sgpr_kernarg_segment_ptr 1
		.amdhsa_user_sgpr_dispatch_id 0
		.amdhsa_user_sgpr_private_segment_size 0
		.amdhsa_wavefront_size32 1
		.amdhsa_uses_dynamic_stack 0
		.amdhsa_enable_private_segment 0
		.amdhsa_system_sgpr_workgroup_id_x 1
		.amdhsa_system_sgpr_workgroup_id_y 1
		.amdhsa_system_sgpr_workgroup_id_z 1
		.amdhsa_system_sgpr_workgroup_info 0
		.amdhsa_system_vgpr_workitem_id 1
		.amdhsa_next_free_vgpr 74
		.amdhsa_next_free_sgpr 74
		.amdhsa_reserve_vcc 1
		.amdhsa_float_round_mode_32 0
		.amdhsa_float_round_mode_16_64 0
		.amdhsa_float_denorm_mode_32 3
		.amdhsa_float_denorm_mode_16_64 3
		.amdhsa_fp16_overflow 0
		.amdhsa_workgroup_processor_mode 1
		.amdhsa_memory_ordered 1
		.amdhsa_forward_progress 1
		.amdhsa_inst_pref_size 35
		.amdhsa_round_robin_scheduling 0
		.amdhsa_exception_fp_ieee_invalid_op 0
		.amdhsa_exception_fp_denorm_src 0
		.amdhsa_exception_fp_ieee_div_zero 0
		.amdhsa_exception_fp_ieee_overflow 0
		.amdhsa_exception_fp_ieee_underflow 0
		.amdhsa_exception_fp_ieee_inexact 0
		.amdhsa_exception_int_div_zero 0
	.end_amdhsa_kernel
	.section	.text._ZL13mul_mat_f_idsI15__hip_bfloat162Li32ELi4ELi8EEvPKT_PKfPKiS7_S7_Pfiiiiiiiiiiiiii15HIP_vector_typeIjLj3EESA_,"axG",@progbits,_ZL13mul_mat_f_idsI15__hip_bfloat162Li32ELi4ELi8EEvPKT_PKfPKiS7_S7_Pfiiiiiiiiiiiiii15HIP_vector_typeIjLj3EESA_,comdat
.Lfunc_end72:
	.size	_ZL13mul_mat_f_idsI15__hip_bfloat162Li32ELi4ELi8EEvPKT_PKfPKiS7_S7_Pfiiiiiiiiiiiiii15HIP_vector_typeIjLj3EESA_, .Lfunc_end72-_ZL13mul_mat_f_idsI15__hip_bfloat162Li32ELi4ELi8EEvPKT_PKfPKiS7_S7_Pfiiiiiiiiiiiiii15HIP_vector_typeIjLj3EESA_
                                        ; -- End function
	.set _ZL13mul_mat_f_idsI15__hip_bfloat162Li32ELi4ELi8EEvPKT_PKfPKiS7_S7_Pfiiiiiiiiiiiiii15HIP_vector_typeIjLj3EESA_.num_vgpr, 74
	.set _ZL13mul_mat_f_idsI15__hip_bfloat162Li32ELi4ELi8EEvPKT_PKfPKiS7_S7_Pfiiiiiiiiiiiiii15HIP_vector_typeIjLj3EESA_.num_agpr, 0
	.set _ZL13mul_mat_f_idsI15__hip_bfloat162Li32ELi4ELi8EEvPKT_PKfPKiS7_S7_Pfiiiiiiiiiiiiii15HIP_vector_typeIjLj3EESA_.numbered_sgpr, 74
	.set _ZL13mul_mat_f_idsI15__hip_bfloat162Li32ELi4ELi8EEvPKT_PKfPKiS7_S7_Pfiiiiiiiiiiiiii15HIP_vector_typeIjLj3EESA_.num_named_barrier, 0
	.set _ZL13mul_mat_f_idsI15__hip_bfloat162Li32ELi4ELi8EEvPKT_PKfPKiS7_S7_Pfiiiiiiiiiiiiii15HIP_vector_typeIjLj3EESA_.private_seg_size, 0
	.set _ZL13mul_mat_f_idsI15__hip_bfloat162Li32ELi4ELi8EEvPKT_PKfPKiS7_S7_Pfiiiiiiiiiiiiii15HIP_vector_typeIjLj3EESA_.uses_vcc, 1
	.set _ZL13mul_mat_f_idsI15__hip_bfloat162Li32ELi4ELi8EEvPKT_PKfPKiS7_S7_Pfiiiiiiiiiiiiii15HIP_vector_typeIjLj3EESA_.uses_flat_scratch, 0
	.set _ZL13mul_mat_f_idsI15__hip_bfloat162Li32ELi4ELi8EEvPKT_PKfPKiS7_S7_Pfiiiiiiiiiiiiii15HIP_vector_typeIjLj3EESA_.has_dyn_sized_stack, 0
	.set _ZL13mul_mat_f_idsI15__hip_bfloat162Li32ELi4ELi8EEvPKT_PKfPKiS7_S7_Pfiiiiiiiiiiiiii15HIP_vector_typeIjLj3EESA_.has_recursion, 0
	.set _ZL13mul_mat_f_idsI15__hip_bfloat162Li32ELi4ELi8EEvPKT_PKfPKiS7_S7_Pfiiiiiiiiiiiiii15HIP_vector_typeIjLj3EESA_.has_indirect_call, 0
	.section	.AMDGPU.csdata,"",@progbits
; Kernel info:
; codeLenInByte = 4428
; TotalNumSgprs: 76
; NumVgprs: 74
; ScratchSize: 0
; MemoryBound: 0
; FloatMode: 240
; IeeeMode: 1
; LDSByteSize: 0 bytes/workgroup (compile time only)
; SGPRBlocks: 0
; VGPRBlocks: 9
; NumSGPRsForWavesPerEU: 76
; NumVGPRsForWavesPerEU: 74
; Occupancy: 16
; WaveLimiterHint : 1
; COMPUTE_PGM_RSRC2:SCRATCH_EN: 0
; COMPUTE_PGM_RSRC2:USER_SGPR: 2
; COMPUTE_PGM_RSRC2:TRAP_HANDLER: 0
; COMPUTE_PGM_RSRC2:TGID_X_EN: 1
; COMPUTE_PGM_RSRC2:TGID_Y_EN: 1
; COMPUTE_PGM_RSRC2:TGID_Z_EN: 1
; COMPUTE_PGM_RSRC2:TIDIG_COMP_CNT: 1
	.section	.text._ZL9mul_mat_fI15__hip_bfloat162Li32ELi4ELi8ELb1EEvPKT_PKfPKiPfiiiiiiiiiiiiiiii,"axG",@progbits,_ZL9mul_mat_fI15__hip_bfloat162Li32ELi4ELi8ELb1EEvPKT_PKfPKiPfiiiiiiiiiiiiiiii,comdat
	.globl	_ZL9mul_mat_fI15__hip_bfloat162Li32ELi4ELi8ELb1EEvPKT_PKfPKiPfiiiiiiiiiiiiiiii ; -- Begin function _ZL9mul_mat_fI15__hip_bfloat162Li32ELi4ELi8ELb1EEvPKT_PKfPKiPfiiiiiiiiiiiiiiii
	.p2align	8
	.type	_ZL9mul_mat_fI15__hip_bfloat162Li32ELi4ELi8ELb1EEvPKT_PKfPKiPfiiiiiiiiiiiiiiii,@function
_ZL9mul_mat_fI15__hip_bfloat162Li32ELi4ELi8ELb1EEvPKT_PKfPKiPfiiiiiiiiiiiiiiii: ; @_ZL9mul_mat_fI15__hip_bfloat162Li32ELi4ELi8ELb1EEvPKT_PKfPKiPfiiiiiiiiiiiiiiii
; %bb.0:
	s_load_b256 s[4:11], s[0:1], 0x20
	v_bfe_u32 v55, v0, 10, 10
	s_mov_b32 s29, 0
	v_and_b32_e32 v48, 0x3ff, v0
	s_load_b96 s[20:22], s[0:1], 0x54
	s_delay_alu instid0(VALU_DEP_2) | instskip(SKIP_2) | instid1(SALU_CYCLE_1)
	v_mul_i32_i24_e32 v57, 0xfffff704, v55
	s_wait_kmcnt 0x0
	s_add_co_i32 s2, s5, 3
	s_ashr_i32 s3, s2, 31
	s_delay_alu instid0(SALU_CYCLE_1) | instskip(NEXT) | instid1(SALU_CYCLE_1)
	s_lshr_b32 s3, s3, 30
	s_add_co_i32 s2, s2, s3
	s_delay_alu instid0(SALU_CYCLE_1) | instskip(NEXT) | instid1(SALU_CYCLE_1)
	s_ashr_i32 s2, s2, 2
	s_cvt_f32_u32 s3, s2
	s_delay_alu instid0(SALU_CYCLE_3) | instskip(SKIP_1) | instid1(TRANS32_DEP_1)
	v_rcp_iflag_f32_e32 v1, s3
	s_load_b32 s3, s[0:1], 0x64
	v_readfirstlane_b32 s12, v1
	s_mul_f32 s12, s12, 0x4f7ffffe
	s_delay_alu instid0(SALU_CYCLE_3) | instskip(SKIP_1) | instid1(SALU_CYCLE_2)
	s_cvt_u32_f32 s16, s12
	s_sub_co_i32 s12, 0, s2
	s_mul_i32 s12, s12, s16
	s_delay_alu instid0(SALU_CYCLE_1) | instskip(SKIP_4) | instid1(SALU_CYCLE_1)
	s_mul_hi_u32 s17, s16, s12
	s_load_b128 s[12:15], s[0:1], 0x44
	s_add_co_i32 s16, s16, s17
	s_wait_kmcnt 0x0
	s_mul_hi_u32 s16, s3, s16
	s_mul_i32 s17, s16, s2
	s_delay_alu instid0(SALU_CYCLE_1)
	s_sub_co_i32 s3, s3, s17
	s_add_co_i32 s17, s16, 1
	s_wait_alu 0xfffe
	s_sub_co_i32 s18, s3, s2
	s_cmp_ge_u32 s3, s2
	s_cselect_b32 s16, s17, s16
	s_cselect_b32 s3, s18, s3
	s_add_co_i32 s17, s16, 1
	s_wait_alu 0xfffe
	s_cmp_ge_u32 s3, s2
	s_cselect_b32 s18, s17, s16
	s_mov_b32 s17, s29
	s_cvt_f32_u32 s2, s18
	s_abs_i32 s23, s15
	s_and_b32 s16, ttmp7, 0xffff
	s_cvt_f32_u32 s3, s23
	s_wait_alu 0xfffe
	v_rcp_iflag_f32_e32 v1, s2
	s_movk_i32 s2, 0x900
	s_lshr_b32 s24, ttmp7, 16
	v_rcp_iflag_f32_e32 v2, s3
	s_wait_alu 0xfffe
	v_mad_u32_u24 v56, v55, s2, 0x100
	s_delay_alu instid0(TRANS32_DEP_2) | instskip(NEXT) | instid1(TRANS32_DEP_1)
	v_readfirstlane_b32 s3, v1
	v_readfirstlane_b32 s19, v2
	s_mul_f32 s3, s3, 0x4f7ffffe
	s_wait_alu 0xfffe
	s_delay_alu instid0(SALU_CYCLE_2)
	s_cvt_u32_f32 s2, s3
	s_mul_f32 s3, s19, 0x4f7ffffe
	s_sub_co_i32 s19, 0, s18
	s_wait_alu 0xfffe
	s_mul_i32 s19, s19, s2
	s_cvt_u32_f32 s25, s3
	s_mul_hi_u32 s3, s2, s19
	s_sub_co_i32 s19, 0, s23
	s_wait_alu 0xfffe
	s_add_co_i32 s28, s2, s3
	s_mul_i32 s19, s19, s25
	s_mul_u64 s[2:3], s[16:17], s[28:29]
	s_mul_hi_u32 s2, s25, s19
	s_abs_i32 s28, s24
	s_wait_alu 0xfffe
	s_add_co_i32 s30, s25, s2
	s_mov_b32 s2, exec_lo
	v_cmpx_eq_u32_e32 0, v48
; %bb.1:
	v_dual_mov_b32 v2, -1 :: v_dual_add_nc_u32 v1, v56, v57
	ds_store_b32 v1, v2
; %bb.2:
	s_wait_alu 0xfffe
	s_or_b32 exec_lo, exec_lo, s2
	s_mul_i32 s2, s3, s18
	s_add_co_i32 s17, s3, 1
	s_wait_alu 0xfffe
	s_sub_co_i32 s2, s16, s2
	v_mov_b32_e32 v3, 0
	s_wait_alu 0xfffe
	s_sub_co_i32 s19, s2, s18
	s_cmp_ge_u32 s2, s18
	s_mov_b32 s31, s29
	s_cselect_b32 s3, s17, s3
	s_cselect_b32 s2, s19, s2
	s_wait_alu 0xfffe
	s_add_co_i32 s17, s3, 1
	s_cmp_ge_u32 s2, s18
	v_cmp_gt_i32_e64 s2, s6, v48
	s_cselect_b32 s3, s17, s3
	s_wait_alu 0xfffe
	s_lshl_b32 s26, s3, 2
	s_mul_i32 s3, s3, s18
	v_add_nc_u32_e32 v1, s26, v55
	s_wait_alu 0xfffe
	s_sub_co_i32 s33, s16, s3
	s_ashr_i32 s27, s26, 31
	s_delay_alu instid0(VALU_DEP_1)
	v_cmp_gt_i32_e32 vcc_lo, s5, v1
	s_and_b32 s2, vcc_lo, s2
	s_wait_alu 0xfffe
	s_and_saveexec_b32 s3, s2
	s_cbranch_execz .LBB73_8
; %bb.3:
	s_load_b64 s[16:17], s[0:1], 0x10
	v_mul_lo_u32 v2, s11, v55
	s_ashr_i32 s19, s11, 31
	s_mov_b32 s18, s11
	v_mul_lo_u32 v1, v48, s10
	s_mul_u64 s[18:19], s[26:27], s[18:19]
	v_mov_b32_e32 v7, v48
	s_lshl_b64 s[18:19], s[18:19], 2
	s_lshl_b32 s11, s10, 5
	v_ashrrev_i32_e32 v3, 31, v2
	s_mov_b32 s10, 0
	v_add_nc_u32_e32 v4, v56, v57
	s_delay_alu instid0(VALU_DEP_2)
	v_lshlrev_b64_e32 v[5:6], 2, v[2:3]
	v_mov_b32_e32 v3, 0
	s_wait_kmcnt 0x0
	s_add_nc_u64 s[16:17], s[16:17], s[18:19]
	s_delay_alu instid0(VALU_DEP_2) | instid1(SALU_CYCLE_1)
	v_add_co_u32 v5, vcc_lo, s16, v5
	s_delay_alu instid0(VALU_DEP_1)
	v_add_co_ci_u32_e64 v6, null, s17, v6, vcc_lo
	s_branch .LBB73_5
.LBB73_4:                               ;   in Loop: Header=BB73_5 Depth=1
	s_wait_alu 0xfffe
	s_or_b32 exec_lo, exec_lo, s16
	v_add_nc_u32_e32 v7, 32, v7
	s_xor_b32 s16, vcc_lo, -1
	v_add_nc_u32_e32 v1, s11, v1
	s_delay_alu instid0(VALU_DEP_2)
	v_cmp_le_i32_e64 s2, s6, v7
	s_wait_alu 0xfffe
	s_or_b32 s2, s16, s2
	s_wait_alu 0xfffe
	s_and_b32 s2, exec_lo, s2
	s_wait_alu 0xfffe
	s_or_b32 s10, s2, s10
	s_wait_alu 0xfffe
	s_and_not1_b32 exec_lo, exec_lo, s10
	s_cbranch_execz .LBB73_7
.LBB73_5:                               ; =>This Inner Loop Header: Depth=1
	v_ashrrev_i32_e32 v2, 31, v1
	s_mov_b32 s16, exec_lo
	s_delay_alu instid0(VALU_DEP_1) | instskip(NEXT) | instid1(VALU_DEP_1)
	v_lshlrev_b64_e32 v[8:9], 2, v[1:2]
	v_add_co_u32 v8, vcc_lo, v5, v8
	s_wait_alu 0xfffd
	s_delay_alu instid0(VALU_DEP_2)
	v_add_co_ci_u32_e64 v9, null, v6, v9, vcc_lo
	global_load_b32 v2, v[8:9], off
	s_wait_loadcnt 0x0
	v_cmp_ne_u32_e32 vcc_lo, s33, v2
	v_cmpx_eq_u32_e64 s33, v2
	s_cbranch_execz .LBB73_4
; %bb.6:                                ;   in Loop: Header=BB73_5 Depth=1
	v_mov_b32_e32 v3, 1
	ds_store_b32 v4, v7
	s_branch .LBB73_4
.LBB73_7:
	s_or_b32 exec_lo, exec_lo, s10
.LBB73_8:
	s_wait_alu 0xfffe
	s_or_b32 exec_lo, exec_lo, s3
	s_clause 0x1
	s_load_b128 s[16:19], s[0:1], 0x0
	s_load_b64 s[2:3], s[0:1], 0x18
	s_add_nc_u64 s[0:1], s[0:1], 0x60
	v_or_b32_dpp v1, v3, v3 row_shl:1 row_mask:0xf bank_mask:0xf bound_ctrl:1
	s_mul_u64 s[10:11], s[28:29], s[30:31]
	s_load_b64 s[30:31], s[0:1], 0xc
	s_ashr_i32 s6, s15, 31
	s_delay_alu instid0(VALU_DEP_1) | instskip(NEXT) | instid1(VALU_DEP_1)
	v_or_b32_dpp v1, v1, v1 row_shl:2 row_mask:0xf bank_mask:0xf bound_ctrl:1
	v_or_b32_dpp v1, v1, v1 row_shl:4 row_mask:0xf bank_mask:0xf bound_ctrl:1
	s_delay_alu instid0(VALU_DEP_1) | instskip(NEXT) | instid1(VALU_DEP_1)
	v_or_b32_dpp v1, v1, v1 row_shl:8 row_mask:0xf bank_mask:0xf bound_ctrl:1
	v_mov_b32_dpp v1, v1 row_share:0 row_mask:0xf bank_mask:0xf bound_ctrl:1
	s_wait_kmcnt 0x0
	s_lshr_b32 s1, s30, 16
	s_and_b32 s0, s30, 0xffff
	s_and_b32 s15, s31, 0xffff
	s_mul_i32 s10, s1, s0
	v_permlanex16_b32 v2, v1, 0, 0 op_sel:[0,1]
	s_wait_alu 0xfffe
	s_bfe_i32 s10, s10, 0x180000
	s_wait_alu 0xfffe
	s_mul_i32 s10, s10, s15
	s_wait_alu 0xfffe
	s_add_co_i32 s10, s10, 31
	v_or_b32_e32 v2, v2, v1
	s_wait_alu 0xfffe
	s_and_not1_b32 s10, s10, 31
	s_wait_alu 0xfffe
	s_cmp_lg_u32 s10, 32
	s_cbranch_scc0 .LBB73_17
; %bb.9:
	v_bfe_u32 v0, v0, 20, 10
	s_delay_alu instid0(VALU_DEP_1) | instskip(NEXT) | instid1(VALU_DEP_1)
	v_mad_u32_u24 v0, v0, s1, v55
	v_mad_co_u64_u32 v[0:1], null, v0, s0, v[48:49]
	v_mbcnt_lo_u32_b32 v1, -1, 0
	s_mov_b32 s0, exec_lo
	s_delay_alu instid0(VALU_DEP_2) | instskip(NEXT) | instid1(VALU_DEP_1)
	v_lshrrev_b32_e32 v3, 5, v0
	v_or_b32_e32 v3, v1, v3
	s_delay_alu instid0(VALU_DEP_1)
	v_cmpx_eq_u32_e32 0, v3
; %bb.10:
	v_mov_b32_e32 v3, 0
	ds_store_b32 v3, v2
; %bb.11:
	s_wait_alu 0xfffe
	s_or_b32 exec_lo, exec_lo, s0
	v_cmp_eq_u32_e32 vcc_lo, 0, v1
	v_cmp_lt_u32_e64 s0, 31, v0
	s_mov_b32 s1, 0
	s_wait_dscnt 0x0
	s_barrier_signal -1
	s_barrier_wait -1
	s_and_b32 s10, s0, vcc_lo
	global_inv scope:SCOPE_SE
	s_wait_alu 0xfffe
	s_and_saveexec_b32 s0, s10
	s_cbranch_execz .LBB73_16
; %bb.12:
	s_mov_b32 s10, exec_lo
.LBB73_13:                              ; =>This Inner Loop Header: Depth=1
	s_wait_alu 0xfffe
	s_ctz_i32_b32 s15, s10
	s_wait_alu 0xfffe
	v_readlane_b32 s25, v2, s15
	s_lshl_b32 s15, 1, s15
	s_wait_alu 0xfffe
	s_and_not1_b32 s10, s10, s15
	s_or_b32 s1, s1, s25
	s_wait_alu 0xfffe
	s_cmp_lg_u32 s10, 0
	s_cbranch_scc1 .LBB73_13
; %bb.14:
	v_mbcnt_lo_u32_b32 v0, exec_lo, 0
	s_mov_b32 s10, exec_lo
	s_delay_alu instid0(VALU_DEP_1)
	v_cmpx_eq_u32_e32 0, v0
	s_wait_alu 0xfffe
	s_xor_b32 s10, exec_lo, s10
; %bb.15:
	v_dual_mov_b32 v0, 0 :: v_dual_mov_b32 v1, s1
	ds_or_b32 v0, v1
.LBB73_16:
	s_wait_alu 0xfffe
	s_or_b32 exec_lo, exec_lo, s0
	v_mov_b32_e32 v0, 0
	s_wait_loadcnt_dscnt 0x0
	s_barrier_signal -1
	s_barrier_wait -1
	global_inv scope:SCOPE_SE
	ds_load_b32 v2, v0
	s_wait_loadcnt_dscnt 0x0
	s_barrier_signal -1
	s_barrier_wait -1
	global_inv scope:SCOPE_SE
.LBB73_17:
	s_mov_b32 s25, 0
	s_mov_b32 s0, exec_lo
	v_cmpx_ne_u32_e32 0, v2
	s_cbranch_execz .LBB73_43
; %bb.18:
	v_lshlrev_b32_e32 v58, 5, v55
	v_and_b32_e32 v59, 15, v48
	s_mov_b32 s0, exec_lo
	s_delay_alu instid0(VALU_DEP_2) | instskip(NEXT) | instid1(VALU_DEP_1)
	v_add_nc_u32_e32 v61, v58, v48
	v_cmpx_le_i32_e64 s4, v61
	s_wait_alu 0xfffe
	s_xor_b32 s0, exec_lo, s0
; %bb.19:
	v_and_b32_e32 v59, 15, v48
                                        ; implicit-def: $vgpr61
; %bb.20:
	s_wait_alu 0xfffe
	s_or_saveexec_b32 s15, s0
	v_dual_mov_b32 v15, 0 :: v_dual_lshlrev_b32 v60, 1, v48
	s_lshl_b32 s1, ttmp9, 5
	s_delay_alu instid0(VALU_DEP_1)
	v_dual_mov_b32 v14, v15 :: v_dual_mov_b32 v13, v15
	v_dual_mov_b32 v12, v15 :: v_dual_mov_b32 v11, v15
	;; [unrolled: 1-line block ×7, first 2 shown]
	v_mov_b32_e32 v0, v15
	s_wait_alu 0xfffe
	s_xor_b32 exec_lo, exec_lo, s15
	s_cbranch_execz .LBB73_40
; %bb.21:
	s_mul_i32 s0, s11, s23
	s_add_co_i32 s29, s11, 1
	s_wait_alu 0xfffe
	s_sub_co_i32 s0, s28, s0
	s_mul_i32 s28, s33, s12
	s_wait_alu 0xfffe
	s_sub_co_i32 s30, s0, s23
	s_cmp_ge_u32 s0, s23
	s_mov_b32 s10, s20
	s_cselect_b32 s11, s29, s11
	s_cselect_b32 s0, s30, s0
	s_wait_alu 0xfffe
	s_add_co_i32 s12, s11, 1
	s_cmp_ge_u32 s0, s23
	s_mul_i32 s30, s7, s1
	s_cselect_b32 s0, s12, s11
	s_ashr_i32 s11, s20, 31
	s_wait_alu 0xfffe
	s_xor_b32 s0, s0, s6
	s_ashr_i32 s29, s28, 31
	s_wait_alu 0xfffe
	s_sub_co_i32 s38, s0, s6
	s_mov_b32 s34, s21
	s_ashr_i32 s39, s38, 31
	s_mov_b32 s36, s8
	s_mul_u64 s[10:11], s[38:39], s[10:11]
	s_ashr_i32 s35, s21, 31
	s_wait_alu 0xfffe
	s_lshl_b64 s[62:63], s[10:11], 2
	s_ashr_i32 s37, s8, 31
	s_ashr_i32 s31, s30, 31
	s_lshl_b64 s[60:61], s[28:29], 2
	s_add_nc_u64 s[20:21], s[16:17], s[62:63]
	s_mul_u64 s[10:11], s[36:37], s[26:27]
	s_mul_u64 s[28:29], s[34:35], s[24:25]
	s_add_nc_u64 s[20:21], s[20:21], s[60:61]
	s_lshl_b64 s[64:65], s[30:31], 2
	s_wait_alu 0xfffe
	s_lshl_b64 s[30:31], s[10:11], 3
	s_add_nc_u64 s[10:11], s[20:21], s[64:65]
	s_lshl_b64 s[20:21], s[28:29], 2
	s_cmp_lt_i32 s26, s5
	v_mul_u32_u24_e32 v0, 0x90, v59
	s_cselect_b32 s12, -1, 0
	s_or_b32 s0, s26, 1
	v_dual_mov_b32 v64, 0 :: v_dual_and_b32 v1, 0x3f0, v48
	s_wait_alu 0xfffe
	s_cmp_lt_i32 s0, s5
	s_add_nc_u64 s[18:19], s[18:19], s[20:21]
	s_cselect_b32 s20, -1, 0
	s_or_b32 s0, s26, 2
	s_add_nc_u64 s[62:63], s[62:63], s[64:65]
	v_add3_u32 v63, v56, v0, v1
	v_dual_mov_b32 v65, 0x100 :: v_dual_lshlrev_b32 v0, 2, v61
	s_wait_alu 0xfffe
	s_cmp_lt_i32 s0, s5
	s_add_nc_u64 s[60:61], s[62:63], s[60:61]
	s_cselect_b32 s21, -1, 0
	s_or_b32 s0, s26, 3
	s_add_nc_u64 s[16:17], s[16:17], s[60:61]
	s_lshl_b32 s23, s8, 2
	s_wait_alu 0xfffe
	s_cmp_lt_i32 s0, s5
	v_add_co_u32 v50, s0, s16, v0
	v_lshl_add_u32 v62, v48, 2, v56
	v_lshl_add_u32 v49, v55, 6, v60
	s_wait_alu 0xf1ff
	v_add_co_ci_u32_e64 v51, null, s17, 0, s0
	v_dual_mov_b32 v0, 0 :: v_dual_mov_b32 v1, v64
	v_dual_mov_b32 v2, v64 :: v_dual_mov_b32 v3, v64
	v_dual_mov_b32 v4, v64 :: v_dual_mov_b32 v5, v64
	v_dual_mov_b32 v6, v64 :: v_dual_mov_b32 v7, v64
	v_dual_mov_b32 v8, 0 :: v_dual_mov_b32 v9, v64
	v_dual_mov_b32 v10, v64 :: v_dual_mov_b32 v11, v64
	v_dual_mov_b32 v12, v64 :: v_dual_mov_b32 v13, v64
	v_dual_mov_b32 v14, v64 :: v_dual_mov_b32 v15, v64
	s_cselect_b32 s28, -1, 0
	s_ashr_i32 s67, s7, 31
	s_mov_b32 s66, s7
	s_add_nc_u64 s[18:19], s[18:19], s[30:31]
	s_add_co_i32 s29, s7, s7
	s_mul_i32 s30, s7, 3
	s_lshl_b32 s31, s7, 2
	s_mul_i32 s33, s7, 5
	s_mul_i32 s34, s7, 6
	;; [unrolled: 1-line block ×3, first 2 shown]
	s_lshl_b32 s36, s7, 3
	s_mul_i32 s37, s7, 9
	s_mul_i32 s38, s7, 10
	;; [unrolled: 1-line block ×7, first 2 shown]
	s_lshl_b32 s44, s7, 4
	s_mul_i32 s45, s7, 17
	s_mul_i32 s46, s7, 18
	;; [unrolled: 1-line block ×15, first 2 shown]
	s_lshl_b64 s[6:7], s[66:67], 2
	s_mul_i32 s16, s8, 6
	s_lshl_b32 s17, s8, 1
	s_mov_b32 s8, 0
	s_branch .LBB73_24
.LBB73_22:                              ;   in Loop: Header=BB73_24 Depth=1
	v_mul_lo_u32 v52, v52, s13
	s_delay_alu instid0(VALU_DEP_1) | instskip(NEXT) | instid1(VALU_DEP_1)
	v_add3_u32 v52, v52, s16, v49
	v_ashrrev_i32_e32 v53, 31, v52
	s_delay_alu instid0(VALU_DEP_1) | instskip(NEXT) | instid1(VALU_DEP_1)
	v_lshlrev_b64_e32 v[52:53], 2, v[52:53]
	v_add_co_u32 v52, vcc_lo, s18, v52
	s_wait_alu 0xfffd
	s_delay_alu instid0(VALU_DEP_2)
	v_add_co_ci_u32_e64 v53, null, s19, v53, vcc_lo
	global_load_b64 v[52:53], v[52:53], off
.LBB73_23:                              ;   in Loop: Header=BB73_24 Depth=1
	s_wait_loadcnt 0x0
	s_delay_alu instid0(VALU_DEP_1) | instskip(NEXT) | instid1(VALU_DEP_2)
	v_bfe_u32 v54, v52, 16, 1
	v_bfe_u32 v66, v53, 16, 1
	v_or_b32_e32 v67, 0x400000, v52
	v_cmp_u_f32_e32 vcc_lo, v52, v52
	v_or_b32_e32 v68, 0x400000, v53
	v_add3_u32 v54, v54, v52, 0x7fff
	v_add3_u32 v66, v66, v53, 0x7fff
	ds_store_2addr_b32 v62, v64, v64 offset0:196 offset1:232
	ds_store_b32 v62, v64 offset:2224
	v_add_co_u32 v50, s0, 0x400, v50
	s_wait_alu 0xfffd
	v_dual_cndmask_b32 v52, v54, v67 :: v_dual_add_nc_u32 v61, 0x100, v61
	v_cmp_u_f32_e32 vcc_lo, v53, v53
	v_add_nc_u32_e32 v49, 0x200, v49
	v_add_nc_u32_e32 v54, 0x400, v62
	s_wait_alu 0xf1ff
	v_add_co_ci_u32_e64 v51, null, 0, v51, s0
	s_wait_alu 0xfffd
	v_dual_cndmask_b32 v53, v66, v68 :: v_dual_add_nc_u32 v66, 0x600, v62
	v_cmp_le_i32_e32 vcc_lo, s4, v61
	s_delay_alu instid0(VALU_DEP_2)
	v_perm_b32 v52, v53, v52, 0x7060302
	ds_store_2addr_b32 v54, v64, v64 offset0:12 offset1:48
	ds_store_2addr_b32 v54, v64, v64 offset0:84 offset1:120
	;; [unrolled: 1-line block ×5, first 2 shown]
	ds_load_b128 v[66:69], v63 offset:64
	ds_load_b128 v[70:73], v63 offset:96
	;; [unrolled: 1-line block ×4, first 2 shown]
	s_or_b32 s8, vcc_lo, s8
	s_wait_dscnt 0x3
	v_wmma_f32_16x16x16_bf16 v[8:15], v[32:35], v[66:69], v[8:15]
	v_wmma_f32_16x16x16_bf16 v[0:7], v[44:47], v[66:69], v[0:7]
	s_wait_dscnt 0x2
	s_delay_alu instid0(VALU_DEP_2) | instskip(NEXT) | instid1(VALU_DEP_2)
	v_wmma_f32_16x16x16_bf16 v[8:15], v[28:31], v[70:73], v[8:15]
	v_wmma_f32_16x16x16_bf16 v[0:7], v[40:43], v[70:73], v[0:7]
	s_wait_dscnt 0x1
	s_delay_alu instid0(VALU_DEP_2) | instskip(NEXT) | instid1(VALU_DEP_2)
	;; [unrolled: 4-line block ×3, first 2 shown]
	v_wmma_f32_16x16x16_bf16 v[8:15], v[16:19], v[78:81], v[8:15]
	v_wmma_f32_16x16x16_bf16 v[0:7], v[20:23], v[78:81], v[0:7]
	s_and_not1_b32 exec_lo, exec_lo, s8
	s_cbranch_execz .LBB73_39
.LBB73_24:                              ; =>This Inner Loop Header: Depth=1
	v_add_nc_u32_e32 v22, s31, v61
	v_add_nc_u32_e32 v16, s29, v61
	s_wait_alu 0xfffe
	v_add_co_u32 v20, vcc_lo, v50, s6
	v_add_nc_u32_e32 v18, s30, v61
	s_wait_alu 0xfffd
	v_add_co_ci_u32_e64 v21, null, s7, v51, vcc_lo
	v_ashrrev_i32_e32 v23, 31, v22
	v_ashrrev_i32_e32 v17, 31, v16
	v_add_nc_u32_e32 v24, s33, v61
	v_ashrrev_i32_e32 v19, 31, v18
	s_clause 0x1
	global_load_b32 v38, v[50:51], off
	global_load_b32 v39, v[20:21], off
	v_lshlrev_b64_e32 v[20:21], 2, v[22:23]
	v_add_nc_u32_e32 v22, s34, v61
	v_lshlrev_b64_e32 v[16:17], 2, v[16:17]
	v_add_nc_u32_e32 v26, s35, v61
	v_ashrrev_i32_e32 v25, 31, v24
	v_lshlrev_b64_e32 v[18:19], 2, v[18:19]
	v_add_nc_u32_e32 v28, s36, v61
	v_ashrrev_i32_e32 v23, 31, v22
	v_add_nc_u32_e32 v30, s37, v61
	v_ashrrev_i32_e32 v27, 31, v26
	v_add_co_u32 v16, vcc_lo, s10, v16
	v_lshlrev_b64_e32 v[24:25], 2, v[24:25]
	v_ashrrev_i32_e32 v29, 31, v28
	s_wait_alu 0xfffd
	v_add_co_ci_u32_e64 v17, null, s11, v17, vcc_lo
	v_add_co_u32 v18, vcc_lo, s10, v18
	v_lshlrev_b64_e32 v[22:23], 2, v[22:23]
	v_ashrrev_i32_e32 v31, 31, v30
	s_wait_alu 0xfffd
	v_add_co_ci_u32_e64 v19, null, s11, v19, vcc_lo
	v_add_co_u32 v20, vcc_lo, s10, v20
	v_lshlrev_b64_e32 v[26:27], 2, v[26:27]
	s_wait_alu 0xfffd
	v_add_co_ci_u32_e64 v21, null, s11, v21, vcc_lo
	v_add_co_u32 v24, vcc_lo, s10, v24
	v_lshlrev_b64_e32 v[28:29], 2, v[28:29]
	;; [unrolled: 4-line block ×3, first 2 shown]
	s_wait_alu 0xfffd
	v_add_co_ci_u32_e64 v23, null, s11, v23, vcc_lo
	v_add_co_u32 v26, vcc_lo, s10, v26
	v_add_nc_u32_e32 v32, s38, v61
	s_wait_alu 0xfffd
	v_add_co_ci_u32_e64 v27, null, s11, v27, vcc_lo
	v_add_co_u32 v28, vcc_lo, s10, v28
	v_add_nc_u32_e32 v34, s39, v61
	;; [unrolled: 4-line block ×3, first 2 shown]
	v_ashrrev_i32_e32 v33, 31, v32
	s_wait_alu 0xfffd
	v_add_co_ci_u32_e64 v31, null, s11, v31, vcc_lo
	s_clause 0x7
	global_load_b32 v40, v[16:17], off
	global_load_b32 v41, v[18:19], off
	;; [unrolled: 1-line block ×8, first 2 shown]
	v_add_nc_u32_e32 v18, s41, v61
	v_ashrrev_i32_e32 v35, 31, v34
	v_add_nc_u32_e32 v24, s42, v61
	v_ashrrev_i32_e32 v37, 31, v36
	v_lshlrev_b64_e32 v[32:33], 2, v[32:33]
	v_add_nc_u32_e32 v26, s43, v61
	v_ashrrev_i32_e32 v19, 31, v18
	v_lshlrev_b64_e32 v[16:17], 2, v[34:35]
	;; [unrolled: 3-line block ×3, first 2 shown]
	v_add_nc_u32_e32 v30, s45, v61
	v_ashrrev_i32_e32 v27, 31, v26
	v_add_co_u32 v20, vcc_lo, s10, v32
	v_lshlrev_b64_e32 v[18:19], 2, v[18:19]
	v_ashrrev_i32_e32 v29, 31, v28
	s_wait_alu 0xfffd
	v_add_co_ci_u32_e64 v21, null, s11, v33, vcc_lo
	v_add_co_u32 v16, vcc_lo, s10, v16
	v_lshlrev_b64_e32 v[24:25], 2, v[24:25]
	v_ashrrev_i32_e32 v31, 31, v30
	s_wait_alu 0xfffd
	v_add_co_ci_u32_e64 v17, null, s11, v17, vcc_lo
	v_add_co_u32 v22, vcc_lo, s10, v22
	v_lshlrev_b64_e32 v[26:27], 2, v[26:27]
	s_wait_alu 0xfffd
	v_add_co_ci_u32_e64 v23, null, s11, v23, vcc_lo
	v_add_co_u32 v18, vcc_lo, s10, v18
	v_lshlrev_b64_e32 v[28:29], 2, v[28:29]
	;; [unrolled: 4-line block ×3, first 2 shown]
	s_wait_alu 0xfffd
	v_add_co_ci_u32_e64 v25, null, s11, v25, vcc_lo
	v_add_co_u32 v26, vcc_lo, s10, v26
	v_add_nc_u32_e32 v32, s46, v61
	s_wait_alu 0xfffd
	v_add_co_ci_u32_e64 v27, null, s11, v27, vcc_lo
	v_add_co_u32 v28, vcc_lo, s10, v28
	v_add_nc_u32_e32 v34, s47, v61
	;; [unrolled: 4-line block ×3, first 2 shown]
	v_ashrrev_i32_e32 v33, 31, v32
	s_wait_alu 0xfffd
	v_add_co_ci_u32_e64 v31, null, s11, v31, vcc_lo
	s_clause 0x7
	global_load_b32 v52, v[20:21], off
	global_load_b32 v53, v[16:17], off
	;; [unrolled: 1-line block ×8, first 2 shown]
	v_add_nc_u32_e32 v18, s49, v61
	v_ashrrev_i32_e32 v35, 31, v34
	v_add_nc_u32_e32 v24, s50, v61
	v_ashrrev_i32_e32 v37, 31, v36
	v_lshlrev_b64_e32 v[32:33], 2, v[32:33]
	v_add_nc_u32_e32 v26, s51, v61
	v_ashrrev_i32_e32 v19, 31, v18
	v_lshlrev_b64_e32 v[16:17], 2, v[34:35]
	;; [unrolled: 3-line block ×3, first 2 shown]
	v_add_nc_u32_e32 v30, s53, v61
	v_ashrrev_i32_e32 v27, 31, v26
	v_add_co_u32 v20, vcc_lo, s10, v32
	v_lshlrev_b64_e32 v[18:19], 2, v[18:19]
	v_ashrrev_i32_e32 v29, 31, v28
	s_wait_alu 0xfffd
	v_add_co_ci_u32_e64 v21, null, s11, v33, vcc_lo
	v_add_co_u32 v16, vcc_lo, s10, v16
	v_lshlrev_b64_e32 v[24:25], 2, v[24:25]
	v_ashrrev_i32_e32 v31, 31, v30
	s_wait_alu 0xfffd
	v_add_co_ci_u32_e64 v17, null, s11, v17, vcc_lo
	v_add_co_u32 v22, vcc_lo, s10, v22
	v_lshlrev_b64_e32 v[26:27], 2, v[26:27]
	s_wait_alu 0xfffd
	v_add_co_ci_u32_e64 v23, null, s11, v23, vcc_lo
	v_add_co_u32 v18, vcc_lo, s10, v18
	v_lshlrev_b64_e32 v[28:29], 2, v[28:29]
	;; [unrolled: 4-line block ×3, first 2 shown]
	s_wait_alu 0xfffd
	v_add_co_ci_u32_e64 v25, null, s11, v25, vcc_lo
	v_add_co_u32 v26, vcc_lo, s10, v26
	v_add_nc_u32_e32 v32, s54, v61
	s_wait_alu 0xfffd
	v_add_co_ci_u32_e64 v27, null, s11, v27, vcc_lo
	v_add_co_u32 v28, vcc_lo, s10, v28
	v_add_nc_u32_e32 v34, s55, v61
	;; [unrolled: 4-line block ×3, first 2 shown]
	v_ashrrev_i32_e32 v33, 31, v32
	s_wait_alu 0xfffd
	v_add_co_ci_u32_e64 v31, null, s11, v31, vcc_lo
	s_clause 0x7
	global_load_b32 v71, v[20:21], off
	global_load_b32 v72, v[16:17], off
	;; [unrolled: 1-line block ×8, first 2 shown]
	v_add_nc_u32_e32 v18, s57, v61
	v_ashrrev_i32_e32 v35, 31, v34
	v_add_nc_u32_e32 v24, s58, v61
	v_ashrrev_i32_e32 v37, 31, v36
	v_lshlrev_b64_e32 v[32:33], 2, v[32:33]
	v_add_nc_u32_e32 v26, s59, v61
	v_ashrrev_i32_e32 v19, 31, v18
	v_lshlrev_b64_e32 v[16:17], 2, v[34:35]
	v_ashrrev_i32_e32 v25, 31, v24
	v_lshlrev_b64_e32 v[22:23], 2, v[36:37]
	v_ashrrev_i32_e32 v27, 31, v26
	v_add_co_u32 v20, vcc_lo, s10, v32
	v_lshlrev_b64_e32 v[18:19], 2, v[18:19]
	s_wait_alu 0xfffd
	v_add_co_ci_u32_e64 v21, null, s11, v33, vcc_lo
	v_add_co_u32 v16, vcc_lo, s10, v16
	v_lshlrev_b64_e32 v[24:25], 2, v[24:25]
	s_wait_alu 0xfffd
	v_add_co_ci_u32_e64 v17, null, s11, v17, vcc_lo
	;; [unrolled: 4-line block ×3, first 2 shown]
	v_add_co_u32 v18, vcc_lo, s10, v18
	s_wait_alu 0xfffd
	v_add_co_ci_u32_e64 v19, null, s11, v19, vcc_lo
	v_add_co_u32 v24, vcc_lo, s10, v24
	s_wait_alu 0xfffd
	v_add_co_ci_u32_e64 v25, null, s11, v25, vcc_lo
	;; [unrolled: 3-line block ×3, first 2 shown]
	s_clause 0x5
	global_load_b32 v20, v[20:21], off
	global_load_b32 v21, v[16:17], off
	;; [unrolled: 1-line block ×6, first 2 shown]
	s_and_not1_b32 vcc_lo, exec_lo, s12
	s_wait_loadcnt 0x1f
	ds_store_b32 v62, v38 offset:64
	s_wait_loadcnt 0x1e
	ds_store_b32 v62, v39 offset:208
	;; [unrolled: 2-line block ×16, first 2 shown]
	ds_load_b128 v[32:35], v63 offset:64
	ds_load_b128 v[28:31], v63 offset:96
	;; [unrolled: 1-line block ×4, first 2 shown]
	s_wait_loadcnt 0xf
	ds_store_b32 v62, v69 offset:64
	s_wait_loadcnt 0xe
	ds_store_b32 v62, v70 offset:208
	;; [unrolled: 2-line block ×16, first 2 shown]
	ds_load_b128 v[44:47], v63 offset:64
	ds_load_b128 v[40:43], v63 offset:96
	;; [unrolled: 1-line block ×4, first 2 shown]
	v_dual_mov_b32 v52, 0 :: v_dual_mov_b32 v53, 0
	s_wait_alu 0xfffe
	s_cbranch_vccnz .LBB73_28
; %bb.25:                               ;   in Loop: Header=BB73_24 Depth=1
	ds_load_b32 v52, v65
	s_wait_dscnt 0x0
	v_cmp_gt_i32_e32 vcc_lo, 0, v52
	s_cbranch_vccnz .LBB73_27
; %bb.26:                               ;   in Loop: Header=BB73_24 Depth=1
	v_mad_co_u64_u32 v[52:53], null, v52, s13, v[49:50]
	s_delay_alu instid0(VALU_DEP_1) | instskip(NEXT) | instid1(VALU_DEP_1)
	v_ashrrev_i32_e32 v53, 31, v52
	v_lshlrev_b64_e32 v[52:53], 2, v[52:53]
	s_delay_alu instid0(VALU_DEP_1) | instskip(SKIP_1) | instid1(VALU_DEP_2)
	v_add_co_u32 v52, vcc_lo, s18, v52
	s_wait_alu 0xfffd
	v_add_co_ci_u32_e64 v53, null, s19, v53, vcc_lo
	global_load_b64 v[52:53], v[52:53], off
	s_branch .LBB73_28
.LBB73_27:                              ;   in Loop: Header=BB73_24 Depth=1
	v_dual_mov_b32 v52, 0 :: v_dual_mov_b32 v53, 0
.LBB73_28:                              ;   in Loop: Header=BB73_24 Depth=1
	s_wait_loadcnt 0x0
	s_delay_alu instid0(VALU_DEP_1) | instskip(NEXT) | instid1(VALU_DEP_2)
	v_bfe_u32 v54, v52, 16, 1
	v_bfe_u32 v66, v53, 16, 1
	v_or_b32_e32 v67, 0x400000, v52
	v_cmp_u_f32_e32 vcc_lo, v52, v52
	v_or_b32_e32 v68, 0x400000, v53
	v_add3_u32 v54, v54, v52, 0x7fff
	v_add3_u32 v66, v66, v53, 0x7fff
	v_mov_b32_e32 v52, 0
	s_wait_alu 0xfffd
	s_delay_alu instid0(VALU_DEP_3) | instskip(SKIP_4) | instid1(VALU_DEP_1)
	v_cndmask_b32_e32 v54, v54, v67, vcc_lo
	v_cmp_u_f32_e32 vcc_lo, v53, v53
	s_wait_alu 0xfffd
	v_cndmask_b32_e32 v53, v66, v68, vcc_lo
	s_and_not1_b32 vcc_lo, exec_lo, s20
	v_perm_b32 v66, v53, v54, 0x7060302
	v_dual_mov_b32 v53, 0 :: v_dual_mov_b32 v54, 0
	ds_store_b32 v62, v66 offset:64
	s_wait_alu 0xfffe
	s_cbranch_vccnz .LBB73_32
; %bb.29:                               ;   in Loop: Header=BB73_24 Depth=1
	ds_load_b32 v53, v65 offset:4
	s_wait_dscnt 0x0
	v_cmp_gt_i32_e32 vcc_lo, 0, v53
	s_cbranch_vccnz .LBB73_31
; %bb.30:                               ;   in Loop: Header=BB73_24 Depth=1
	v_mul_lo_u32 v53, v53, s13
	s_delay_alu instid0(VALU_DEP_1) | instskip(NEXT) | instid1(VALU_DEP_1)
	v_add3_u32 v53, v53, s17, v49
	v_ashrrev_i32_e32 v54, 31, v53
	s_delay_alu instid0(VALU_DEP_1) | instskip(NEXT) | instid1(VALU_DEP_1)
	v_lshlrev_b64_e32 v[53:54], 2, v[53:54]
	v_add_co_u32 v53, vcc_lo, s18, v53
	s_wait_alu 0xfffd
	s_delay_alu instid0(VALU_DEP_2)
	v_add_co_ci_u32_e64 v54, null, s19, v54, vcc_lo
	global_load_b64 v[53:54], v[53:54], off
	s_branch .LBB73_32
.LBB73_31:                              ;   in Loop: Header=BB73_24 Depth=1
	v_dual_mov_b32 v53, 0 :: v_dual_mov_b32 v54, 0
.LBB73_32:                              ;   in Loop: Header=BB73_24 Depth=1
	s_wait_loadcnt 0x0
	s_delay_alu instid0(VALU_DEP_1) | instskip(NEXT) | instid1(VALU_DEP_2)
	v_bfe_u32 v66, v53, 16, 1
	v_bfe_u32 v67, v54, 16, 1
	v_or_b32_e32 v68, 0x400000, v53
	v_cmp_u_f32_e32 vcc_lo, v53, v53
	v_or_b32_e32 v69, 0x400000, v54
	v_add3_u32 v66, v66, v53, 0x7fff
	v_add3_u32 v67, v67, v54, 0x7fff
	s_wait_alu 0xfffd
	s_delay_alu instid0(VALU_DEP_2) | instskip(SKIP_4) | instid1(VALU_DEP_1)
	v_cndmask_b32_e32 v53, v66, v68, vcc_lo
	v_cmp_u_f32_e32 vcc_lo, v54, v54
	s_wait_alu 0xfffd
	v_cndmask_b32_e32 v54, v67, v69, vcc_lo
	s_and_not1_b32 vcc_lo, exec_lo, s21
	v_perm_b32 v54, v54, v53, 0x7060302
	v_mov_b32_e32 v53, 0
	ds_store_b32 v62, v54 offset:208
	s_wait_alu 0xfffe
	s_cbranch_vccnz .LBB73_36
; %bb.33:                               ;   in Loop: Header=BB73_24 Depth=1
	ds_load_b32 v52, v65 offset:8
	s_wait_dscnt 0x0
	v_cmp_gt_i32_e32 vcc_lo, 0, v52
	s_cbranch_vccnz .LBB73_35
; %bb.34:                               ;   in Loop: Header=BB73_24 Depth=1
	v_mul_lo_u32 v52, v52, s13
	s_delay_alu instid0(VALU_DEP_1) | instskip(NEXT) | instid1(VALU_DEP_1)
	v_add3_u32 v52, v52, s23, v49
	v_ashrrev_i32_e32 v53, 31, v52
	s_delay_alu instid0(VALU_DEP_1) | instskip(NEXT) | instid1(VALU_DEP_1)
	v_lshlrev_b64_e32 v[52:53], 2, v[52:53]
	v_add_co_u32 v52, vcc_lo, s18, v52
	s_wait_alu 0xfffd
	s_delay_alu instid0(VALU_DEP_2)
	v_add_co_ci_u32_e64 v53, null, s19, v53, vcc_lo
	global_load_b64 v[52:53], v[52:53], off
	s_branch .LBB73_36
.LBB73_35:                              ;   in Loop: Header=BB73_24 Depth=1
	v_dual_mov_b32 v52, 0 :: v_dual_mov_b32 v53, 0
.LBB73_36:                              ;   in Loop: Header=BB73_24 Depth=1
	s_wait_loadcnt 0x0
	s_delay_alu instid0(VALU_DEP_1) | instskip(NEXT) | instid1(VALU_DEP_2)
	v_bfe_u32 v54, v52, 16, 1
	v_bfe_u32 v66, v53, 16, 1
	v_or_b32_e32 v67, 0x400000, v52
	v_cmp_u_f32_e32 vcc_lo, v52, v52
	v_or_b32_e32 v68, 0x400000, v53
	v_add3_u32 v54, v54, v52, 0x7fff
	v_add3_u32 v66, v66, v53, 0x7fff
	s_wait_alu 0xfffd
	s_delay_alu instid0(VALU_DEP_2) | instskip(SKIP_4) | instid1(VALU_DEP_1)
	v_cndmask_b32_e32 v52, v54, v67, vcc_lo
	v_cmp_u_f32_e32 vcc_lo, v53, v53
	s_wait_alu 0xfffd
	v_cndmask_b32_e32 v53, v66, v68, vcc_lo
	s_and_not1_b32 vcc_lo, exec_lo, s28
	v_perm_b32 v54, v53, v52, 0x7060302
	v_dual_mov_b32 v52, 0 :: v_dual_mov_b32 v53, 0
	ds_store_b32 v62, v54 offset:352
	s_wait_alu 0xfffe
	s_cbranch_vccnz .LBB73_23
; %bb.37:                               ;   in Loop: Header=BB73_24 Depth=1
	ds_load_b32 v52, v65 offset:12
	s_wait_dscnt 0x0
	v_cmp_gt_i32_e32 vcc_lo, 0, v52
	s_cbranch_vccz .LBB73_22
; %bb.38:                               ;   in Loop: Header=BB73_24 Depth=1
	v_dual_mov_b32 v52, 0 :: v_dual_mov_b32 v53, 0
	s_branch .LBB73_23
.LBB73_39:
	s_or_b32 exec_lo, exec_lo, s8
.LBB73_40:
	s_delay_alu instid0(SALU_CYCLE_1)
	s_or_b32 exec_lo, exec_lo, s15
	v_lshl_add_u32 v16, v58, 2, 0x100
	v_mul_u32_u24_e32 v17, 0x410, v59
	v_and_b32_e32 v18, 0x7e0, v60
	v_cmp_gt_u32_e32 vcc_lo, 4, v55
	s_wait_loadcnt_dscnt 0x0
	s_barrier_signal -1
	s_barrier_wait -1
	v_add3_u32 v16, v16, v17, v18
	global_inv scope:SCOPE_SE
	ds_store_2addr_b32 v16, v8, v9 offset0:16 offset1:17
	ds_store_2addr_b32 v16, v10, v11 offset0:18 offset1:19
	;; [unrolled: 1-line block ×8, first 2 shown]
	s_wait_loadcnt_dscnt 0x0
	s_barrier_signal -1
	s_barrier_wait -1
	global_inv scope:SCOPE_SE
	s_and_b32 exec_lo, exec_lo, vcc_lo
	s_cbranch_execz .LBB73_43
; %bb.41:
	v_add_nc_u32_e32 v0, v56, v57
	v_or_b32_e32 v1, s26, v55
	ds_load_b32 v0, v0
	v_cmp_gt_i32_e64 s0, s5, v1
	s_wait_dscnt 0x0
	v_cmp_lt_i32_e32 vcc_lo, -1, v0
	s_and_b32 s0, vcc_lo, s0
	s_wait_alu 0xfffe
	s_and_b32 exec_lo, exec_lo, s0
	s_cbranch_execz .LBB73_43
; %bb.42:
	v_lshlrev_b32_e32 v1, 2, v48
	v_mul_u32_u24_e32 v2, 0x410, v55
	v_mul_lo_u32 v0, v0, s14
	s_ashr_i32 s5, s22, 31
	s_mov_b32 s4, s22
	s_ashr_i32 s7, s9, 31
	v_add3_u32 v7, 0x100, v1, v2
	s_mov_b32 s6, s9
	ds_load_2addr_b32 v[1:2], v7 offset0:16 offset1:48
	ds_load_2addr_b32 v[3:4], v7 offset0:80 offset1:112
	;; [unrolled: 1-line block ×3, first 2 shown]
	s_wait_dscnt 0x2
	v_add_f32_e32 v1, 0, v1
	s_delay_alu instid0(VALU_DEP_1) | instskip(SKIP_4) | instid1(VALU_DEP_1)
	v_add_f32_e32 v8, v1, v2
	ds_load_2addr_b32 v[1:2], v7 offset0:208 offset1:240
	v_mul_lo_u32 v7, s9, v55
	s_wait_dscnt 0x2
	v_add_f32_e32 v3, v8, v3
	v_dual_add_f32 v3, v3, v4 :: v_dual_mov_b32 v4, 0
	s_wait_dscnt 0x1
	s_delay_alu instid0(VALU_DEP_1)
	v_add_f32_e32 v3, v3, v5
	v_add_nc_u32_e32 v5, s1, v48
	s_wait_alu 0xfffe
	s_mul_u64 s[0:1], s[4:5], s[24:25]
	s_mul_u64 s[4:5], s[26:27], s[6:7]
	s_wait_alu 0xfffe
	s_lshl_b64 s[0:1], s[0:1], 2
	v_add_f32_e32 v6, v3, v6
	v_add3_u32 v3, v5, v7, v0
	s_lshl_b64 s[4:5], s[4:5], 2
	s_wait_alu 0xfffe
	s_add_nc_u64 s[0:1], s[2:3], s[0:1]
	s_wait_dscnt 0x0
	v_add_f32_e32 v5, v6, v1
	v_lshlrev_b64_e32 v[0:1], 2, v[3:4]
	s_wait_alu 0xfffe
	s_add_nc_u64 s[0:1], s[0:1], s[4:5]
	s_delay_alu instid0(VALU_DEP_2) | instskip(SKIP_1) | instid1(VALU_DEP_2)
	v_add_f32_e32 v2, v5, v2
	s_wait_alu 0xfffe
	v_add_co_u32 v0, vcc_lo, s0, v0
	s_wait_alu 0xfffd
	v_add_co_ci_u32_e64 v1, null, s1, v1, vcc_lo
	global_store_b32 v[0:1], v2, off
.LBB73_43:
	s_endpgm
	.section	.rodata,"a",@progbits
	.p2align	6, 0x0
	.amdhsa_kernel _ZL9mul_mat_fI15__hip_bfloat162Li32ELi4ELi8ELb1EEvPKT_PKfPKiPfiiiiiiiiiiiiiiii
		.amdhsa_group_segment_fixed_size 256
		.amdhsa_private_segment_fixed_size 0
		.amdhsa_kernarg_size 352
		.amdhsa_user_sgpr_count 2
		.amdhsa_user_sgpr_dispatch_ptr 0
		.amdhsa_user_sgpr_queue_ptr 0
		.amdhsa_user_sgpr_kernarg_segment_ptr 1
		.amdhsa_user_sgpr_dispatch_id 0
		.amdhsa_user_sgpr_private_segment_size 0
		.amdhsa_wavefront_size32 1
		.amdhsa_uses_dynamic_stack 0
		.amdhsa_enable_private_segment 0
		.amdhsa_system_sgpr_workgroup_id_x 1
		.amdhsa_system_sgpr_workgroup_id_y 1
		.amdhsa_system_sgpr_workgroup_id_z 1
		.amdhsa_system_sgpr_workgroup_info 0
		.amdhsa_system_vgpr_workitem_id 2
		.amdhsa_next_free_vgpr 82
		.amdhsa_next_free_sgpr 68
		.amdhsa_reserve_vcc 1
		.amdhsa_float_round_mode_32 0
		.amdhsa_float_round_mode_16_64 0
		.amdhsa_float_denorm_mode_32 3
		.amdhsa_float_denorm_mode_16_64 3
		.amdhsa_fp16_overflow 0
		.amdhsa_workgroup_processor_mode 1
		.amdhsa_memory_ordered 1
		.amdhsa_forward_progress 1
		.amdhsa_inst_pref_size 43
		.amdhsa_round_robin_scheduling 0
		.amdhsa_exception_fp_ieee_invalid_op 0
		.amdhsa_exception_fp_denorm_src 0
		.amdhsa_exception_fp_ieee_div_zero 0
		.amdhsa_exception_fp_ieee_overflow 0
		.amdhsa_exception_fp_ieee_underflow 0
		.amdhsa_exception_fp_ieee_inexact 0
		.amdhsa_exception_int_div_zero 0
	.end_amdhsa_kernel
	.section	.text._ZL9mul_mat_fI15__hip_bfloat162Li32ELi4ELi8ELb1EEvPKT_PKfPKiPfiiiiiiiiiiiiiiii,"axG",@progbits,_ZL9mul_mat_fI15__hip_bfloat162Li32ELi4ELi8ELb1EEvPKT_PKfPKiPfiiiiiiiiiiiiiiii,comdat
.Lfunc_end73:
	.size	_ZL9mul_mat_fI15__hip_bfloat162Li32ELi4ELi8ELb1EEvPKT_PKfPKiPfiiiiiiiiiiiiiiii, .Lfunc_end73-_ZL9mul_mat_fI15__hip_bfloat162Li32ELi4ELi8ELb1EEvPKT_PKfPKiPfiiiiiiiiiiiiiiii
                                        ; -- End function
	.set _ZL9mul_mat_fI15__hip_bfloat162Li32ELi4ELi8ELb1EEvPKT_PKfPKiPfiiiiiiiiiiiiiiii.num_vgpr, 82
	.set _ZL9mul_mat_fI15__hip_bfloat162Li32ELi4ELi8ELb1EEvPKT_PKfPKiPfiiiiiiiiiiiiiiii.num_agpr, 0
	.set _ZL9mul_mat_fI15__hip_bfloat162Li32ELi4ELi8ELb1EEvPKT_PKfPKiPfiiiiiiiiiiiiiiii.numbered_sgpr, 68
	.set _ZL9mul_mat_fI15__hip_bfloat162Li32ELi4ELi8ELb1EEvPKT_PKfPKiPfiiiiiiiiiiiiiiii.num_named_barrier, 0
	.set _ZL9mul_mat_fI15__hip_bfloat162Li32ELi4ELi8ELb1EEvPKT_PKfPKiPfiiiiiiiiiiiiiiii.private_seg_size, 0
	.set _ZL9mul_mat_fI15__hip_bfloat162Li32ELi4ELi8ELb1EEvPKT_PKfPKiPfiiiiiiiiiiiiiiii.uses_vcc, 1
	.set _ZL9mul_mat_fI15__hip_bfloat162Li32ELi4ELi8ELb1EEvPKT_PKfPKiPfiiiiiiiiiiiiiiii.uses_flat_scratch, 0
	.set _ZL9mul_mat_fI15__hip_bfloat162Li32ELi4ELi8ELb1EEvPKT_PKfPKiPfiiiiiiiiiiiiiiii.has_dyn_sized_stack, 0
	.set _ZL9mul_mat_fI15__hip_bfloat162Li32ELi4ELi8ELb1EEvPKT_PKfPKiPfiiiiiiiiiiiiiiii.has_recursion, 0
	.set _ZL9mul_mat_fI15__hip_bfloat162Li32ELi4ELi8ELb1EEvPKT_PKfPKiPfiiiiiiiiiiiiiiii.has_indirect_call, 0
	.section	.AMDGPU.csdata,"",@progbits
; Kernel info:
; codeLenInByte = 5420
; TotalNumSgprs: 70
; NumVgprs: 82
; ScratchSize: 0
; MemoryBound: 0
; FloatMode: 240
; IeeeMode: 1
; LDSByteSize: 256 bytes/workgroup (compile time only)
; SGPRBlocks: 0
; VGPRBlocks: 10
; NumSGPRsForWavesPerEU: 70
; NumVGPRsForWavesPerEU: 82
; Occupancy: 16
; WaveLimiterHint : 0
; COMPUTE_PGM_RSRC2:SCRATCH_EN: 0
; COMPUTE_PGM_RSRC2:USER_SGPR: 2
; COMPUTE_PGM_RSRC2:TRAP_HANDLER: 0
; COMPUTE_PGM_RSRC2:TGID_X_EN: 1
; COMPUTE_PGM_RSRC2:TGID_Y_EN: 1
; COMPUTE_PGM_RSRC2:TGID_Z_EN: 1
; COMPUTE_PGM_RSRC2:TIDIG_COMP_CNT: 2
	.section	.text._ZL9mul_mat_fI15__hip_bfloat162Li32ELi4ELi8ELb0EEvPKT_PKfPKiPfiiiiiiiiiiiiiiii,"axG",@progbits,_ZL9mul_mat_fI15__hip_bfloat162Li32ELi4ELi8ELb0EEvPKT_PKfPKiPfiiiiiiiiiiiiiiii,comdat
	.globl	_ZL9mul_mat_fI15__hip_bfloat162Li32ELi4ELi8ELb0EEvPKT_PKfPKiPfiiiiiiiiiiiiiiii ; -- Begin function _ZL9mul_mat_fI15__hip_bfloat162Li32ELi4ELi8ELb0EEvPKT_PKfPKiPfiiiiiiiiiiiiiiii
	.p2align	8
	.type	_ZL9mul_mat_fI15__hip_bfloat162Li32ELi4ELi8ELb0EEvPKT_PKfPKiPfiiiiiiiiiiiiiiii,@function
_ZL9mul_mat_fI15__hip_bfloat162Li32ELi4ELi8ELb0EEvPKT_PKfPKiPfiiiiiiiiiiiiiiii: ; @_ZL9mul_mat_fI15__hip_bfloat162Li32ELi4ELi8ELb0EEvPKT_PKfPKiPfiiiiiiiiiiiiiiii
; %bb.0:
	s_clause 0x1
	s_load_b256 s[4:11], s[0:1], 0x40
	s_load_b32 s21, s[0:1], 0x20
	v_bfe_u32 v37, v0, 10, 10
	v_and_b32_e32 v36, 0x3ff, v0
	s_mov_b32 s15, exec_lo
	s_delay_alu instid0(VALU_DEP_2) | instskip(NEXT) | instid1(VALU_DEP_2)
	v_lshlrev_b32_e32 v39, 5, v37
	v_and_b32_e32 v40, 15, v36
	s_delay_alu instid0(VALU_DEP_2)
	v_add_nc_u32_e32 v41, v39, v36
	s_wait_kmcnt 0x0
	s_abs_i32 s12, s4
	s_abs_i32 s23, s8
	s_cvt_f32_u32 s2, s12
	s_cvt_f32_u32 s3, s23
	s_delay_alu instid0(SALU_CYCLE_2) | instskip(NEXT) | instid1(SALU_CYCLE_2)
	v_rcp_iflag_f32_e32 v0, s2
	v_rcp_iflag_f32_e32 v1, s3
	s_mov_b32 s3, 0
	s_lshr_b32 s2, ttmp7, 16
	s_delay_alu instid0(TRANS32_DEP_2) | instskip(NEXT) | instid1(TRANS32_DEP_1)
	v_readfirstlane_b32 s13, v0
	v_readfirstlane_b32 s14, v1
	v_cmpx_le_i32_e64 s21, v41
	s_xor_b32 s15, exec_lo, s15
; %bb.1:
	v_and_b32_e32 v40, 15, v36
                                        ; implicit-def: $vgpr41
; %bb.2:
	s_or_saveexec_b32 s22, s15
	s_load_b96 s[16:18], s[0:1], 0x2c
	v_dual_mov_b32 v15, 0 :: v_dual_lshlrev_b32 v38, 2, v36
	s_and_b32 s19, ttmp7, 0xffff
	s_lshl_b32 s20, ttmp9, 5
	s_delay_alu instid0(VALU_DEP_1)
	v_dual_mov_b32 v14, v15 :: v_dual_mov_b32 v13, v15
	v_dual_mov_b32 v12, v15 :: v_dual_mov_b32 v11, v15
	;; [unrolled: 1-line block ×7, first 2 shown]
	v_mov_b32_e32 v0, v15
	s_xor_b32 exec_lo, exec_lo, s22
	s_cbranch_execz .LBB74_6
; %bb.3:
	s_mul_f32 s13, s13, 0x4f7ffffe
	s_mul_f32 s14, s14, 0x4f7ffffe
	s_sub_co_i32 s24, 0, s12
	s_sub_co_i32 s25, 0, s23
	s_cvt_u32_f32 s13, s13
	s_cvt_u32_f32 s27, s14
	s_abs_i32 s14, s19
	s_mov_b32 s15, s3
	s_mul_i32 s24, s24, s13
	s_mul_i32 s25, s25, s27
	s_mul_hi_u32 s24, s13, s24
	s_mul_hi_u32 s28, s27, s25
	s_add_co_i32 s24, s13, s24
	s_mov_b32 s25, s3
	s_abs_i32 s26, s2
	s_mul_u64 s[24:25], s[14:15], s[24:25]
	s_ashr_i32 s24, s8, 31
	s_mul_i32 s13, s25, s12
	s_add_co_i32 s28, s27, s28
	s_sub_co_i32 s8, s14, s13
	s_ashr_i32 s4, s4, 31
	s_add_co_i32 s13, s25, 1
	s_sub_co_i32 s14, s8, s12
	s_cmp_ge_u32 s8, s12
	s_mov_b32 s27, s3
	s_cselect_b32 s13, s13, s25
	s_mov_b32 s29, s3
	s_cselect_b32 s8, s14, s8
	s_add_co_i32 s14, s13, 1
	s_mul_u64 s[28:29], s[26:27], s[28:29]
	s_cmp_ge_u32 s8, s12
	s_mul_i32 s12, s29, s23
	s_cselect_b32 s8, s14, s13
	s_sub_co_i32 s25, s26, s12
	s_xor_b32 s8, s8, s4
	s_load_b128 s[12:15], s[0:1], 0x0
	s_sub_co_i32 s26, s8, s4
	s_add_co_i32 s4, s29, 1
	s_sub_co_i32 s8, s25, s23
	s_cmp_ge_u32 s25, s23
	v_mad_u32_u24 v0, 0x900, v37, 0
	s_cselect_b32 s4, s4, s29
	s_cselect_b32 s8, s8, s25
	s_add_co_i32 s25, s4, 1
	s_cmp_ge_u32 s8, s23
	s_mov_b32 s8, s9
	s_cselect_b32 s4, s25, s4
	s_ashr_i32 s9, s9, 31
	s_xor_b32 s4, s4, s24
	v_mul_u32_u24_e32 v1, 0x90, v40
	s_sub_co_i32 s24, s4, s24
	v_and_b32_e32 v2, 0x3f0, v36
	s_ashr_i32 s25, s24, 31
	v_add_nc_u32_e32 v42, v0, v38
	s_mul_u64 s[8:9], s[24:25], s[8:9]
	s_mul_i32 s24, s26, s5
	s_lshl_b64 s[54:55], s[8:9], 2
	s_ashr_i32 s25, s24, 31
	s_wait_kmcnt 0x0
	s_add_nc_u64 s[8:9], s[12:13], s[54:55]
	s_lshl_b64 s[56:57], s[24:25], 2
	s_mul_i32 s24, s16, s20
	v_add3_u32 v43, v0, v1, v2
	s_ashr_i32 s25, s24, 31
	v_dual_mov_b32 v0, 0 :: v_dual_lshlrev_b32 v1, 7, v37
	s_lshl_b64 s[60:61], s[24:25], 2
	s_add_nc_u64 s[8:9], s[8:9], s[56:57]
	s_add_nc_u64 s[56:57], s[56:57], s[60:61]
	s_mov_b32 s4, s10
	s_add_nc_u64 s[54:55], s[56:57], s[54:55]
	s_ashr_i32 s5, s10, 31
	v_add_co_u32 v1, s53, s54, v1
	s_delay_alu instid0(VALU_DEP_1) | instskip(SKIP_2) | instid1(VALU_DEP_3)
	v_add_co_ci_u32_e64 v2, null, s55, 0, s53
	v_dual_mov_b32 v44, 0 :: v_dual_lshlrev_b32 v3, 8, v37
	s_mul_u64 s[4:5], s[4:5], s[2:3]
	v_add_co_u32 v1, vcc_lo, v1, v38
	s_lshl_b64 s[58:59], s[4:5], 2
	v_add_co_ci_u32_e64 v2, null, 0, v2, vcc_lo
	v_add_co_u32 v3, s53, s58, v3
	v_lshlrev_b32_e32 v5, 3, v36
	s_mul_i32 s4, s6, s19
	s_wait_alu 0xf1ff
	v_add_co_ci_u32_e64 v4, null, s59, 0, s53
	v_add_co_u32 v32, vcc_lo, s12, v1
	s_ashr_i32 s5, s4, 31
	s_wait_alu 0xfffd
	v_add_co_ci_u32_e64 v33, null, s13, v2, vcc_lo
	v_add_co_u32 v1, vcc_lo, v3, v5
	s_lshl_b64 s[62:63], s[4:5], 2
	s_wait_alu 0xfffd
	v_add_co_ci_u32_e64 v2, null, 0, v4, vcc_lo
	s_add_nc_u64 s[12:13], s[14:15], s[62:63]
	v_dual_mov_b32 v3, v0 :: v_dual_mov_b32 v4, v0
	s_wait_alu 0xfffe
	v_add_co_u32 v34, vcc_lo, s12, v1
	s_wait_alu 0xfffd
	v_add_co_ci_u32_e64 v35, null, s13, v2, vcc_lo
	v_dual_mov_b32 v1, v0 :: v_dual_mov_b32 v2, v0
	v_dual_mov_b32 v5, v0 :: v_dual_mov_b32 v6, v0
	;; [unrolled: 1-line block ×6, first 2 shown]
	v_mov_b32_e32 v15, v0
	s_add_nc_u64 s[26:27], s[14:15], s[58:59]
	s_ashr_i32 s65, s16, 31
	s_mov_b32 s64, s16
	s_ashr_i32 s67, s17, 31
	s_mov_b32 s66, s17
	s_add_nc_u64 s[4:5], s[8:9], s[60:61]
	s_add_nc_u64 s[8:9], s[26:27], s[62:63]
	s_mov_b32 s6, 0
	s_add_co_i32 s10, s16, s16
	s_add_co_i32 s23, s17, s17
	s_mul_i32 s17, s17, 3
	s_mul_i32 s24, s16, 3
	s_lshl_b32 s25, s16, 2
	s_mul_i32 s26, s16, 5
	s_mul_i32 s27, s16, 6
	;; [unrolled: 1-line block ×3, first 2 shown]
	s_lshl_b32 s29, s16, 3
	s_mul_i32 s30, s16, 9
	s_mul_i32 s31, s16, 10
	;; [unrolled: 1-line block ×7, first 2 shown]
	s_lshl_b32 s38, s16, 4
	s_mul_i32 s39, s16, 17
	s_mul_i32 s40, s16, 18
	;; [unrolled: 1-line block ×15, first 2 shown]
	s_lshl_b64 s[12:13], s[64:65], 2
	s_lshl_b64 s[14:15], s[66:67], 3
.LBB74_4:                               ; =>This Inner Loop Header: Depth=1
	global_load_b32 v16, v[32:33], off
	v_add_nc_u32_e32 v45, s38, v41
	s_delay_alu instid0(VALU_DEP_1) | instskip(NEXT) | instid1(VALU_DEP_1)
	v_ashrrev_i32_e32 v46, 31, v45
	v_lshlrev_b64_e32 v[45:46], 2, v[45:46]
	s_wait_loadcnt 0x0
	ds_store_b32 v42, v16
	s_wait_alu 0xfffe
	v_add_co_u32 v16, vcc_lo, v32, s12
	s_wait_alu 0xfffd
	v_add_co_ci_u32_e64 v17, null, s13, v33, vcc_lo
	global_load_b32 v16, v[16:17], off
	s_wait_loadcnt 0x0
	ds_store_b32 v42, v16 offset:144
	v_add_nc_u32_e32 v16, s10, v41
	s_delay_alu instid0(VALU_DEP_1) | instskip(NEXT) | instid1(VALU_DEP_1)
	v_ashrrev_i32_e32 v17, 31, v16
	v_lshlrev_b64_e32 v[16:17], 2, v[16:17]
	s_delay_alu instid0(VALU_DEP_1) | instskip(SKIP_1) | instid1(VALU_DEP_2)
	v_add_co_u32 v16, vcc_lo, s4, v16
	s_wait_alu 0xfffd
	v_add_co_ci_u32_e64 v17, null, s5, v17, vcc_lo
	global_load_b32 v16, v[16:17], off
	s_wait_loadcnt 0x0
	ds_store_b32 v42, v16 offset:288
	v_add_nc_u32_e32 v16, s24, v41
	s_delay_alu instid0(VALU_DEP_1) | instskip(NEXT) | instid1(VALU_DEP_1)
	v_ashrrev_i32_e32 v17, 31, v16
	v_lshlrev_b64_e32 v[16:17], 2, v[16:17]
	s_delay_alu instid0(VALU_DEP_1) | instskip(SKIP_1) | instid1(VALU_DEP_2)
	;; [unrolled: 11-line block ×14, first 2 shown]
	v_add_co_u32 v16, vcc_lo, s4, v16
	s_wait_alu 0xfffd
	v_add_co_ci_u32_e64 v17, null, s5, v17, vcc_lo
	v_add_co_u32 v45, vcc_lo, s4, v45
	s_wait_alu 0xfffd
	v_add_co_ci_u32_e64 v46, null, s5, v46, vcc_lo
	global_load_b32 v16, v[16:17], off
	s_wait_loadcnt 0x0
	ds_store_b32 v42, v16 offset:2160
	ds_load_b128 v[28:31], v43
	ds_load_b128 v[24:27], v43 offset:32
	ds_load_b128 v[20:23], v43 offset:64
	;; [unrolled: 1-line block ×3, first 2 shown]
	global_load_b32 v45, v[45:46], off
	s_wait_loadcnt 0x0
	ds_store_b32 v42, v45
	v_add_nc_u32_e32 v45, s39, v41
	s_delay_alu instid0(VALU_DEP_1) | instskip(NEXT) | instid1(VALU_DEP_1)
	v_ashrrev_i32_e32 v46, 31, v45
	v_lshlrev_b64_e32 v[45:46], 2, v[45:46]
	s_delay_alu instid0(VALU_DEP_1) | instskip(SKIP_1) | instid1(VALU_DEP_2)
	v_add_co_u32 v45, vcc_lo, s4, v45
	s_wait_alu 0xfffd
	v_add_co_ci_u32_e64 v46, null, s5, v46, vcc_lo
	global_load_b32 v45, v[45:46], off
	s_wait_loadcnt 0x0
	ds_store_b32 v42, v45 offset:144
	v_add_nc_u32_e32 v45, s40, v41
	s_delay_alu instid0(VALU_DEP_1) | instskip(NEXT) | instid1(VALU_DEP_1)
	v_ashrrev_i32_e32 v46, 31, v45
	v_lshlrev_b64_e32 v[45:46], 2, v[45:46]
	s_delay_alu instid0(VALU_DEP_1) | instskip(SKIP_1) | instid1(VALU_DEP_2)
	v_add_co_u32 v45, vcc_lo, s4, v45
	s_wait_alu 0xfffd
	v_add_co_ci_u32_e64 v46, null, s5, v46, vcc_lo
	global_load_b32 v45, v[45:46], off
	s_wait_loadcnt 0x0
	ds_store_b32 v42, v45 offset:288
	;; [unrolled: 11-line block ×15, first 2 shown]
	ds_load_b128 v[45:48], v43
	ds_load_b128 v[49:52], v43 offset:32
	ds_load_b128 v[53:56], v43 offset:64
	;; [unrolled: 1-line block ×3, first 2 shown]
	global_load_b64 v[61:62], v[34:35], off
	s_wait_loadcnt 0x0
	v_bfe_u32 v63, v61, 16, 1
	v_or_b32_e32 v64, 0x400000, v61
	v_cmp_u_f32_e32 vcc_lo, v61, v61
	s_delay_alu instid0(VALU_DEP_3) | instskip(SKIP_1) | instid1(VALU_DEP_1)
	v_add3_u32 v63, v63, v61, 0x7fff
	s_wait_alu 0xfffd
	v_cndmask_b32_e32 v61, v63, v64, vcc_lo
	v_bfe_u32 v63, v62, 16, 1
	v_or_b32_e32 v64, 0x400000, v62
	v_cmp_u_f32_e32 vcc_lo, v62, v62
	s_delay_alu instid0(VALU_DEP_3) | instskip(SKIP_1) | instid1(VALU_DEP_1)
	v_add3_u32 v63, v63, v62, 0x7fff
	s_wait_alu 0xfffd
	v_cndmask_b32_e32 v62, v63, v64, vcc_lo
	s_delay_alu instid0(VALU_DEP_1)
	v_perm_b32 v61, v62, v61, 0x7060302
	ds_store_b32 v42, v61
	v_add_co_u32 v61, vcc_lo, v34, s14
	s_wait_alu 0xfffd
	v_add_co_ci_u32_e64 v62, null, s15, v35, vcc_lo
	global_load_b64 v[61:62], v[61:62], off
	s_wait_loadcnt 0x0
	v_bfe_u32 v63, v61, 16, 1
	v_or_b32_e32 v64, 0x400000, v61
	v_cmp_u_f32_e32 vcc_lo, v61, v61
	s_delay_alu instid0(VALU_DEP_3) | instskip(SKIP_1) | instid1(VALU_DEP_1)
	v_add3_u32 v63, v63, v61, 0x7fff
	s_wait_alu 0xfffd
	v_cndmask_b32_e32 v61, v63, v64, vcc_lo
	v_bfe_u32 v63, v62, 16, 1
	v_or_b32_e32 v64, 0x400000, v62
	v_cmp_u_f32_e32 vcc_lo, v62, v62
	s_delay_alu instid0(VALU_DEP_3) | instskip(SKIP_1) | instid1(VALU_DEP_1)
	v_add3_u32 v63, v63, v62, 0x7fff
	s_wait_alu 0xfffd
	v_cndmask_b32_e32 v62, v63, v64, vcc_lo
	s_delay_alu instid0(VALU_DEP_1) | instskip(SKIP_2) | instid1(VALU_DEP_1)
	v_perm_b32 v61, v62, v61, 0x7060302
	ds_store_b32 v42, v61 offset:144
	v_add_nc_u32_e32 v61, s23, v41
	v_ashrrev_i32_e32 v62, 31, v61
	s_delay_alu instid0(VALU_DEP_1) | instskip(NEXT) | instid1(VALU_DEP_1)
	v_lshlrev_b64_e32 v[61:62], 3, v[61:62]
	v_add_co_u32 v61, vcc_lo, s8, v61
	s_wait_alu 0xfffd
	s_delay_alu instid0(VALU_DEP_2)
	v_add_co_ci_u32_e64 v62, null, s9, v62, vcc_lo
	global_load_b64 v[61:62], v[61:62], off
	s_wait_loadcnt 0x0
	v_bfe_u32 v63, v61, 16, 1
	v_or_b32_e32 v64, 0x400000, v61
	v_cmp_u_f32_e32 vcc_lo, v61, v61
	s_delay_alu instid0(VALU_DEP_3) | instskip(SKIP_1) | instid1(VALU_DEP_1)
	v_add3_u32 v63, v63, v61, 0x7fff
	s_wait_alu 0xfffd
	v_cndmask_b32_e32 v61, v63, v64, vcc_lo
	v_bfe_u32 v63, v62, 16, 1
	v_or_b32_e32 v64, 0x400000, v62
	v_cmp_u_f32_e32 vcc_lo, v62, v62
	s_delay_alu instid0(VALU_DEP_3) | instskip(SKIP_1) | instid1(VALU_DEP_1)
	v_add3_u32 v63, v63, v62, 0x7fff
	s_wait_alu 0xfffd
	v_cndmask_b32_e32 v62, v63, v64, vcc_lo
	s_delay_alu instid0(VALU_DEP_1) | instskip(SKIP_3) | instid1(VALU_DEP_2)
	v_perm_b32 v61, v62, v61, 0x7060302
	ds_store_b32 v42, v61 offset:288
	v_add_nc_u32_e32 v61, s17, v41
	v_add_nc_u32_e32 v41, 0x100, v41
	v_ashrrev_i32_e32 v62, 31, v61
	s_delay_alu instid0(VALU_DEP_1) | instskip(NEXT) | instid1(VALU_DEP_1)
	v_lshlrev_b64_e32 v[61:62], 3, v[61:62]
	v_add_co_u32 v61, vcc_lo, s8, v61
	s_wait_alu 0xfffd
	s_delay_alu instid0(VALU_DEP_2)
	v_add_co_ci_u32_e64 v62, null, s9, v62, vcc_lo
	global_load_b64 v[61:62], v[61:62], off
	s_wait_loadcnt 0x0
	v_bfe_u32 v63, v61, 16, 1
	v_or_b32_e32 v64, 0x400000, v61
	v_cmp_u_f32_e32 vcc_lo, v61, v61
	s_delay_alu instid0(VALU_DEP_3) | instskip(SKIP_1) | instid1(VALU_DEP_1)
	v_add3_u32 v63, v63, v61, 0x7fff
	s_wait_alu 0xfffd
	v_cndmask_b32_e32 v61, v63, v64, vcc_lo
	v_bfe_u32 v63, v62, 16, 1
	v_or_b32_e32 v64, 0x400000, v62
	v_cmp_u_f32_e32 vcc_lo, v62, v62
	s_delay_alu instid0(VALU_DEP_3) | instskip(SKIP_1) | instid1(VALU_DEP_1)
	v_add3_u32 v63, v63, v62, 0x7fff
	s_wait_alu 0xfffd
	v_cndmask_b32_e32 v62, v63, v64, vcc_lo
	v_add_co_u32 v32, vcc_lo, 0x400, v32
	s_wait_alu 0xfffd
	v_add_co_ci_u32_e64 v33, null, 0, v33, vcc_lo
	s_delay_alu instid0(VALU_DEP_3)
	v_perm_b32 v61, v62, v61, 0x7060302
	ds_store_b32 v42, v61 offset:432
	ds_store_b32 v42, v44 offset:576
	;; [unrolled: 1-line block ×13, first 2 shown]
	ds_load_b128 v[61:64], v43
	ds_load_b128 v[65:68], v43 offset:32
	v_add_co_u32 v34, vcc_lo, 0x800, v34
	s_wait_alu 0xfffd
	v_add_co_ci_u32_e64 v35, null, 0, v35, vcc_lo
	v_cmp_le_i32_e32 vcc_lo, s21, v41
	s_or_b32 s6, vcc_lo, s6
	s_wait_dscnt 0x1
	v_wmma_f32_16x16x16_bf16 v[8:15], v[28:31], v[61:64], v[8:15]
	v_wmma_f32_16x16x16_bf16 v[0:7], v[45:48], v[61:64], v[0:7]
	s_wait_dscnt 0x0
	s_delay_alu instid0(VALU_DEP_2)
	v_wmma_f32_16x16x16_bf16 v[8:15], v[24:27], v[65:68], v[8:15]
	ds_load_b128 v[24:27], v43 offset:64
	v_wmma_f32_16x16x16_bf16 v[0:7], v[49:52], v[65:68], v[0:7]
	s_wait_dscnt 0x0
	v_wmma_f32_16x16x16_bf16 v[8:15], v[20:23], v[24:27], v[8:15]
	ds_load_b128 v[20:23], v43 offset:96
	v_wmma_f32_16x16x16_bf16 v[0:7], v[53:56], v[24:27], v[0:7]
	s_wait_dscnt 0x0
	v_wmma_f32_16x16x16_bf16 v[8:15], v[16:19], v[20:23], v[8:15]
	s_delay_alu instid0(VALU_DEP_2)
	v_wmma_f32_16x16x16_bf16 v[0:7], v[57:60], v[20:23], v[0:7]
	s_and_not1_b32 exec_lo, exec_lo, s6
	s_cbranch_execnz .LBB74_4
; %bb.5:
	s_or_b32 exec_lo, exec_lo, s6
.LBB74_6:
	s_delay_alu instid0(SALU_CYCLE_1)
	s_or_b32 exec_lo, exec_lo, s22
	s_load_b64 s[0:1], s[0:1], 0x18
	v_lshlrev_b32_e32 v16, 1, v36
	v_lshl_add_u32 v17, v39, 2, 0
	v_mul_u32_u24_e32 v18, 0x410, v40
	s_barrier_signal -1
	s_delay_alu instid0(VALU_DEP_3)
	v_and_b32_e32 v16, 0x7e0, v16
	s_barrier_wait -1
	global_inv scope:SCOPE_SE
	s_mov_b32 s4, exec_lo
	v_add3_u32 v16, v17, v18, v16
	ds_store_2addr_b32 v16, v8, v9 offset1:1
	ds_store_2addr_b32 v16, v10, v11 offset0:2 offset1:3
	ds_store_2addr_b32 v16, v12, v13 offset0:4 offset1:5
	;; [unrolled: 1-line block ×7, first 2 shown]
	s_wait_loadcnt_dscnt 0x0
	s_barrier_signal -1
	s_barrier_wait -1
	global_inv scope:SCOPE_SE
	v_cmpx_gt_u32_e32 4, v37
	s_cbranch_execz .LBB74_8
; %bb.7:
	v_mul_u32_u24_e32 v0, 0x410, v37
	s_ashr_i32 s5, s11, 31
	s_mov_b32 s4, s11
	s_mul_i32 s6, s7, s19
	s_wait_alu 0xfffe
	s_mul_u64 s[2:3], s[4:5], s[2:3]
	v_add3_u32 v6, 0, v38, v0
	s_ashr_i32 s7, s6, 31
	s_wait_alu 0xfffe
	s_lshl_b64 s[2:3], s[2:3], 2
	s_lshl_b64 s[4:5], s[6:7], 2
	s_wait_kmcnt 0x0
	s_wait_alu 0xfffe
	s_add_nc_u64 s[0:1], s[0:1], s[2:3]
	ds_load_2addr_b32 v[0:1], v6 offset1:32
	ds_load_2addr_b32 v[2:3], v6 offset0:64 offset1:96
	ds_load_2addr_b32 v[4:5], v6 offset0:128 offset1:160
	s_add_nc_u64 s[0:1], s[0:1], s[4:5]
	s_wait_dscnt 0x2
	v_add_f32_e32 v0, 0, v0
	s_delay_alu instid0(VALU_DEP_1) | instskip(SKIP_4) | instid1(VALU_DEP_1)
	v_add_f32_e32 v7, v0, v1
	ds_load_2addr_b32 v[0:1], v6 offset0:192 offset1:224
	v_mul_lo_u32 v6, s18, v37
	s_wait_dscnt 0x2
	v_add_f32_e32 v2, v7, v2
	v_dual_add_f32 v2, v2, v3 :: v_dual_mov_b32 v3, 0
	s_wait_dscnt 0x1
	s_delay_alu instid0(VALU_DEP_1) | instskip(NEXT) | instid1(VALU_DEP_1)
	v_add_f32_e32 v2, v2, v4
	v_add_f32_e32 v4, v2, v5
	v_add3_u32 v2, s20, v36, v6
	s_wait_dscnt 0x0
	s_delay_alu instid0(VALU_DEP_2) | instskip(NEXT) | instid1(VALU_DEP_2)
	v_add_f32_e32 v0, v4, v0
	v_lshlrev_b64_e32 v[2:3], 2, v[2:3]
	s_delay_alu instid0(VALU_DEP_2) | instskip(NEXT) | instid1(VALU_DEP_2)
	v_add_f32_e32 v4, v0, v1
	v_add_co_u32 v0, vcc_lo, s0, v2
	s_wait_alu 0xfffd
	s_delay_alu instid0(VALU_DEP_3)
	v_add_co_ci_u32_e64 v1, null, s1, v3, vcc_lo
	global_store_b32 v[0:1], v4, off
.LBB74_8:
	s_endpgm
	.section	.rodata,"a",@progbits
	.p2align	6, 0x0
	.amdhsa_kernel _ZL9mul_mat_fI15__hip_bfloat162Li32ELi4ELi8ELb0EEvPKT_PKfPKiPfiiiiiiiiiiiiiiii
		.amdhsa_group_segment_fixed_size 0
		.amdhsa_private_segment_fixed_size 0
		.amdhsa_kernarg_size 96
		.amdhsa_user_sgpr_count 2
		.amdhsa_user_sgpr_dispatch_ptr 0
		.amdhsa_user_sgpr_queue_ptr 0
		.amdhsa_user_sgpr_kernarg_segment_ptr 1
		.amdhsa_user_sgpr_dispatch_id 0
		.amdhsa_user_sgpr_private_segment_size 0
		.amdhsa_wavefront_size32 1
		.amdhsa_uses_dynamic_stack 0
		.amdhsa_enable_private_segment 0
		.amdhsa_system_sgpr_workgroup_id_x 1
		.amdhsa_system_sgpr_workgroup_id_y 1
		.amdhsa_system_sgpr_workgroup_id_z 1
		.amdhsa_system_sgpr_workgroup_info 0
		.amdhsa_system_vgpr_workitem_id 1
		.amdhsa_next_free_vgpr 69
		.amdhsa_next_free_sgpr 68
		.amdhsa_reserve_vcc 1
		.amdhsa_float_round_mode_32 0
		.amdhsa_float_round_mode_16_64 0
		.amdhsa_float_denorm_mode_32 3
		.amdhsa_float_denorm_mode_16_64 3
		.amdhsa_fp16_overflow 0
		.amdhsa_workgroup_processor_mode 1
		.amdhsa_memory_ordered 1
		.amdhsa_forward_progress 1
		.amdhsa_inst_pref_size 34
		.amdhsa_round_robin_scheduling 0
		.amdhsa_exception_fp_ieee_invalid_op 0
		.amdhsa_exception_fp_denorm_src 0
		.amdhsa_exception_fp_ieee_div_zero 0
		.amdhsa_exception_fp_ieee_overflow 0
		.amdhsa_exception_fp_ieee_underflow 0
		.amdhsa_exception_fp_ieee_inexact 0
		.amdhsa_exception_int_div_zero 0
	.end_amdhsa_kernel
	.section	.text._ZL9mul_mat_fI15__hip_bfloat162Li32ELi4ELi8ELb0EEvPKT_PKfPKiPfiiiiiiiiiiiiiiii,"axG",@progbits,_ZL9mul_mat_fI15__hip_bfloat162Li32ELi4ELi8ELb0EEvPKT_PKfPKiPfiiiiiiiiiiiiiiii,comdat
.Lfunc_end74:
	.size	_ZL9mul_mat_fI15__hip_bfloat162Li32ELi4ELi8ELb0EEvPKT_PKfPKiPfiiiiiiiiiiiiiiii, .Lfunc_end74-_ZL9mul_mat_fI15__hip_bfloat162Li32ELi4ELi8ELb0EEvPKT_PKfPKiPfiiiiiiiiiiiiiiii
                                        ; -- End function
	.set _ZL9mul_mat_fI15__hip_bfloat162Li32ELi4ELi8ELb0EEvPKT_PKfPKiPfiiiiiiiiiiiiiiii.num_vgpr, 69
	.set _ZL9mul_mat_fI15__hip_bfloat162Li32ELi4ELi8ELb0EEvPKT_PKfPKiPfiiiiiiiiiiiiiiii.num_agpr, 0
	.set _ZL9mul_mat_fI15__hip_bfloat162Li32ELi4ELi8ELb0EEvPKT_PKfPKiPfiiiiiiiiiiiiiiii.numbered_sgpr, 68
	.set _ZL9mul_mat_fI15__hip_bfloat162Li32ELi4ELi8ELb0EEvPKT_PKfPKiPfiiiiiiiiiiiiiiii.num_named_barrier, 0
	.set _ZL9mul_mat_fI15__hip_bfloat162Li32ELi4ELi8ELb0EEvPKT_PKfPKiPfiiiiiiiiiiiiiiii.private_seg_size, 0
	.set _ZL9mul_mat_fI15__hip_bfloat162Li32ELi4ELi8ELb0EEvPKT_PKfPKiPfiiiiiiiiiiiiiiii.uses_vcc, 1
	.set _ZL9mul_mat_fI15__hip_bfloat162Li32ELi4ELi8ELb0EEvPKT_PKfPKiPfiiiiiiiiiiiiiiii.uses_flat_scratch, 0
	.set _ZL9mul_mat_fI15__hip_bfloat162Li32ELi4ELi8ELb0EEvPKT_PKfPKiPfiiiiiiiiiiiiiiii.has_dyn_sized_stack, 0
	.set _ZL9mul_mat_fI15__hip_bfloat162Li32ELi4ELi8ELb0EEvPKT_PKfPKiPfiiiiiiiiiiiiiiii.has_recursion, 0
	.set _ZL9mul_mat_fI15__hip_bfloat162Li32ELi4ELi8ELb0EEvPKT_PKfPKiPfiiiiiiiiiiiiiiii.has_indirect_call, 0
	.section	.AMDGPU.csdata,"",@progbits
; Kernel info:
; codeLenInByte = 4296
; TotalNumSgprs: 70
; NumVgprs: 69
; ScratchSize: 0
; MemoryBound: 0
; FloatMode: 240
; IeeeMode: 1
; LDSByteSize: 0 bytes/workgroup (compile time only)
; SGPRBlocks: 0
; VGPRBlocks: 8
; NumSGPRsForWavesPerEU: 70
; NumVGPRsForWavesPerEU: 69
; Occupancy: 16
; WaveLimiterHint : 0
; COMPUTE_PGM_RSRC2:SCRATCH_EN: 0
; COMPUTE_PGM_RSRC2:USER_SGPR: 2
; COMPUTE_PGM_RSRC2:TRAP_HANDLER: 0
; COMPUTE_PGM_RSRC2:TGID_X_EN: 1
; COMPUTE_PGM_RSRC2:TGID_Y_EN: 1
; COMPUTE_PGM_RSRC2:TGID_Z_EN: 1
; COMPUTE_PGM_RSRC2:TIDIG_COMP_CNT: 1
	.section	.text._ZL13mul_mat_f_idsIfLi64ELi4ELi1EEvPKT_PKfPKiS6_S6_Pfiiiiiiiiiiiiii15HIP_vector_typeIjLj3EES9_,"axG",@progbits,_ZL13mul_mat_f_idsIfLi64ELi4ELi1EEvPKT_PKfPKiS6_S6_Pfiiiiiiiiiiiiii15HIP_vector_typeIjLj3EES9_,comdat
	.globl	_ZL13mul_mat_f_idsIfLi64ELi4ELi1EEvPKT_PKfPKiS6_S6_Pfiiiiiiiiiiiiii15HIP_vector_typeIjLj3EES9_ ; -- Begin function _ZL13mul_mat_f_idsIfLi64ELi4ELi1EEvPKT_PKfPKiS6_S6_Pfiiiiiiiiiiiiii15HIP_vector_typeIjLj3EES9_
	.p2align	8
	.type	_ZL13mul_mat_f_idsIfLi64ELi4ELi1EEvPKT_PKfPKiS6_S6_Pfiiiiiiiiiiiiii15HIP_vector_typeIjLj3EES9_,@function
_ZL13mul_mat_f_idsIfLi64ELi4ELi1EEvPKT_PKfPKiS6_S6_Pfiiiiiiiiiiiiii15HIP_vector_typeIjLj3EES9_: ; @_ZL13mul_mat_f_idsIfLi64ELi4ELi1EEvPKT_PKfPKiS6_S6_Pfiiiiiiiiiiiiii15HIP_vector_typeIjLj3EES9_
; %bb.0:
	s_getpc_b64 s[2:3]
	s_sext_i32_i16 s3, s3
	s_add_co_u32 s2, s2, __FUNCTION__._ZL13mul_mat_f_idsIfLi32ELi4ELi1EEvPKT_PKfPKiS6_S6_Pfiiiiiiiiiiiiii15HIP_vector_typeIjLj3EES9_@rel32@lo+8
	s_add_co_ci_u32 s3, s3, __FUNCTION__._ZL13mul_mat_f_idsIfLi32ELi4ELi1EEvPKT_PKfPKiS6_S6_Pfiiiiiiiiiiiiii15HIP_vector_typeIjLj3EES9_@rel32@hi+16
	v_dual_mov_b32 v0, 0x136 :: v_dual_mov_b32 v1, s2
	v_mov_b32_e32 v2, s3
	s_add_nc_u64 s[8:9], s[0:1], 0x80
	s_getpc_b64 s[0:1]
	s_sext_i32_i16 s1, s1
	s_add_co_u32 s0, s0, _ZL14no_device_codePKciS0_iS0_@rel32@lo+8
	s_add_co_ci_u32 s1, s1, _ZL14no_device_codePKciS0_iS0_@rel32@hi+16
	s_mov_b32 s32, 0
	s_swappc_b64 s[30:31], s[0:1]
	.section	.rodata,"a",@progbits
	.p2align	6, 0x0
	.amdhsa_kernel _ZL13mul_mat_f_idsIfLi64ELi4ELi1EEvPKT_PKfPKiS6_S6_Pfiiiiiiiiiiiiii15HIP_vector_typeIjLj3EES9_
		.amdhsa_group_segment_fixed_size 0
		.amdhsa_private_segment_fixed_size 16
		.amdhsa_kernarg_size 384
		.amdhsa_user_sgpr_count 2
		.amdhsa_user_sgpr_dispatch_ptr 0
		.amdhsa_user_sgpr_queue_ptr 0
		.amdhsa_user_sgpr_kernarg_segment_ptr 1
		.amdhsa_user_sgpr_dispatch_id 0
		.amdhsa_user_sgpr_private_segment_size 0
		.amdhsa_wavefront_size32 1
		.amdhsa_uses_dynamic_stack 0
		.amdhsa_enable_private_segment 1
		.amdhsa_system_sgpr_workgroup_id_x 1
		.amdhsa_system_sgpr_workgroup_id_y 0
		.amdhsa_system_sgpr_workgroup_id_z 0
		.amdhsa_system_sgpr_workgroup_info 0
		.amdhsa_system_vgpr_workitem_id 0
		.amdhsa_next_free_vgpr 38
		.amdhsa_next_free_sgpr 34
		.amdhsa_reserve_vcc 1
		.amdhsa_float_round_mode_32 0
		.amdhsa_float_round_mode_16_64 0
		.amdhsa_float_denorm_mode_32 3
		.amdhsa_float_denorm_mode_16_64 3
		.amdhsa_fp16_overflow 0
		.amdhsa_workgroup_processor_mode 1
		.amdhsa_memory_ordered 1
		.amdhsa_forward_progress 1
		.amdhsa_inst_pref_size 1
		.amdhsa_round_robin_scheduling 0
		.amdhsa_exception_fp_ieee_invalid_op 0
		.amdhsa_exception_fp_denorm_src 0
		.amdhsa_exception_fp_ieee_div_zero 0
		.amdhsa_exception_fp_ieee_overflow 0
		.amdhsa_exception_fp_ieee_underflow 0
		.amdhsa_exception_fp_ieee_inexact 0
		.amdhsa_exception_int_div_zero 0
	.end_amdhsa_kernel
	.section	.text._ZL13mul_mat_f_idsIfLi64ELi4ELi1EEvPKT_PKfPKiS6_S6_Pfiiiiiiiiiiiiii15HIP_vector_typeIjLj3EES9_,"axG",@progbits,_ZL13mul_mat_f_idsIfLi64ELi4ELi1EEvPKT_PKfPKiS6_S6_Pfiiiiiiiiiiiiii15HIP_vector_typeIjLj3EES9_,comdat
.Lfunc_end75:
	.size	_ZL13mul_mat_f_idsIfLi64ELi4ELi1EEvPKT_PKfPKiS6_S6_Pfiiiiiiiiiiiiii15HIP_vector_typeIjLj3EES9_, .Lfunc_end75-_ZL13mul_mat_f_idsIfLi64ELi4ELi1EEvPKT_PKfPKiS6_S6_Pfiiiiiiiiiiiiii15HIP_vector_typeIjLj3EES9_
                                        ; -- End function
	.set _ZL13mul_mat_f_idsIfLi64ELi4ELi1EEvPKT_PKfPKiS6_S6_Pfiiiiiiiiiiiiii15HIP_vector_typeIjLj3EES9_.num_vgpr, max(3, .L_ZL14no_device_codePKciS0_iS0_.num_vgpr)
	.set _ZL13mul_mat_f_idsIfLi64ELi4ELi1EEvPKT_PKfPKiS6_S6_Pfiiiiiiiiiiiiii15HIP_vector_typeIjLj3EES9_.num_agpr, max(0, .L_ZL14no_device_codePKciS0_iS0_.num_agpr)
	.set _ZL13mul_mat_f_idsIfLi64ELi4ELi1EEvPKT_PKfPKiS6_S6_Pfiiiiiiiiiiiiii15HIP_vector_typeIjLj3EES9_.numbered_sgpr, max(33, .L_ZL14no_device_codePKciS0_iS0_.numbered_sgpr)
	.set _ZL13mul_mat_f_idsIfLi64ELi4ELi1EEvPKT_PKfPKiS6_S6_Pfiiiiiiiiiiiiii15HIP_vector_typeIjLj3EES9_.num_named_barrier, max(0, .L_ZL14no_device_codePKciS0_iS0_.num_named_barrier)
	.set _ZL13mul_mat_f_idsIfLi64ELi4ELi1EEvPKT_PKfPKiS6_S6_Pfiiiiiiiiiiiiii15HIP_vector_typeIjLj3EES9_.private_seg_size, 0+max(.L_ZL14no_device_codePKciS0_iS0_.private_seg_size)
	.set _ZL13mul_mat_f_idsIfLi64ELi4ELi1EEvPKT_PKfPKiS6_S6_Pfiiiiiiiiiiiiii15HIP_vector_typeIjLj3EES9_.uses_vcc, or(1, .L_ZL14no_device_codePKciS0_iS0_.uses_vcc)
	.set _ZL13mul_mat_f_idsIfLi64ELi4ELi1EEvPKT_PKfPKiS6_S6_Pfiiiiiiiiiiiiii15HIP_vector_typeIjLj3EES9_.uses_flat_scratch, or(0, .L_ZL14no_device_codePKciS0_iS0_.uses_flat_scratch)
	.set _ZL13mul_mat_f_idsIfLi64ELi4ELi1EEvPKT_PKfPKiS6_S6_Pfiiiiiiiiiiiiii15HIP_vector_typeIjLj3EES9_.has_dyn_sized_stack, or(0, .L_ZL14no_device_codePKciS0_iS0_.has_dyn_sized_stack)
	.set _ZL13mul_mat_f_idsIfLi64ELi4ELi1EEvPKT_PKfPKiS6_S6_Pfiiiiiiiiiiiiii15HIP_vector_typeIjLj3EES9_.has_recursion, or(0, .L_ZL14no_device_codePKciS0_iS0_.has_recursion)
	.set _ZL13mul_mat_f_idsIfLi64ELi4ELi1EEvPKT_PKfPKiS6_S6_Pfiiiiiiiiiiiiii15HIP_vector_typeIjLj3EES9_.has_indirect_call, or(0, .L_ZL14no_device_codePKciS0_iS0_.has_indirect_call)
	.section	.AMDGPU.csdata,"",@progbits
; Kernel info:
; codeLenInByte = 80
; TotalNumSgprs: 36
; NumVgprs: 38
; ScratchSize: 16
; MemoryBound: 0
; FloatMode: 240
; IeeeMode: 1
; LDSByteSize: 0 bytes/workgroup (compile time only)
; SGPRBlocks: 0
; VGPRBlocks: 4
; NumSGPRsForWavesPerEU: 36
; NumVGPRsForWavesPerEU: 38
; Occupancy: 16
; WaveLimiterHint : 1
; COMPUTE_PGM_RSRC2:SCRATCH_EN: 1
; COMPUTE_PGM_RSRC2:USER_SGPR: 2
; COMPUTE_PGM_RSRC2:TRAP_HANDLER: 0
; COMPUTE_PGM_RSRC2:TGID_X_EN: 1
; COMPUTE_PGM_RSRC2:TGID_Y_EN: 0
; COMPUTE_PGM_RSRC2:TGID_Z_EN: 0
; COMPUTE_PGM_RSRC2:TIDIG_COMP_CNT: 0
	.section	.text._ZL9mul_mat_fIfLi64ELi4ELi1ELb1EEvPKT_PKfPKiPfiiiiiiiiiiiiiiii,"axG",@progbits,_ZL9mul_mat_fIfLi64ELi4ELi1ELb1EEvPKT_PKfPKiPfiiiiiiiiiiiiiiii,comdat
	.globl	_ZL9mul_mat_fIfLi64ELi4ELi1ELb1EEvPKT_PKfPKiPfiiiiiiiiiiiiiiii ; -- Begin function _ZL9mul_mat_fIfLi64ELi4ELi1ELb1EEvPKT_PKfPKiPfiiiiiiiiiiiiiiii
	.p2align	8
	.type	_ZL9mul_mat_fIfLi64ELi4ELi1ELb1EEvPKT_PKfPKiPfiiiiiiiiiiiiiiii,@function
_ZL9mul_mat_fIfLi64ELi4ELi1ELb1EEvPKT_PKfPKiPfiiiiiiiiiiiiiiii: ; @_ZL9mul_mat_fIfLi64ELi4ELi1ELb1EEvPKT_PKfPKiPfiiiiiiiiiiiiiiii
; %bb.0:
	s_getpc_b64 s[2:3]
	s_sext_i32_i16 s3, s3
	s_add_co_u32 s2, s2, __FUNCTION__._ZL9mul_mat_fIfLi32ELi4ELi1ELb1EEvPKT_PKfPKiPfiiiiiiiiiiiiiiii@rel32@lo+8
	s_add_co_ci_u32 s3, s3, __FUNCTION__._ZL9mul_mat_fIfLi32ELi4ELi1ELb1EEvPKT_PKfPKiPfiiiiiiiiiiiiiiii@rel32@hi+16
	v_dual_mov_b32 v0, 59 :: v_dual_mov_b32 v1, s2
	v_mov_b32_e32 v2, s3
	s_add_nc_u64 s[8:9], s[0:1], 0x60
	s_getpc_b64 s[0:1]
	s_sext_i32_i16 s1, s1
	s_add_co_u32 s0, s0, _ZL14no_device_codePKciS0_iS0_@rel32@lo+8
	s_add_co_ci_u32 s1, s1, _ZL14no_device_codePKciS0_iS0_@rel32@hi+16
	s_mov_b32 s32, 0
	s_swappc_b64 s[30:31], s[0:1]
	.section	.rodata,"a",@progbits
	.p2align	6, 0x0
	.amdhsa_kernel _ZL9mul_mat_fIfLi64ELi4ELi1ELb1EEvPKT_PKfPKiPfiiiiiiiiiiiiiiii
		.amdhsa_group_segment_fixed_size 0
		.amdhsa_private_segment_fixed_size 16
		.amdhsa_kernarg_size 352
		.amdhsa_user_sgpr_count 2
		.amdhsa_user_sgpr_dispatch_ptr 0
		.amdhsa_user_sgpr_queue_ptr 0
		.amdhsa_user_sgpr_kernarg_segment_ptr 1
		.amdhsa_user_sgpr_dispatch_id 0
		.amdhsa_user_sgpr_private_segment_size 0
		.amdhsa_wavefront_size32 1
		.amdhsa_uses_dynamic_stack 0
		.amdhsa_enable_private_segment 1
		.amdhsa_system_sgpr_workgroup_id_x 1
		.amdhsa_system_sgpr_workgroup_id_y 0
		.amdhsa_system_sgpr_workgroup_id_z 0
		.amdhsa_system_sgpr_workgroup_info 0
		.amdhsa_system_vgpr_workitem_id 0
		.amdhsa_next_free_vgpr 38
		.amdhsa_next_free_sgpr 34
		.amdhsa_reserve_vcc 1
		.amdhsa_float_round_mode_32 0
		.amdhsa_float_round_mode_16_64 0
		.amdhsa_float_denorm_mode_32 3
		.amdhsa_float_denorm_mode_16_64 3
		.amdhsa_fp16_overflow 0
		.amdhsa_workgroup_processor_mode 1
		.amdhsa_memory_ordered 1
		.amdhsa_forward_progress 1
		.amdhsa_inst_pref_size 1
		.amdhsa_round_robin_scheduling 0
		.amdhsa_exception_fp_ieee_invalid_op 0
		.amdhsa_exception_fp_denorm_src 0
		.amdhsa_exception_fp_ieee_div_zero 0
		.amdhsa_exception_fp_ieee_overflow 0
		.amdhsa_exception_fp_ieee_underflow 0
		.amdhsa_exception_fp_ieee_inexact 0
		.amdhsa_exception_int_div_zero 0
	.end_amdhsa_kernel
	.section	.text._ZL9mul_mat_fIfLi64ELi4ELi1ELb1EEvPKT_PKfPKiPfiiiiiiiiiiiiiiii,"axG",@progbits,_ZL9mul_mat_fIfLi64ELi4ELi1ELb1EEvPKT_PKfPKiPfiiiiiiiiiiiiiiii,comdat
.Lfunc_end76:
	.size	_ZL9mul_mat_fIfLi64ELi4ELi1ELb1EEvPKT_PKfPKiPfiiiiiiiiiiiiiiii, .Lfunc_end76-_ZL9mul_mat_fIfLi64ELi4ELi1ELb1EEvPKT_PKfPKiPfiiiiiiiiiiiiiiii
                                        ; -- End function
	.set _ZL9mul_mat_fIfLi64ELi4ELi1ELb1EEvPKT_PKfPKiPfiiiiiiiiiiiiiiii.num_vgpr, max(3, .L_ZL14no_device_codePKciS0_iS0_.num_vgpr)
	.set _ZL9mul_mat_fIfLi64ELi4ELi1ELb1EEvPKT_PKfPKiPfiiiiiiiiiiiiiiii.num_agpr, max(0, .L_ZL14no_device_codePKciS0_iS0_.num_agpr)
	.set _ZL9mul_mat_fIfLi64ELi4ELi1ELb1EEvPKT_PKfPKiPfiiiiiiiiiiiiiiii.numbered_sgpr, max(33, .L_ZL14no_device_codePKciS0_iS0_.numbered_sgpr)
	.set _ZL9mul_mat_fIfLi64ELi4ELi1ELb1EEvPKT_PKfPKiPfiiiiiiiiiiiiiiii.num_named_barrier, max(0, .L_ZL14no_device_codePKciS0_iS0_.num_named_barrier)
	.set _ZL9mul_mat_fIfLi64ELi4ELi1ELb1EEvPKT_PKfPKiPfiiiiiiiiiiiiiiii.private_seg_size, 0+max(.L_ZL14no_device_codePKciS0_iS0_.private_seg_size)
	.set _ZL9mul_mat_fIfLi64ELi4ELi1ELb1EEvPKT_PKfPKiPfiiiiiiiiiiiiiiii.uses_vcc, or(1, .L_ZL14no_device_codePKciS0_iS0_.uses_vcc)
	.set _ZL9mul_mat_fIfLi64ELi4ELi1ELb1EEvPKT_PKfPKiPfiiiiiiiiiiiiiiii.uses_flat_scratch, or(0, .L_ZL14no_device_codePKciS0_iS0_.uses_flat_scratch)
	.set _ZL9mul_mat_fIfLi64ELi4ELi1ELb1EEvPKT_PKfPKiPfiiiiiiiiiiiiiiii.has_dyn_sized_stack, or(0, .L_ZL14no_device_codePKciS0_iS0_.has_dyn_sized_stack)
	.set _ZL9mul_mat_fIfLi64ELi4ELi1ELb1EEvPKT_PKfPKiPfiiiiiiiiiiiiiiii.has_recursion, or(0, .L_ZL14no_device_codePKciS0_iS0_.has_recursion)
	.set _ZL9mul_mat_fIfLi64ELi4ELi1ELb1EEvPKT_PKfPKiPfiiiiiiiiiiiiiiii.has_indirect_call, or(0, .L_ZL14no_device_codePKciS0_iS0_.has_indirect_call)
	.section	.AMDGPU.csdata,"",@progbits
; Kernel info:
; codeLenInByte = 76
; TotalNumSgprs: 36
; NumVgprs: 38
; ScratchSize: 16
; MemoryBound: 0
; FloatMode: 240
; IeeeMode: 1
; LDSByteSize: 0 bytes/workgroup (compile time only)
; SGPRBlocks: 0
; VGPRBlocks: 4
; NumSGPRsForWavesPerEU: 36
; NumVGPRsForWavesPerEU: 38
; Occupancy: 16
; WaveLimiterHint : 1
; COMPUTE_PGM_RSRC2:SCRATCH_EN: 1
; COMPUTE_PGM_RSRC2:USER_SGPR: 2
; COMPUTE_PGM_RSRC2:TRAP_HANDLER: 0
; COMPUTE_PGM_RSRC2:TGID_X_EN: 1
; COMPUTE_PGM_RSRC2:TGID_Y_EN: 0
; COMPUTE_PGM_RSRC2:TGID_Z_EN: 0
; COMPUTE_PGM_RSRC2:TIDIG_COMP_CNT: 0
	.section	.text._ZL9mul_mat_fIfLi64ELi4ELi1ELb0EEvPKT_PKfPKiPfiiiiiiiiiiiiiiii,"axG",@progbits,_ZL9mul_mat_fIfLi64ELi4ELi1ELb0EEvPKT_PKfPKiPfiiiiiiiiiiiiiiii,comdat
	.globl	_ZL9mul_mat_fIfLi64ELi4ELi1ELb0EEvPKT_PKfPKiPfiiiiiiiiiiiiiiii ; -- Begin function _ZL9mul_mat_fIfLi64ELi4ELi1ELb0EEvPKT_PKfPKiPfiiiiiiiiiiiiiiii
	.p2align	8
	.type	_ZL9mul_mat_fIfLi64ELi4ELi1ELb0EEvPKT_PKfPKiPfiiiiiiiiiiiiiiii,@function
_ZL9mul_mat_fIfLi64ELi4ELi1ELb0EEvPKT_PKfPKiPfiiiiiiiiiiiiiiii: ; @_ZL9mul_mat_fIfLi64ELi4ELi1ELb0EEvPKT_PKfPKiPfiiiiiiiiiiiiiiii
; %bb.0:
	s_getpc_b64 s[2:3]
	s_sext_i32_i16 s3, s3
	s_add_co_u32 s2, s2, __FUNCTION__._ZL9mul_mat_fIfLi32ELi4ELi1ELb1EEvPKT_PKfPKiPfiiiiiiiiiiiiiiii@rel32@lo+8
	s_add_co_ci_u32 s3, s3, __FUNCTION__._ZL9mul_mat_fIfLi32ELi4ELi1ELb1EEvPKT_PKfPKiPfiiiiiiiiiiiiiiii@rel32@hi+16
	v_dual_mov_b32 v0, 59 :: v_dual_mov_b32 v1, s2
	v_mov_b32_e32 v2, s3
	s_add_nc_u64 s[8:9], s[0:1], 0x60
	s_getpc_b64 s[0:1]
	s_sext_i32_i16 s1, s1
	s_add_co_u32 s0, s0, _ZL14no_device_codePKciS0_iS0_@rel32@lo+8
	s_add_co_ci_u32 s1, s1, _ZL14no_device_codePKciS0_iS0_@rel32@hi+16
	s_mov_b32 s32, 0
	s_swappc_b64 s[30:31], s[0:1]
	.section	.rodata,"a",@progbits
	.p2align	6, 0x0
	.amdhsa_kernel _ZL9mul_mat_fIfLi64ELi4ELi1ELb0EEvPKT_PKfPKiPfiiiiiiiiiiiiiiii
		.amdhsa_group_segment_fixed_size 0
		.amdhsa_private_segment_fixed_size 16
		.amdhsa_kernarg_size 352
		.amdhsa_user_sgpr_count 2
		.amdhsa_user_sgpr_dispatch_ptr 0
		.amdhsa_user_sgpr_queue_ptr 0
		.amdhsa_user_sgpr_kernarg_segment_ptr 1
		.amdhsa_user_sgpr_dispatch_id 0
		.amdhsa_user_sgpr_private_segment_size 0
		.amdhsa_wavefront_size32 1
		.amdhsa_uses_dynamic_stack 0
		.amdhsa_enable_private_segment 1
		.amdhsa_system_sgpr_workgroup_id_x 1
		.amdhsa_system_sgpr_workgroup_id_y 0
		.amdhsa_system_sgpr_workgroup_id_z 0
		.amdhsa_system_sgpr_workgroup_info 0
		.amdhsa_system_vgpr_workitem_id 0
		.amdhsa_next_free_vgpr 38
		.amdhsa_next_free_sgpr 34
		.amdhsa_reserve_vcc 1
		.amdhsa_float_round_mode_32 0
		.amdhsa_float_round_mode_16_64 0
		.amdhsa_float_denorm_mode_32 3
		.amdhsa_float_denorm_mode_16_64 3
		.amdhsa_fp16_overflow 0
		.amdhsa_workgroup_processor_mode 1
		.amdhsa_memory_ordered 1
		.amdhsa_forward_progress 1
		.amdhsa_inst_pref_size 1
		.amdhsa_round_robin_scheduling 0
		.amdhsa_exception_fp_ieee_invalid_op 0
		.amdhsa_exception_fp_denorm_src 0
		.amdhsa_exception_fp_ieee_div_zero 0
		.amdhsa_exception_fp_ieee_overflow 0
		.amdhsa_exception_fp_ieee_underflow 0
		.amdhsa_exception_fp_ieee_inexact 0
		.amdhsa_exception_int_div_zero 0
	.end_amdhsa_kernel
	.section	.text._ZL9mul_mat_fIfLi64ELi4ELi1ELb0EEvPKT_PKfPKiPfiiiiiiiiiiiiiiii,"axG",@progbits,_ZL9mul_mat_fIfLi64ELi4ELi1ELb0EEvPKT_PKfPKiPfiiiiiiiiiiiiiiii,comdat
.Lfunc_end77:
	.size	_ZL9mul_mat_fIfLi64ELi4ELi1ELb0EEvPKT_PKfPKiPfiiiiiiiiiiiiiiii, .Lfunc_end77-_ZL9mul_mat_fIfLi64ELi4ELi1ELb0EEvPKT_PKfPKiPfiiiiiiiiiiiiiiii
                                        ; -- End function
	.set _ZL9mul_mat_fIfLi64ELi4ELi1ELb0EEvPKT_PKfPKiPfiiiiiiiiiiiiiiii.num_vgpr, max(3, .L_ZL14no_device_codePKciS0_iS0_.num_vgpr)
	.set _ZL9mul_mat_fIfLi64ELi4ELi1ELb0EEvPKT_PKfPKiPfiiiiiiiiiiiiiiii.num_agpr, max(0, .L_ZL14no_device_codePKciS0_iS0_.num_agpr)
	.set _ZL9mul_mat_fIfLi64ELi4ELi1ELb0EEvPKT_PKfPKiPfiiiiiiiiiiiiiiii.numbered_sgpr, max(33, .L_ZL14no_device_codePKciS0_iS0_.numbered_sgpr)
	.set _ZL9mul_mat_fIfLi64ELi4ELi1ELb0EEvPKT_PKfPKiPfiiiiiiiiiiiiiiii.num_named_barrier, max(0, .L_ZL14no_device_codePKciS0_iS0_.num_named_barrier)
	.set _ZL9mul_mat_fIfLi64ELi4ELi1ELb0EEvPKT_PKfPKiPfiiiiiiiiiiiiiiii.private_seg_size, 0+max(.L_ZL14no_device_codePKciS0_iS0_.private_seg_size)
	.set _ZL9mul_mat_fIfLi64ELi4ELi1ELb0EEvPKT_PKfPKiPfiiiiiiiiiiiiiiii.uses_vcc, or(1, .L_ZL14no_device_codePKciS0_iS0_.uses_vcc)
	.set _ZL9mul_mat_fIfLi64ELi4ELi1ELb0EEvPKT_PKfPKiPfiiiiiiiiiiiiiiii.uses_flat_scratch, or(0, .L_ZL14no_device_codePKciS0_iS0_.uses_flat_scratch)
	.set _ZL9mul_mat_fIfLi64ELi4ELi1ELb0EEvPKT_PKfPKiPfiiiiiiiiiiiiiiii.has_dyn_sized_stack, or(0, .L_ZL14no_device_codePKciS0_iS0_.has_dyn_sized_stack)
	.set _ZL9mul_mat_fIfLi64ELi4ELi1ELb0EEvPKT_PKfPKiPfiiiiiiiiiiiiiiii.has_recursion, or(0, .L_ZL14no_device_codePKciS0_iS0_.has_recursion)
	.set _ZL9mul_mat_fIfLi64ELi4ELi1ELb0EEvPKT_PKfPKiPfiiiiiiiiiiiiiiii.has_indirect_call, or(0, .L_ZL14no_device_codePKciS0_iS0_.has_indirect_call)
	.section	.AMDGPU.csdata,"",@progbits
; Kernel info:
; codeLenInByte = 76
; TotalNumSgprs: 36
; NumVgprs: 38
; ScratchSize: 16
; MemoryBound: 0
; FloatMode: 240
; IeeeMode: 1
; LDSByteSize: 0 bytes/workgroup (compile time only)
; SGPRBlocks: 0
; VGPRBlocks: 4
; NumSGPRsForWavesPerEU: 36
; NumVGPRsForWavesPerEU: 38
; Occupancy: 16
; WaveLimiterHint : 1
; COMPUTE_PGM_RSRC2:SCRATCH_EN: 1
; COMPUTE_PGM_RSRC2:USER_SGPR: 2
; COMPUTE_PGM_RSRC2:TRAP_HANDLER: 0
; COMPUTE_PGM_RSRC2:TGID_X_EN: 1
; COMPUTE_PGM_RSRC2:TGID_Y_EN: 0
; COMPUTE_PGM_RSRC2:TGID_Z_EN: 0
; COMPUTE_PGM_RSRC2:TIDIG_COMP_CNT: 0
	.section	.text._ZL13mul_mat_f_idsIfLi64ELi4ELi2EEvPKT_PKfPKiS6_S6_Pfiiiiiiiiiiiiii15HIP_vector_typeIjLj3EES9_,"axG",@progbits,_ZL13mul_mat_f_idsIfLi64ELi4ELi2EEvPKT_PKfPKiS6_S6_Pfiiiiiiiiiiiiii15HIP_vector_typeIjLj3EES9_,comdat
	.globl	_ZL13mul_mat_f_idsIfLi64ELi4ELi2EEvPKT_PKfPKiS6_S6_Pfiiiiiiiiiiiiii15HIP_vector_typeIjLj3EES9_ ; -- Begin function _ZL13mul_mat_f_idsIfLi64ELi4ELi2EEvPKT_PKfPKiS6_S6_Pfiiiiiiiiiiiiii15HIP_vector_typeIjLj3EES9_
	.p2align	8
	.type	_ZL13mul_mat_f_idsIfLi64ELi4ELi2EEvPKT_PKfPKiS6_S6_Pfiiiiiiiiiiiiii15HIP_vector_typeIjLj3EES9_,@function
_ZL13mul_mat_f_idsIfLi64ELi4ELi2EEvPKT_PKfPKiS6_S6_Pfiiiiiiiiiiiiii15HIP_vector_typeIjLj3EES9_: ; @_ZL13mul_mat_f_idsIfLi64ELi4ELi2EEvPKT_PKfPKiS6_S6_Pfiiiiiiiiiiiiii15HIP_vector_typeIjLj3EES9_
; %bb.0:
	s_getpc_b64 s[2:3]
	s_sext_i32_i16 s3, s3
	s_add_co_u32 s2, s2, __FUNCTION__._ZL13mul_mat_f_idsIfLi32ELi4ELi1EEvPKT_PKfPKiS6_S6_Pfiiiiiiiiiiiiii15HIP_vector_typeIjLj3EES9_@rel32@lo+8
	s_add_co_ci_u32 s3, s3, __FUNCTION__._ZL13mul_mat_f_idsIfLi32ELi4ELi1EEvPKT_PKfPKiS6_S6_Pfiiiiiiiiiiiiii15HIP_vector_typeIjLj3EES9_@rel32@hi+16
	v_dual_mov_b32 v0, 0x136 :: v_dual_mov_b32 v1, s2
	v_mov_b32_e32 v2, s3
	s_add_nc_u64 s[8:9], s[0:1], 0x80
	s_getpc_b64 s[0:1]
	s_sext_i32_i16 s1, s1
	s_add_co_u32 s0, s0, _ZL14no_device_codePKciS0_iS0_@rel32@lo+8
	s_add_co_ci_u32 s1, s1, _ZL14no_device_codePKciS0_iS0_@rel32@hi+16
	s_mov_b32 s32, 0
	s_swappc_b64 s[30:31], s[0:1]
	.section	.rodata,"a",@progbits
	.p2align	6, 0x0
	.amdhsa_kernel _ZL13mul_mat_f_idsIfLi64ELi4ELi2EEvPKT_PKfPKiS6_S6_Pfiiiiiiiiiiiiii15HIP_vector_typeIjLj3EES9_
		.amdhsa_group_segment_fixed_size 0
		.amdhsa_private_segment_fixed_size 16
		.amdhsa_kernarg_size 384
		.amdhsa_user_sgpr_count 2
		.amdhsa_user_sgpr_dispatch_ptr 0
		.amdhsa_user_sgpr_queue_ptr 0
		.amdhsa_user_sgpr_kernarg_segment_ptr 1
		.amdhsa_user_sgpr_dispatch_id 0
		.amdhsa_user_sgpr_private_segment_size 0
		.amdhsa_wavefront_size32 1
		.amdhsa_uses_dynamic_stack 0
		.amdhsa_enable_private_segment 1
		.amdhsa_system_sgpr_workgroup_id_x 1
		.amdhsa_system_sgpr_workgroup_id_y 0
		.amdhsa_system_sgpr_workgroup_id_z 0
		.amdhsa_system_sgpr_workgroup_info 0
		.amdhsa_system_vgpr_workitem_id 0
		.amdhsa_next_free_vgpr 38
		.amdhsa_next_free_sgpr 34
		.amdhsa_reserve_vcc 1
		.amdhsa_float_round_mode_32 0
		.amdhsa_float_round_mode_16_64 0
		.amdhsa_float_denorm_mode_32 3
		.amdhsa_float_denorm_mode_16_64 3
		.amdhsa_fp16_overflow 0
		.amdhsa_workgroup_processor_mode 1
		.amdhsa_memory_ordered 1
		.amdhsa_forward_progress 1
		.amdhsa_inst_pref_size 1
		.amdhsa_round_robin_scheduling 0
		.amdhsa_exception_fp_ieee_invalid_op 0
		.amdhsa_exception_fp_denorm_src 0
		.amdhsa_exception_fp_ieee_div_zero 0
		.amdhsa_exception_fp_ieee_overflow 0
		.amdhsa_exception_fp_ieee_underflow 0
		.amdhsa_exception_fp_ieee_inexact 0
		.amdhsa_exception_int_div_zero 0
	.end_amdhsa_kernel
	.section	.text._ZL13mul_mat_f_idsIfLi64ELi4ELi2EEvPKT_PKfPKiS6_S6_Pfiiiiiiiiiiiiii15HIP_vector_typeIjLj3EES9_,"axG",@progbits,_ZL13mul_mat_f_idsIfLi64ELi4ELi2EEvPKT_PKfPKiS6_S6_Pfiiiiiiiiiiiiii15HIP_vector_typeIjLj3EES9_,comdat
.Lfunc_end78:
	.size	_ZL13mul_mat_f_idsIfLi64ELi4ELi2EEvPKT_PKfPKiS6_S6_Pfiiiiiiiiiiiiii15HIP_vector_typeIjLj3EES9_, .Lfunc_end78-_ZL13mul_mat_f_idsIfLi64ELi4ELi2EEvPKT_PKfPKiS6_S6_Pfiiiiiiiiiiiiii15HIP_vector_typeIjLj3EES9_
                                        ; -- End function
	.set _ZL13mul_mat_f_idsIfLi64ELi4ELi2EEvPKT_PKfPKiS6_S6_Pfiiiiiiiiiiiiii15HIP_vector_typeIjLj3EES9_.num_vgpr, max(3, .L_ZL14no_device_codePKciS0_iS0_.num_vgpr)
	.set _ZL13mul_mat_f_idsIfLi64ELi4ELi2EEvPKT_PKfPKiS6_S6_Pfiiiiiiiiiiiiii15HIP_vector_typeIjLj3EES9_.num_agpr, max(0, .L_ZL14no_device_codePKciS0_iS0_.num_agpr)
	.set _ZL13mul_mat_f_idsIfLi64ELi4ELi2EEvPKT_PKfPKiS6_S6_Pfiiiiiiiiiiiiii15HIP_vector_typeIjLj3EES9_.numbered_sgpr, max(33, .L_ZL14no_device_codePKciS0_iS0_.numbered_sgpr)
	.set _ZL13mul_mat_f_idsIfLi64ELi4ELi2EEvPKT_PKfPKiS6_S6_Pfiiiiiiiiiiiiii15HIP_vector_typeIjLj3EES9_.num_named_barrier, max(0, .L_ZL14no_device_codePKciS0_iS0_.num_named_barrier)
	.set _ZL13mul_mat_f_idsIfLi64ELi4ELi2EEvPKT_PKfPKiS6_S6_Pfiiiiiiiiiiiiii15HIP_vector_typeIjLj3EES9_.private_seg_size, 0+max(.L_ZL14no_device_codePKciS0_iS0_.private_seg_size)
	.set _ZL13mul_mat_f_idsIfLi64ELi4ELi2EEvPKT_PKfPKiS6_S6_Pfiiiiiiiiiiiiii15HIP_vector_typeIjLj3EES9_.uses_vcc, or(1, .L_ZL14no_device_codePKciS0_iS0_.uses_vcc)
	.set _ZL13mul_mat_f_idsIfLi64ELi4ELi2EEvPKT_PKfPKiS6_S6_Pfiiiiiiiiiiiiii15HIP_vector_typeIjLj3EES9_.uses_flat_scratch, or(0, .L_ZL14no_device_codePKciS0_iS0_.uses_flat_scratch)
	.set _ZL13mul_mat_f_idsIfLi64ELi4ELi2EEvPKT_PKfPKiS6_S6_Pfiiiiiiiiiiiiii15HIP_vector_typeIjLj3EES9_.has_dyn_sized_stack, or(0, .L_ZL14no_device_codePKciS0_iS0_.has_dyn_sized_stack)
	.set _ZL13mul_mat_f_idsIfLi64ELi4ELi2EEvPKT_PKfPKiS6_S6_Pfiiiiiiiiiiiiii15HIP_vector_typeIjLj3EES9_.has_recursion, or(0, .L_ZL14no_device_codePKciS0_iS0_.has_recursion)
	.set _ZL13mul_mat_f_idsIfLi64ELi4ELi2EEvPKT_PKfPKiS6_S6_Pfiiiiiiiiiiiiii15HIP_vector_typeIjLj3EES9_.has_indirect_call, or(0, .L_ZL14no_device_codePKciS0_iS0_.has_indirect_call)
	.section	.AMDGPU.csdata,"",@progbits
; Kernel info:
; codeLenInByte = 80
; TotalNumSgprs: 36
; NumVgprs: 38
; ScratchSize: 16
; MemoryBound: 0
; FloatMode: 240
; IeeeMode: 1
; LDSByteSize: 0 bytes/workgroup (compile time only)
; SGPRBlocks: 0
; VGPRBlocks: 4
; NumSGPRsForWavesPerEU: 36
; NumVGPRsForWavesPerEU: 38
; Occupancy: 16
; WaveLimiterHint : 1
; COMPUTE_PGM_RSRC2:SCRATCH_EN: 1
; COMPUTE_PGM_RSRC2:USER_SGPR: 2
; COMPUTE_PGM_RSRC2:TRAP_HANDLER: 0
; COMPUTE_PGM_RSRC2:TGID_X_EN: 1
; COMPUTE_PGM_RSRC2:TGID_Y_EN: 0
; COMPUTE_PGM_RSRC2:TGID_Z_EN: 0
; COMPUTE_PGM_RSRC2:TIDIG_COMP_CNT: 0
	.section	.text._ZL9mul_mat_fIfLi64ELi4ELi2ELb1EEvPKT_PKfPKiPfiiiiiiiiiiiiiiii,"axG",@progbits,_ZL9mul_mat_fIfLi64ELi4ELi2ELb1EEvPKT_PKfPKiPfiiiiiiiiiiiiiiii,comdat
	.globl	_ZL9mul_mat_fIfLi64ELi4ELi2ELb1EEvPKT_PKfPKiPfiiiiiiiiiiiiiiii ; -- Begin function _ZL9mul_mat_fIfLi64ELi4ELi2ELb1EEvPKT_PKfPKiPfiiiiiiiiiiiiiiii
	.p2align	8
	.type	_ZL9mul_mat_fIfLi64ELi4ELi2ELb1EEvPKT_PKfPKiPfiiiiiiiiiiiiiiii,@function
_ZL9mul_mat_fIfLi64ELi4ELi2ELb1EEvPKT_PKfPKiPfiiiiiiiiiiiiiiii: ; @_ZL9mul_mat_fIfLi64ELi4ELi2ELb1EEvPKT_PKfPKiPfiiiiiiiiiiiiiiii
; %bb.0:
	s_getpc_b64 s[2:3]
	s_sext_i32_i16 s3, s3
	s_add_co_u32 s2, s2, __FUNCTION__._ZL9mul_mat_fIfLi32ELi4ELi1ELb1EEvPKT_PKfPKiPfiiiiiiiiiiiiiiii@rel32@lo+8
	s_add_co_ci_u32 s3, s3, __FUNCTION__._ZL9mul_mat_fIfLi32ELi4ELi1ELb1EEvPKT_PKfPKiPfiiiiiiiiiiiiiiii@rel32@hi+16
	v_dual_mov_b32 v0, 59 :: v_dual_mov_b32 v1, s2
	v_mov_b32_e32 v2, s3
	s_add_nc_u64 s[8:9], s[0:1], 0x60
	s_getpc_b64 s[0:1]
	s_sext_i32_i16 s1, s1
	s_add_co_u32 s0, s0, _ZL14no_device_codePKciS0_iS0_@rel32@lo+8
	s_add_co_ci_u32 s1, s1, _ZL14no_device_codePKciS0_iS0_@rel32@hi+16
	s_mov_b32 s32, 0
	s_swappc_b64 s[30:31], s[0:1]
	.section	.rodata,"a",@progbits
	.p2align	6, 0x0
	.amdhsa_kernel _ZL9mul_mat_fIfLi64ELi4ELi2ELb1EEvPKT_PKfPKiPfiiiiiiiiiiiiiiii
		.amdhsa_group_segment_fixed_size 0
		.amdhsa_private_segment_fixed_size 16
		.amdhsa_kernarg_size 352
		.amdhsa_user_sgpr_count 2
		.amdhsa_user_sgpr_dispatch_ptr 0
		.amdhsa_user_sgpr_queue_ptr 0
		.amdhsa_user_sgpr_kernarg_segment_ptr 1
		.amdhsa_user_sgpr_dispatch_id 0
		.amdhsa_user_sgpr_private_segment_size 0
		.amdhsa_wavefront_size32 1
		.amdhsa_uses_dynamic_stack 0
		.amdhsa_enable_private_segment 1
		.amdhsa_system_sgpr_workgroup_id_x 1
		.amdhsa_system_sgpr_workgroup_id_y 0
		.amdhsa_system_sgpr_workgroup_id_z 0
		.amdhsa_system_sgpr_workgroup_info 0
		.amdhsa_system_vgpr_workitem_id 0
		.amdhsa_next_free_vgpr 38
		.amdhsa_next_free_sgpr 34
		.amdhsa_reserve_vcc 1
		.amdhsa_float_round_mode_32 0
		.amdhsa_float_round_mode_16_64 0
		.amdhsa_float_denorm_mode_32 3
		.amdhsa_float_denorm_mode_16_64 3
		.amdhsa_fp16_overflow 0
		.amdhsa_workgroup_processor_mode 1
		.amdhsa_memory_ordered 1
		.amdhsa_forward_progress 1
		.amdhsa_inst_pref_size 1
		.amdhsa_round_robin_scheduling 0
		.amdhsa_exception_fp_ieee_invalid_op 0
		.amdhsa_exception_fp_denorm_src 0
		.amdhsa_exception_fp_ieee_div_zero 0
		.amdhsa_exception_fp_ieee_overflow 0
		.amdhsa_exception_fp_ieee_underflow 0
		.amdhsa_exception_fp_ieee_inexact 0
		.amdhsa_exception_int_div_zero 0
	.end_amdhsa_kernel
	.section	.text._ZL9mul_mat_fIfLi64ELi4ELi2ELb1EEvPKT_PKfPKiPfiiiiiiiiiiiiiiii,"axG",@progbits,_ZL9mul_mat_fIfLi64ELi4ELi2ELb1EEvPKT_PKfPKiPfiiiiiiiiiiiiiiii,comdat
.Lfunc_end79:
	.size	_ZL9mul_mat_fIfLi64ELi4ELi2ELb1EEvPKT_PKfPKiPfiiiiiiiiiiiiiiii, .Lfunc_end79-_ZL9mul_mat_fIfLi64ELi4ELi2ELb1EEvPKT_PKfPKiPfiiiiiiiiiiiiiiii
                                        ; -- End function
	.set _ZL9mul_mat_fIfLi64ELi4ELi2ELb1EEvPKT_PKfPKiPfiiiiiiiiiiiiiiii.num_vgpr, max(3, .L_ZL14no_device_codePKciS0_iS0_.num_vgpr)
	.set _ZL9mul_mat_fIfLi64ELi4ELi2ELb1EEvPKT_PKfPKiPfiiiiiiiiiiiiiiii.num_agpr, max(0, .L_ZL14no_device_codePKciS0_iS0_.num_agpr)
	.set _ZL9mul_mat_fIfLi64ELi4ELi2ELb1EEvPKT_PKfPKiPfiiiiiiiiiiiiiiii.numbered_sgpr, max(33, .L_ZL14no_device_codePKciS0_iS0_.numbered_sgpr)
	.set _ZL9mul_mat_fIfLi64ELi4ELi2ELb1EEvPKT_PKfPKiPfiiiiiiiiiiiiiiii.num_named_barrier, max(0, .L_ZL14no_device_codePKciS0_iS0_.num_named_barrier)
	.set _ZL9mul_mat_fIfLi64ELi4ELi2ELb1EEvPKT_PKfPKiPfiiiiiiiiiiiiiiii.private_seg_size, 0+max(.L_ZL14no_device_codePKciS0_iS0_.private_seg_size)
	.set _ZL9mul_mat_fIfLi64ELi4ELi2ELb1EEvPKT_PKfPKiPfiiiiiiiiiiiiiiii.uses_vcc, or(1, .L_ZL14no_device_codePKciS0_iS0_.uses_vcc)
	.set _ZL9mul_mat_fIfLi64ELi4ELi2ELb1EEvPKT_PKfPKiPfiiiiiiiiiiiiiiii.uses_flat_scratch, or(0, .L_ZL14no_device_codePKciS0_iS0_.uses_flat_scratch)
	.set _ZL9mul_mat_fIfLi64ELi4ELi2ELb1EEvPKT_PKfPKiPfiiiiiiiiiiiiiiii.has_dyn_sized_stack, or(0, .L_ZL14no_device_codePKciS0_iS0_.has_dyn_sized_stack)
	.set _ZL9mul_mat_fIfLi64ELi4ELi2ELb1EEvPKT_PKfPKiPfiiiiiiiiiiiiiiii.has_recursion, or(0, .L_ZL14no_device_codePKciS0_iS0_.has_recursion)
	.set _ZL9mul_mat_fIfLi64ELi4ELi2ELb1EEvPKT_PKfPKiPfiiiiiiiiiiiiiiii.has_indirect_call, or(0, .L_ZL14no_device_codePKciS0_iS0_.has_indirect_call)
	.section	.AMDGPU.csdata,"",@progbits
; Kernel info:
; codeLenInByte = 76
; TotalNumSgprs: 36
; NumVgprs: 38
; ScratchSize: 16
; MemoryBound: 0
; FloatMode: 240
; IeeeMode: 1
; LDSByteSize: 0 bytes/workgroup (compile time only)
; SGPRBlocks: 0
; VGPRBlocks: 4
; NumSGPRsForWavesPerEU: 36
; NumVGPRsForWavesPerEU: 38
; Occupancy: 16
; WaveLimiterHint : 1
; COMPUTE_PGM_RSRC2:SCRATCH_EN: 1
; COMPUTE_PGM_RSRC2:USER_SGPR: 2
; COMPUTE_PGM_RSRC2:TRAP_HANDLER: 0
; COMPUTE_PGM_RSRC2:TGID_X_EN: 1
; COMPUTE_PGM_RSRC2:TGID_Y_EN: 0
; COMPUTE_PGM_RSRC2:TGID_Z_EN: 0
; COMPUTE_PGM_RSRC2:TIDIG_COMP_CNT: 0
	.section	.text._ZL9mul_mat_fIfLi64ELi4ELi2ELb0EEvPKT_PKfPKiPfiiiiiiiiiiiiiiii,"axG",@progbits,_ZL9mul_mat_fIfLi64ELi4ELi2ELb0EEvPKT_PKfPKiPfiiiiiiiiiiiiiiii,comdat
	.globl	_ZL9mul_mat_fIfLi64ELi4ELi2ELb0EEvPKT_PKfPKiPfiiiiiiiiiiiiiiii ; -- Begin function _ZL9mul_mat_fIfLi64ELi4ELi2ELb0EEvPKT_PKfPKiPfiiiiiiiiiiiiiiii
	.p2align	8
	.type	_ZL9mul_mat_fIfLi64ELi4ELi2ELb0EEvPKT_PKfPKiPfiiiiiiiiiiiiiiii,@function
_ZL9mul_mat_fIfLi64ELi4ELi2ELb0EEvPKT_PKfPKiPfiiiiiiiiiiiiiiii: ; @_ZL9mul_mat_fIfLi64ELi4ELi2ELb0EEvPKT_PKfPKiPfiiiiiiiiiiiiiiii
; %bb.0:
	s_getpc_b64 s[2:3]
	s_sext_i32_i16 s3, s3
	s_add_co_u32 s2, s2, __FUNCTION__._ZL9mul_mat_fIfLi32ELi4ELi1ELb1EEvPKT_PKfPKiPfiiiiiiiiiiiiiiii@rel32@lo+8
	s_add_co_ci_u32 s3, s3, __FUNCTION__._ZL9mul_mat_fIfLi32ELi4ELi1ELb1EEvPKT_PKfPKiPfiiiiiiiiiiiiiiii@rel32@hi+16
	v_dual_mov_b32 v0, 59 :: v_dual_mov_b32 v1, s2
	v_mov_b32_e32 v2, s3
	s_add_nc_u64 s[8:9], s[0:1], 0x60
	s_getpc_b64 s[0:1]
	s_sext_i32_i16 s1, s1
	s_add_co_u32 s0, s0, _ZL14no_device_codePKciS0_iS0_@rel32@lo+8
	s_add_co_ci_u32 s1, s1, _ZL14no_device_codePKciS0_iS0_@rel32@hi+16
	s_mov_b32 s32, 0
	s_swappc_b64 s[30:31], s[0:1]
	.section	.rodata,"a",@progbits
	.p2align	6, 0x0
	.amdhsa_kernel _ZL9mul_mat_fIfLi64ELi4ELi2ELb0EEvPKT_PKfPKiPfiiiiiiiiiiiiiiii
		.amdhsa_group_segment_fixed_size 0
		.amdhsa_private_segment_fixed_size 16
		.amdhsa_kernarg_size 352
		.amdhsa_user_sgpr_count 2
		.amdhsa_user_sgpr_dispatch_ptr 0
		.amdhsa_user_sgpr_queue_ptr 0
		.amdhsa_user_sgpr_kernarg_segment_ptr 1
		.amdhsa_user_sgpr_dispatch_id 0
		.amdhsa_user_sgpr_private_segment_size 0
		.amdhsa_wavefront_size32 1
		.amdhsa_uses_dynamic_stack 0
		.amdhsa_enable_private_segment 1
		.amdhsa_system_sgpr_workgroup_id_x 1
		.amdhsa_system_sgpr_workgroup_id_y 0
		.amdhsa_system_sgpr_workgroup_id_z 0
		.amdhsa_system_sgpr_workgroup_info 0
		.amdhsa_system_vgpr_workitem_id 0
		.amdhsa_next_free_vgpr 38
		.amdhsa_next_free_sgpr 34
		.amdhsa_reserve_vcc 1
		.amdhsa_float_round_mode_32 0
		.amdhsa_float_round_mode_16_64 0
		.amdhsa_float_denorm_mode_32 3
		.amdhsa_float_denorm_mode_16_64 3
		.amdhsa_fp16_overflow 0
		.amdhsa_workgroup_processor_mode 1
		.amdhsa_memory_ordered 1
		.amdhsa_forward_progress 1
		.amdhsa_inst_pref_size 1
		.amdhsa_round_robin_scheduling 0
		.amdhsa_exception_fp_ieee_invalid_op 0
		.amdhsa_exception_fp_denorm_src 0
		.amdhsa_exception_fp_ieee_div_zero 0
		.amdhsa_exception_fp_ieee_overflow 0
		.amdhsa_exception_fp_ieee_underflow 0
		.amdhsa_exception_fp_ieee_inexact 0
		.amdhsa_exception_int_div_zero 0
	.end_amdhsa_kernel
	.section	.text._ZL9mul_mat_fIfLi64ELi4ELi2ELb0EEvPKT_PKfPKiPfiiiiiiiiiiiiiiii,"axG",@progbits,_ZL9mul_mat_fIfLi64ELi4ELi2ELb0EEvPKT_PKfPKiPfiiiiiiiiiiiiiiii,comdat
.Lfunc_end80:
	.size	_ZL9mul_mat_fIfLi64ELi4ELi2ELb0EEvPKT_PKfPKiPfiiiiiiiiiiiiiiii, .Lfunc_end80-_ZL9mul_mat_fIfLi64ELi4ELi2ELb0EEvPKT_PKfPKiPfiiiiiiiiiiiiiiii
                                        ; -- End function
	.set _ZL9mul_mat_fIfLi64ELi4ELi2ELb0EEvPKT_PKfPKiPfiiiiiiiiiiiiiiii.num_vgpr, max(3, .L_ZL14no_device_codePKciS0_iS0_.num_vgpr)
	.set _ZL9mul_mat_fIfLi64ELi4ELi2ELb0EEvPKT_PKfPKiPfiiiiiiiiiiiiiiii.num_agpr, max(0, .L_ZL14no_device_codePKciS0_iS0_.num_agpr)
	.set _ZL9mul_mat_fIfLi64ELi4ELi2ELb0EEvPKT_PKfPKiPfiiiiiiiiiiiiiiii.numbered_sgpr, max(33, .L_ZL14no_device_codePKciS0_iS0_.numbered_sgpr)
	.set _ZL9mul_mat_fIfLi64ELi4ELi2ELb0EEvPKT_PKfPKiPfiiiiiiiiiiiiiiii.num_named_barrier, max(0, .L_ZL14no_device_codePKciS0_iS0_.num_named_barrier)
	.set _ZL9mul_mat_fIfLi64ELi4ELi2ELb0EEvPKT_PKfPKiPfiiiiiiiiiiiiiiii.private_seg_size, 0+max(.L_ZL14no_device_codePKciS0_iS0_.private_seg_size)
	.set _ZL9mul_mat_fIfLi64ELi4ELi2ELb0EEvPKT_PKfPKiPfiiiiiiiiiiiiiiii.uses_vcc, or(1, .L_ZL14no_device_codePKciS0_iS0_.uses_vcc)
	.set _ZL9mul_mat_fIfLi64ELi4ELi2ELb0EEvPKT_PKfPKiPfiiiiiiiiiiiiiiii.uses_flat_scratch, or(0, .L_ZL14no_device_codePKciS0_iS0_.uses_flat_scratch)
	.set _ZL9mul_mat_fIfLi64ELi4ELi2ELb0EEvPKT_PKfPKiPfiiiiiiiiiiiiiiii.has_dyn_sized_stack, or(0, .L_ZL14no_device_codePKciS0_iS0_.has_dyn_sized_stack)
	.set _ZL9mul_mat_fIfLi64ELi4ELi2ELb0EEvPKT_PKfPKiPfiiiiiiiiiiiiiiii.has_recursion, or(0, .L_ZL14no_device_codePKciS0_iS0_.has_recursion)
	.set _ZL9mul_mat_fIfLi64ELi4ELi2ELb0EEvPKT_PKfPKiPfiiiiiiiiiiiiiiii.has_indirect_call, or(0, .L_ZL14no_device_codePKciS0_iS0_.has_indirect_call)
	.section	.AMDGPU.csdata,"",@progbits
; Kernel info:
; codeLenInByte = 76
; TotalNumSgprs: 36
; NumVgprs: 38
; ScratchSize: 16
; MemoryBound: 0
; FloatMode: 240
; IeeeMode: 1
; LDSByteSize: 0 bytes/workgroup (compile time only)
; SGPRBlocks: 0
; VGPRBlocks: 4
; NumSGPRsForWavesPerEU: 36
; NumVGPRsForWavesPerEU: 38
; Occupancy: 16
; WaveLimiterHint : 1
; COMPUTE_PGM_RSRC2:SCRATCH_EN: 1
; COMPUTE_PGM_RSRC2:USER_SGPR: 2
; COMPUTE_PGM_RSRC2:TRAP_HANDLER: 0
; COMPUTE_PGM_RSRC2:TGID_X_EN: 1
; COMPUTE_PGM_RSRC2:TGID_Y_EN: 0
; COMPUTE_PGM_RSRC2:TGID_Z_EN: 0
; COMPUTE_PGM_RSRC2:TIDIG_COMP_CNT: 0
	.section	.text._ZL13mul_mat_f_idsIfLi64ELi4ELi3EEvPKT_PKfPKiS6_S6_Pfiiiiiiiiiiiiii15HIP_vector_typeIjLj3EES9_,"axG",@progbits,_ZL13mul_mat_f_idsIfLi64ELi4ELi3EEvPKT_PKfPKiS6_S6_Pfiiiiiiiiiiiiii15HIP_vector_typeIjLj3EES9_,comdat
	.globl	_ZL13mul_mat_f_idsIfLi64ELi4ELi3EEvPKT_PKfPKiS6_S6_Pfiiiiiiiiiiiiii15HIP_vector_typeIjLj3EES9_ ; -- Begin function _ZL13mul_mat_f_idsIfLi64ELi4ELi3EEvPKT_PKfPKiS6_S6_Pfiiiiiiiiiiiiii15HIP_vector_typeIjLj3EES9_
	.p2align	8
	.type	_ZL13mul_mat_f_idsIfLi64ELi4ELi3EEvPKT_PKfPKiS6_S6_Pfiiiiiiiiiiiiii15HIP_vector_typeIjLj3EES9_,@function
_ZL13mul_mat_f_idsIfLi64ELi4ELi3EEvPKT_PKfPKiS6_S6_Pfiiiiiiiiiiiiii15HIP_vector_typeIjLj3EES9_: ; @_ZL13mul_mat_f_idsIfLi64ELi4ELi3EEvPKT_PKfPKiS6_S6_Pfiiiiiiiiiiiiii15HIP_vector_typeIjLj3EES9_
; %bb.0:
	s_getpc_b64 s[2:3]
	s_sext_i32_i16 s3, s3
	s_add_co_u32 s2, s2, __FUNCTION__._ZL13mul_mat_f_idsIfLi32ELi4ELi1EEvPKT_PKfPKiS6_S6_Pfiiiiiiiiiiiiii15HIP_vector_typeIjLj3EES9_@rel32@lo+8
	s_add_co_ci_u32 s3, s3, __FUNCTION__._ZL13mul_mat_f_idsIfLi32ELi4ELi1EEvPKT_PKfPKiS6_S6_Pfiiiiiiiiiiiiii15HIP_vector_typeIjLj3EES9_@rel32@hi+16
	v_dual_mov_b32 v0, 0x136 :: v_dual_mov_b32 v1, s2
	v_mov_b32_e32 v2, s3
	s_add_nc_u64 s[8:9], s[0:1], 0x80
	s_getpc_b64 s[0:1]
	s_sext_i32_i16 s1, s1
	s_add_co_u32 s0, s0, _ZL14no_device_codePKciS0_iS0_@rel32@lo+8
	s_add_co_ci_u32 s1, s1, _ZL14no_device_codePKciS0_iS0_@rel32@hi+16
	s_mov_b32 s32, 0
	s_swappc_b64 s[30:31], s[0:1]
	.section	.rodata,"a",@progbits
	.p2align	6, 0x0
	.amdhsa_kernel _ZL13mul_mat_f_idsIfLi64ELi4ELi3EEvPKT_PKfPKiS6_S6_Pfiiiiiiiiiiiiii15HIP_vector_typeIjLj3EES9_
		.amdhsa_group_segment_fixed_size 0
		.amdhsa_private_segment_fixed_size 16
		.amdhsa_kernarg_size 384
		.amdhsa_user_sgpr_count 2
		.amdhsa_user_sgpr_dispatch_ptr 0
		.amdhsa_user_sgpr_queue_ptr 0
		.amdhsa_user_sgpr_kernarg_segment_ptr 1
		.amdhsa_user_sgpr_dispatch_id 0
		.amdhsa_user_sgpr_private_segment_size 0
		.amdhsa_wavefront_size32 1
		.amdhsa_uses_dynamic_stack 0
		.amdhsa_enable_private_segment 1
		.amdhsa_system_sgpr_workgroup_id_x 1
		.amdhsa_system_sgpr_workgroup_id_y 0
		.amdhsa_system_sgpr_workgroup_id_z 0
		.amdhsa_system_sgpr_workgroup_info 0
		.amdhsa_system_vgpr_workitem_id 0
		.amdhsa_next_free_vgpr 38
		.amdhsa_next_free_sgpr 34
		.amdhsa_reserve_vcc 1
		.amdhsa_float_round_mode_32 0
		.amdhsa_float_round_mode_16_64 0
		.amdhsa_float_denorm_mode_32 3
		.amdhsa_float_denorm_mode_16_64 3
		.amdhsa_fp16_overflow 0
		.amdhsa_workgroup_processor_mode 1
		.amdhsa_memory_ordered 1
		.amdhsa_forward_progress 1
		.amdhsa_inst_pref_size 1
		.amdhsa_round_robin_scheduling 0
		.amdhsa_exception_fp_ieee_invalid_op 0
		.amdhsa_exception_fp_denorm_src 0
		.amdhsa_exception_fp_ieee_div_zero 0
		.amdhsa_exception_fp_ieee_overflow 0
		.amdhsa_exception_fp_ieee_underflow 0
		.amdhsa_exception_fp_ieee_inexact 0
		.amdhsa_exception_int_div_zero 0
	.end_amdhsa_kernel
	.section	.text._ZL13mul_mat_f_idsIfLi64ELi4ELi3EEvPKT_PKfPKiS6_S6_Pfiiiiiiiiiiiiii15HIP_vector_typeIjLj3EES9_,"axG",@progbits,_ZL13mul_mat_f_idsIfLi64ELi4ELi3EEvPKT_PKfPKiS6_S6_Pfiiiiiiiiiiiiii15HIP_vector_typeIjLj3EES9_,comdat
.Lfunc_end81:
	.size	_ZL13mul_mat_f_idsIfLi64ELi4ELi3EEvPKT_PKfPKiS6_S6_Pfiiiiiiiiiiiiii15HIP_vector_typeIjLj3EES9_, .Lfunc_end81-_ZL13mul_mat_f_idsIfLi64ELi4ELi3EEvPKT_PKfPKiS6_S6_Pfiiiiiiiiiiiiii15HIP_vector_typeIjLj3EES9_
                                        ; -- End function
	.set _ZL13mul_mat_f_idsIfLi64ELi4ELi3EEvPKT_PKfPKiS6_S6_Pfiiiiiiiiiiiiii15HIP_vector_typeIjLj3EES9_.num_vgpr, max(3, .L_ZL14no_device_codePKciS0_iS0_.num_vgpr)
	.set _ZL13mul_mat_f_idsIfLi64ELi4ELi3EEvPKT_PKfPKiS6_S6_Pfiiiiiiiiiiiiii15HIP_vector_typeIjLj3EES9_.num_agpr, max(0, .L_ZL14no_device_codePKciS0_iS0_.num_agpr)
	.set _ZL13mul_mat_f_idsIfLi64ELi4ELi3EEvPKT_PKfPKiS6_S6_Pfiiiiiiiiiiiiii15HIP_vector_typeIjLj3EES9_.numbered_sgpr, max(33, .L_ZL14no_device_codePKciS0_iS0_.numbered_sgpr)
	.set _ZL13mul_mat_f_idsIfLi64ELi4ELi3EEvPKT_PKfPKiS6_S6_Pfiiiiiiiiiiiiii15HIP_vector_typeIjLj3EES9_.num_named_barrier, max(0, .L_ZL14no_device_codePKciS0_iS0_.num_named_barrier)
	.set _ZL13mul_mat_f_idsIfLi64ELi4ELi3EEvPKT_PKfPKiS6_S6_Pfiiiiiiiiiiiiii15HIP_vector_typeIjLj3EES9_.private_seg_size, 0+max(.L_ZL14no_device_codePKciS0_iS0_.private_seg_size)
	.set _ZL13mul_mat_f_idsIfLi64ELi4ELi3EEvPKT_PKfPKiS6_S6_Pfiiiiiiiiiiiiii15HIP_vector_typeIjLj3EES9_.uses_vcc, or(1, .L_ZL14no_device_codePKciS0_iS0_.uses_vcc)
	.set _ZL13mul_mat_f_idsIfLi64ELi4ELi3EEvPKT_PKfPKiS6_S6_Pfiiiiiiiiiiiiii15HIP_vector_typeIjLj3EES9_.uses_flat_scratch, or(0, .L_ZL14no_device_codePKciS0_iS0_.uses_flat_scratch)
	.set _ZL13mul_mat_f_idsIfLi64ELi4ELi3EEvPKT_PKfPKiS6_S6_Pfiiiiiiiiiiiiii15HIP_vector_typeIjLj3EES9_.has_dyn_sized_stack, or(0, .L_ZL14no_device_codePKciS0_iS0_.has_dyn_sized_stack)
	.set _ZL13mul_mat_f_idsIfLi64ELi4ELi3EEvPKT_PKfPKiS6_S6_Pfiiiiiiiiiiiiii15HIP_vector_typeIjLj3EES9_.has_recursion, or(0, .L_ZL14no_device_codePKciS0_iS0_.has_recursion)
	.set _ZL13mul_mat_f_idsIfLi64ELi4ELi3EEvPKT_PKfPKiS6_S6_Pfiiiiiiiiiiiiii15HIP_vector_typeIjLj3EES9_.has_indirect_call, or(0, .L_ZL14no_device_codePKciS0_iS0_.has_indirect_call)
	.section	.AMDGPU.csdata,"",@progbits
; Kernel info:
; codeLenInByte = 80
; TotalNumSgprs: 36
; NumVgprs: 38
; ScratchSize: 16
; MemoryBound: 0
; FloatMode: 240
; IeeeMode: 1
; LDSByteSize: 0 bytes/workgroup (compile time only)
; SGPRBlocks: 0
; VGPRBlocks: 4
; NumSGPRsForWavesPerEU: 36
; NumVGPRsForWavesPerEU: 38
; Occupancy: 16
; WaveLimiterHint : 1
; COMPUTE_PGM_RSRC2:SCRATCH_EN: 1
; COMPUTE_PGM_RSRC2:USER_SGPR: 2
; COMPUTE_PGM_RSRC2:TRAP_HANDLER: 0
; COMPUTE_PGM_RSRC2:TGID_X_EN: 1
; COMPUTE_PGM_RSRC2:TGID_Y_EN: 0
; COMPUTE_PGM_RSRC2:TGID_Z_EN: 0
; COMPUTE_PGM_RSRC2:TIDIG_COMP_CNT: 0
	.section	.text._ZL9mul_mat_fIfLi64ELi4ELi3ELb1EEvPKT_PKfPKiPfiiiiiiiiiiiiiiii,"axG",@progbits,_ZL9mul_mat_fIfLi64ELi4ELi3ELb1EEvPKT_PKfPKiPfiiiiiiiiiiiiiiii,comdat
	.globl	_ZL9mul_mat_fIfLi64ELi4ELi3ELb1EEvPKT_PKfPKiPfiiiiiiiiiiiiiiii ; -- Begin function _ZL9mul_mat_fIfLi64ELi4ELi3ELb1EEvPKT_PKfPKiPfiiiiiiiiiiiiiiii
	.p2align	8
	.type	_ZL9mul_mat_fIfLi64ELi4ELi3ELb1EEvPKT_PKfPKiPfiiiiiiiiiiiiiiii,@function
_ZL9mul_mat_fIfLi64ELi4ELi3ELb1EEvPKT_PKfPKiPfiiiiiiiiiiiiiiii: ; @_ZL9mul_mat_fIfLi64ELi4ELi3ELb1EEvPKT_PKfPKiPfiiiiiiiiiiiiiiii
; %bb.0:
	s_getpc_b64 s[2:3]
	s_sext_i32_i16 s3, s3
	s_add_co_u32 s2, s2, __FUNCTION__._ZL9mul_mat_fIfLi32ELi4ELi1ELb1EEvPKT_PKfPKiPfiiiiiiiiiiiiiiii@rel32@lo+8
	s_add_co_ci_u32 s3, s3, __FUNCTION__._ZL9mul_mat_fIfLi32ELi4ELi1ELb1EEvPKT_PKfPKiPfiiiiiiiiiiiiiiii@rel32@hi+16
	v_dual_mov_b32 v0, 59 :: v_dual_mov_b32 v1, s2
	v_mov_b32_e32 v2, s3
	s_add_nc_u64 s[8:9], s[0:1], 0x60
	s_getpc_b64 s[0:1]
	s_sext_i32_i16 s1, s1
	s_add_co_u32 s0, s0, _ZL14no_device_codePKciS0_iS0_@rel32@lo+8
	s_add_co_ci_u32 s1, s1, _ZL14no_device_codePKciS0_iS0_@rel32@hi+16
	s_mov_b32 s32, 0
	s_swappc_b64 s[30:31], s[0:1]
	.section	.rodata,"a",@progbits
	.p2align	6, 0x0
	.amdhsa_kernel _ZL9mul_mat_fIfLi64ELi4ELi3ELb1EEvPKT_PKfPKiPfiiiiiiiiiiiiiiii
		.amdhsa_group_segment_fixed_size 0
		.amdhsa_private_segment_fixed_size 16
		.amdhsa_kernarg_size 352
		.amdhsa_user_sgpr_count 2
		.amdhsa_user_sgpr_dispatch_ptr 0
		.amdhsa_user_sgpr_queue_ptr 0
		.amdhsa_user_sgpr_kernarg_segment_ptr 1
		.amdhsa_user_sgpr_dispatch_id 0
		.amdhsa_user_sgpr_private_segment_size 0
		.amdhsa_wavefront_size32 1
		.amdhsa_uses_dynamic_stack 0
		.amdhsa_enable_private_segment 1
		.amdhsa_system_sgpr_workgroup_id_x 1
		.amdhsa_system_sgpr_workgroup_id_y 0
		.amdhsa_system_sgpr_workgroup_id_z 0
		.amdhsa_system_sgpr_workgroup_info 0
		.amdhsa_system_vgpr_workitem_id 0
		.amdhsa_next_free_vgpr 38
		.amdhsa_next_free_sgpr 34
		.amdhsa_reserve_vcc 1
		.amdhsa_float_round_mode_32 0
		.amdhsa_float_round_mode_16_64 0
		.amdhsa_float_denorm_mode_32 3
		.amdhsa_float_denorm_mode_16_64 3
		.amdhsa_fp16_overflow 0
		.amdhsa_workgroup_processor_mode 1
		.amdhsa_memory_ordered 1
		.amdhsa_forward_progress 1
		.amdhsa_inst_pref_size 1
		.amdhsa_round_robin_scheduling 0
		.amdhsa_exception_fp_ieee_invalid_op 0
		.amdhsa_exception_fp_denorm_src 0
		.amdhsa_exception_fp_ieee_div_zero 0
		.amdhsa_exception_fp_ieee_overflow 0
		.amdhsa_exception_fp_ieee_underflow 0
		.amdhsa_exception_fp_ieee_inexact 0
		.amdhsa_exception_int_div_zero 0
	.end_amdhsa_kernel
	.section	.text._ZL9mul_mat_fIfLi64ELi4ELi3ELb1EEvPKT_PKfPKiPfiiiiiiiiiiiiiiii,"axG",@progbits,_ZL9mul_mat_fIfLi64ELi4ELi3ELb1EEvPKT_PKfPKiPfiiiiiiiiiiiiiiii,comdat
.Lfunc_end82:
	.size	_ZL9mul_mat_fIfLi64ELi4ELi3ELb1EEvPKT_PKfPKiPfiiiiiiiiiiiiiiii, .Lfunc_end82-_ZL9mul_mat_fIfLi64ELi4ELi3ELb1EEvPKT_PKfPKiPfiiiiiiiiiiiiiiii
                                        ; -- End function
	.set _ZL9mul_mat_fIfLi64ELi4ELi3ELb1EEvPKT_PKfPKiPfiiiiiiiiiiiiiiii.num_vgpr, max(3, .L_ZL14no_device_codePKciS0_iS0_.num_vgpr)
	.set _ZL9mul_mat_fIfLi64ELi4ELi3ELb1EEvPKT_PKfPKiPfiiiiiiiiiiiiiiii.num_agpr, max(0, .L_ZL14no_device_codePKciS0_iS0_.num_agpr)
	.set _ZL9mul_mat_fIfLi64ELi4ELi3ELb1EEvPKT_PKfPKiPfiiiiiiiiiiiiiiii.numbered_sgpr, max(33, .L_ZL14no_device_codePKciS0_iS0_.numbered_sgpr)
	.set _ZL9mul_mat_fIfLi64ELi4ELi3ELb1EEvPKT_PKfPKiPfiiiiiiiiiiiiiiii.num_named_barrier, max(0, .L_ZL14no_device_codePKciS0_iS0_.num_named_barrier)
	.set _ZL9mul_mat_fIfLi64ELi4ELi3ELb1EEvPKT_PKfPKiPfiiiiiiiiiiiiiiii.private_seg_size, 0+max(.L_ZL14no_device_codePKciS0_iS0_.private_seg_size)
	.set _ZL9mul_mat_fIfLi64ELi4ELi3ELb1EEvPKT_PKfPKiPfiiiiiiiiiiiiiiii.uses_vcc, or(1, .L_ZL14no_device_codePKciS0_iS0_.uses_vcc)
	.set _ZL9mul_mat_fIfLi64ELi4ELi3ELb1EEvPKT_PKfPKiPfiiiiiiiiiiiiiiii.uses_flat_scratch, or(0, .L_ZL14no_device_codePKciS0_iS0_.uses_flat_scratch)
	.set _ZL9mul_mat_fIfLi64ELi4ELi3ELb1EEvPKT_PKfPKiPfiiiiiiiiiiiiiiii.has_dyn_sized_stack, or(0, .L_ZL14no_device_codePKciS0_iS0_.has_dyn_sized_stack)
	.set _ZL9mul_mat_fIfLi64ELi4ELi3ELb1EEvPKT_PKfPKiPfiiiiiiiiiiiiiiii.has_recursion, or(0, .L_ZL14no_device_codePKciS0_iS0_.has_recursion)
	.set _ZL9mul_mat_fIfLi64ELi4ELi3ELb1EEvPKT_PKfPKiPfiiiiiiiiiiiiiiii.has_indirect_call, or(0, .L_ZL14no_device_codePKciS0_iS0_.has_indirect_call)
	.section	.AMDGPU.csdata,"",@progbits
; Kernel info:
; codeLenInByte = 76
; TotalNumSgprs: 36
; NumVgprs: 38
; ScratchSize: 16
; MemoryBound: 0
; FloatMode: 240
; IeeeMode: 1
; LDSByteSize: 0 bytes/workgroup (compile time only)
; SGPRBlocks: 0
; VGPRBlocks: 4
; NumSGPRsForWavesPerEU: 36
; NumVGPRsForWavesPerEU: 38
; Occupancy: 16
; WaveLimiterHint : 1
; COMPUTE_PGM_RSRC2:SCRATCH_EN: 1
; COMPUTE_PGM_RSRC2:USER_SGPR: 2
; COMPUTE_PGM_RSRC2:TRAP_HANDLER: 0
; COMPUTE_PGM_RSRC2:TGID_X_EN: 1
; COMPUTE_PGM_RSRC2:TGID_Y_EN: 0
; COMPUTE_PGM_RSRC2:TGID_Z_EN: 0
; COMPUTE_PGM_RSRC2:TIDIG_COMP_CNT: 0
	.section	.text._ZL9mul_mat_fIfLi64ELi4ELi3ELb0EEvPKT_PKfPKiPfiiiiiiiiiiiiiiii,"axG",@progbits,_ZL9mul_mat_fIfLi64ELi4ELi3ELb0EEvPKT_PKfPKiPfiiiiiiiiiiiiiiii,comdat
	.globl	_ZL9mul_mat_fIfLi64ELi4ELi3ELb0EEvPKT_PKfPKiPfiiiiiiiiiiiiiiii ; -- Begin function _ZL9mul_mat_fIfLi64ELi4ELi3ELb0EEvPKT_PKfPKiPfiiiiiiiiiiiiiiii
	.p2align	8
	.type	_ZL9mul_mat_fIfLi64ELi4ELi3ELb0EEvPKT_PKfPKiPfiiiiiiiiiiiiiiii,@function
_ZL9mul_mat_fIfLi64ELi4ELi3ELb0EEvPKT_PKfPKiPfiiiiiiiiiiiiiiii: ; @_ZL9mul_mat_fIfLi64ELi4ELi3ELb0EEvPKT_PKfPKiPfiiiiiiiiiiiiiiii
; %bb.0:
	s_getpc_b64 s[2:3]
	s_sext_i32_i16 s3, s3
	s_add_co_u32 s2, s2, __FUNCTION__._ZL9mul_mat_fIfLi32ELi4ELi1ELb1EEvPKT_PKfPKiPfiiiiiiiiiiiiiiii@rel32@lo+8
	s_add_co_ci_u32 s3, s3, __FUNCTION__._ZL9mul_mat_fIfLi32ELi4ELi1ELb1EEvPKT_PKfPKiPfiiiiiiiiiiiiiiii@rel32@hi+16
	v_dual_mov_b32 v0, 59 :: v_dual_mov_b32 v1, s2
	v_mov_b32_e32 v2, s3
	s_add_nc_u64 s[8:9], s[0:1], 0x60
	s_getpc_b64 s[0:1]
	s_sext_i32_i16 s1, s1
	s_add_co_u32 s0, s0, _ZL14no_device_codePKciS0_iS0_@rel32@lo+8
	s_add_co_ci_u32 s1, s1, _ZL14no_device_codePKciS0_iS0_@rel32@hi+16
	s_mov_b32 s32, 0
	s_swappc_b64 s[30:31], s[0:1]
	.section	.rodata,"a",@progbits
	.p2align	6, 0x0
	.amdhsa_kernel _ZL9mul_mat_fIfLi64ELi4ELi3ELb0EEvPKT_PKfPKiPfiiiiiiiiiiiiiiii
		.amdhsa_group_segment_fixed_size 0
		.amdhsa_private_segment_fixed_size 16
		.amdhsa_kernarg_size 352
		.amdhsa_user_sgpr_count 2
		.amdhsa_user_sgpr_dispatch_ptr 0
		.amdhsa_user_sgpr_queue_ptr 0
		.amdhsa_user_sgpr_kernarg_segment_ptr 1
		.amdhsa_user_sgpr_dispatch_id 0
		.amdhsa_user_sgpr_private_segment_size 0
		.amdhsa_wavefront_size32 1
		.amdhsa_uses_dynamic_stack 0
		.amdhsa_enable_private_segment 1
		.amdhsa_system_sgpr_workgroup_id_x 1
		.amdhsa_system_sgpr_workgroup_id_y 0
		.amdhsa_system_sgpr_workgroup_id_z 0
		.amdhsa_system_sgpr_workgroup_info 0
		.amdhsa_system_vgpr_workitem_id 0
		.amdhsa_next_free_vgpr 38
		.amdhsa_next_free_sgpr 34
		.amdhsa_reserve_vcc 1
		.amdhsa_float_round_mode_32 0
		.amdhsa_float_round_mode_16_64 0
		.amdhsa_float_denorm_mode_32 3
		.amdhsa_float_denorm_mode_16_64 3
		.amdhsa_fp16_overflow 0
		.amdhsa_workgroup_processor_mode 1
		.amdhsa_memory_ordered 1
		.amdhsa_forward_progress 1
		.amdhsa_inst_pref_size 1
		.amdhsa_round_robin_scheduling 0
		.amdhsa_exception_fp_ieee_invalid_op 0
		.amdhsa_exception_fp_denorm_src 0
		.amdhsa_exception_fp_ieee_div_zero 0
		.amdhsa_exception_fp_ieee_overflow 0
		.amdhsa_exception_fp_ieee_underflow 0
		.amdhsa_exception_fp_ieee_inexact 0
		.amdhsa_exception_int_div_zero 0
	.end_amdhsa_kernel
	.section	.text._ZL9mul_mat_fIfLi64ELi4ELi3ELb0EEvPKT_PKfPKiPfiiiiiiiiiiiiiiii,"axG",@progbits,_ZL9mul_mat_fIfLi64ELi4ELi3ELb0EEvPKT_PKfPKiPfiiiiiiiiiiiiiiii,comdat
.Lfunc_end83:
	.size	_ZL9mul_mat_fIfLi64ELi4ELi3ELb0EEvPKT_PKfPKiPfiiiiiiiiiiiiiiii, .Lfunc_end83-_ZL9mul_mat_fIfLi64ELi4ELi3ELb0EEvPKT_PKfPKiPfiiiiiiiiiiiiiiii
                                        ; -- End function
	.set _ZL9mul_mat_fIfLi64ELi4ELi3ELb0EEvPKT_PKfPKiPfiiiiiiiiiiiiiiii.num_vgpr, max(3, .L_ZL14no_device_codePKciS0_iS0_.num_vgpr)
	.set _ZL9mul_mat_fIfLi64ELi4ELi3ELb0EEvPKT_PKfPKiPfiiiiiiiiiiiiiiii.num_agpr, max(0, .L_ZL14no_device_codePKciS0_iS0_.num_agpr)
	.set _ZL9mul_mat_fIfLi64ELi4ELi3ELb0EEvPKT_PKfPKiPfiiiiiiiiiiiiiiii.numbered_sgpr, max(33, .L_ZL14no_device_codePKciS0_iS0_.numbered_sgpr)
	.set _ZL9mul_mat_fIfLi64ELi4ELi3ELb0EEvPKT_PKfPKiPfiiiiiiiiiiiiiiii.num_named_barrier, max(0, .L_ZL14no_device_codePKciS0_iS0_.num_named_barrier)
	.set _ZL9mul_mat_fIfLi64ELi4ELi3ELb0EEvPKT_PKfPKiPfiiiiiiiiiiiiiiii.private_seg_size, 0+max(.L_ZL14no_device_codePKciS0_iS0_.private_seg_size)
	.set _ZL9mul_mat_fIfLi64ELi4ELi3ELb0EEvPKT_PKfPKiPfiiiiiiiiiiiiiiii.uses_vcc, or(1, .L_ZL14no_device_codePKciS0_iS0_.uses_vcc)
	.set _ZL9mul_mat_fIfLi64ELi4ELi3ELb0EEvPKT_PKfPKiPfiiiiiiiiiiiiiiii.uses_flat_scratch, or(0, .L_ZL14no_device_codePKciS0_iS0_.uses_flat_scratch)
	.set _ZL9mul_mat_fIfLi64ELi4ELi3ELb0EEvPKT_PKfPKiPfiiiiiiiiiiiiiiii.has_dyn_sized_stack, or(0, .L_ZL14no_device_codePKciS0_iS0_.has_dyn_sized_stack)
	.set _ZL9mul_mat_fIfLi64ELi4ELi3ELb0EEvPKT_PKfPKiPfiiiiiiiiiiiiiiii.has_recursion, or(0, .L_ZL14no_device_codePKciS0_iS0_.has_recursion)
	.set _ZL9mul_mat_fIfLi64ELi4ELi3ELb0EEvPKT_PKfPKiPfiiiiiiiiiiiiiiii.has_indirect_call, or(0, .L_ZL14no_device_codePKciS0_iS0_.has_indirect_call)
	.section	.AMDGPU.csdata,"",@progbits
; Kernel info:
; codeLenInByte = 76
; TotalNumSgprs: 36
; NumVgprs: 38
; ScratchSize: 16
; MemoryBound: 0
; FloatMode: 240
; IeeeMode: 1
; LDSByteSize: 0 bytes/workgroup (compile time only)
; SGPRBlocks: 0
; VGPRBlocks: 4
; NumSGPRsForWavesPerEU: 36
; NumVGPRsForWavesPerEU: 38
; Occupancy: 16
; WaveLimiterHint : 1
; COMPUTE_PGM_RSRC2:SCRATCH_EN: 1
; COMPUTE_PGM_RSRC2:USER_SGPR: 2
; COMPUTE_PGM_RSRC2:TRAP_HANDLER: 0
; COMPUTE_PGM_RSRC2:TGID_X_EN: 1
; COMPUTE_PGM_RSRC2:TGID_Y_EN: 0
; COMPUTE_PGM_RSRC2:TGID_Z_EN: 0
; COMPUTE_PGM_RSRC2:TIDIG_COMP_CNT: 0
	.section	.text._ZL13mul_mat_f_idsIfLi64ELi4ELi4EEvPKT_PKfPKiS6_S6_Pfiiiiiiiiiiiiii15HIP_vector_typeIjLj3EES9_,"axG",@progbits,_ZL13mul_mat_f_idsIfLi64ELi4ELi4EEvPKT_PKfPKiS6_S6_Pfiiiiiiiiiiiiii15HIP_vector_typeIjLj3EES9_,comdat
	.globl	_ZL13mul_mat_f_idsIfLi64ELi4ELi4EEvPKT_PKfPKiS6_S6_Pfiiiiiiiiiiiiii15HIP_vector_typeIjLj3EES9_ ; -- Begin function _ZL13mul_mat_f_idsIfLi64ELi4ELi4EEvPKT_PKfPKiS6_S6_Pfiiiiiiiiiiiiii15HIP_vector_typeIjLj3EES9_
	.p2align	8
	.type	_ZL13mul_mat_f_idsIfLi64ELi4ELi4EEvPKT_PKfPKiS6_S6_Pfiiiiiiiiiiiiii15HIP_vector_typeIjLj3EES9_,@function
_ZL13mul_mat_f_idsIfLi64ELi4ELi4EEvPKT_PKfPKiS6_S6_Pfiiiiiiiiiiiiii15HIP_vector_typeIjLj3EES9_: ; @_ZL13mul_mat_f_idsIfLi64ELi4ELi4EEvPKT_PKfPKiS6_S6_Pfiiiiiiiiiiiiii15HIP_vector_typeIjLj3EES9_
; %bb.0:
	s_getpc_b64 s[2:3]
	s_sext_i32_i16 s3, s3
	s_add_co_u32 s2, s2, __FUNCTION__._ZL13mul_mat_f_idsIfLi32ELi4ELi1EEvPKT_PKfPKiS6_S6_Pfiiiiiiiiiiiiii15HIP_vector_typeIjLj3EES9_@rel32@lo+8
	s_add_co_ci_u32 s3, s3, __FUNCTION__._ZL13mul_mat_f_idsIfLi32ELi4ELi1EEvPKT_PKfPKiS6_S6_Pfiiiiiiiiiiiiii15HIP_vector_typeIjLj3EES9_@rel32@hi+16
	v_dual_mov_b32 v0, 0x136 :: v_dual_mov_b32 v1, s2
	v_mov_b32_e32 v2, s3
	s_add_nc_u64 s[8:9], s[0:1], 0x80
	s_getpc_b64 s[0:1]
	s_sext_i32_i16 s1, s1
	s_add_co_u32 s0, s0, _ZL14no_device_codePKciS0_iS0_@rel32@lo+8
	s_add_co_ci_u32 s1, s1, _ZL14no_device_codePKciS0_iS0_@rel32@hi+16
	s_mov_b32 s32, 0
	s_swappc_b64 s[30:31], s[0:1]
	.section	.rodata,"a",@progbits
	.p2align	6, 0x0
	.amdhsa_kernel _ZL13mul_mat_f_idsIfLi64ELi4ELi4EEvPKT_PKfPKiS6_S6_Pfiiiiiiiiiiiiii15HIP_vector_typeIjLj3EES9_
		.amdhsa_group_segment_fixed_size 0
		.amdhsa_private_segment_fixed_size 16
		.amdhsa_kernarg_size 384
		.amdhsa_user_sgpr_count 2
		.amdhsa_user_sgpr_dispatch_ptr 0
		.amdhsa_user_sgpr_queue_ptr 0
		.amdhsa_user_sgpr_kernarg_segment_ptr 1
		.amdhsa_user_sgpr_dispatch_id 0
		.amdhsa_user_sgpr_private_segment_size 0
		.amdhsa_wavefront_size32 1
		.amdhsa_uses_dynamic_stack 0
		.amdhsa_enable_private_segment 1
		.amdhsa_system_sgpr_workgroup_id_x 1
		.amdhsa_system_sgpr_workgroup_id_y 0
		.amdhsa_system_sgpr_workgroup_id_z 0
		.amdhsa_system_sgpr_workgroup_info 0
		.amdhsa_system_vgpr_workitem_id 0
		.amdhsa_next_free_vgpr 38
		.amdhsa_next_free_sgpr 34
		.amdhsa_reserve_vcc 1
		.amdhsa_float_round_mode_32 0
		.amdhsa_float_round_mode_16_64 0
		.amdhsa_float_denorm_mode_32 3
		.amdhsa_float_denorm_mode_16_64 3
		.amdhsa_fp16_overflow 0
		.amdhsa_workgroup_processor_mode 1
		.amdhsa_memory_ordered 1
		.amdhsa_forward_progress 1
		.amdhsa_inst_pref_size 1
		.amdhsa_round_robin_scheduling 0
		.amdhsa_exception_fp_ieee_invalid_op 0
		.amdhsa_exception_fp_denorm_src 0
		.amdhsa_exception_fp_ieee_div_zero 0
		.amdhsa_exception_fp_ieee_overflow 0
		.amdhsa_exception_fp_ieee_underflow 0
		.amdhsa_exception_fp_ieee_inexact 0
		.amdhsa_exception_int_div_zero 0
	.end_amdhsa_kernel
	.section	.text._ZL13mul_mat_f_idsIfLi64ELi4ELi4EEvPKT_PKfPKiS6_S6_Pfiiiiiiiiiiiiii15HIP_vector_typeIjLj3EES9_,"axG",@progbits,_ZL13mul_mat_f_idsIfLi64ELi4ELi4EEvPKT_PKfPKiS6_S6_Pfiiiiiiiiiiiiii15HIP_vector_typeIjLj3EES9_,comdat
.Lfunc_end84:
	.size	_ZL13mul_mat_f_idsIfLi64ELi4ELi4EEvPKT_PKfPKiS6_S6_Pfiiiiiiiiiiiiii15HIP_vector_typeIjLj3EES9_, .Lfunc_end84-_ZL13mul_mat_f_idsIfLi64ELi4ELi4EEvPKT_PKfPKiS6_S6_Pfiiiiiiiiiiiiii15HIP_vector_typeIjLj3EES9_
                                        ; -- End function
	.set _ZL13mul_mat_f_idsIfLi64ELi4ELi4EEvPKT_PKfPKiS6_S6_Pfiiiiiiiiiiiiii15HIP_vector_typeIjLj3EES9_.num_vgpr, max(3, .L_ZL14no_device_codePKciS0_iS0_.num_vgpr)
	.set _ZL13mul_mat_f_idsIfLi64ELi4ELi4EEvPKT_PKfPKiS6_S6_Pfiiiiiiiiiiiiii15HIP_vector_typeIjLj3EES9_.num_agpr, max(0, .L_ZL14no_device_codePKciS0_iS0_.num_agpr)
	.set _ZL13mul_mat_f_idsIfLi64ELi4ELi4EEvPKT_PKfPKiS6_S6_Pfiiiiiiiiiiiiii15HIP_vector_typeIjLj3EES9_.numbered_sgpr, max(33, .L_ZL14no_device_codePKciS0_iS0_.numbered_sgpr)
	.set _ZL13mul_mat_f_idsIfLi64ELi4ELi4EEvPKT_PKfPKiS6_S6_Pfiiiiiiiiiiiiii15HIP_vector_typeIjLj3EES9_.num_named_barrier, max(0, .L_ZL14no_device_codePKciS0_iS0_.num_named_barrier)
	.set _ZL13mul_mat_f_idsIfLi64ELi4ELi4EEvPKT_PKfPKiS6_S6_Pfiiiiiiiiiiiiii15HIP_vector_typeIjLj3EES9_.private_seg_size, 0+max(.L_ZL14no_device_codePKciS0_iS0_.private_seg_size)
	.set _ZL13mul_mat_f_idsIfLi64ELi4ELi4EEvPKT_PKfPKiS6_S6_Pfiiiiiiiiiiiiii15HIP_vector_typeIjLj3EES9_.uses_vcc, or(1, .L_ZL14no_device_codePKciS0_iS0_.uses_vcc)
	.set _ZL13mul_mat_f_idsIfLi64ELi4ELi4EEvPKT_PKfPKiS6_S6_Pfiiiiiiiiiiiiii15HIP_vector_typeIjLj3EES9_.uses_flat_scratch, or(0, .L_ZL14no_device_codePKciS0_iS0_.uses_flat_scratch)
	.set _ZL13mul_mat_f_idsIfLi64ELi4ELi4EEvPKT_PKfPKiS6_S6_Pfiiiiiiiiiiiiii15HIP_vector_typeIjLj3EES9_.has_dyn_sized_stack, or(0, .L_ZL14no_device_codePKciS0_iS0_.has_dyn_sized_stack)
	.set _ZL13mul_mat_f_idsIfLi64ELi4ELi4EEvPKT_PKfPKiS6_S6_Pfiiiiiiiiiiiiii15HIP_vector_typeIjLj3EES9_.has_recursion, or(0, .L_ZL14no_device_codePKciS0_iS0_.has_recursion)
	.set _ZL13mul_mat_f_idsIfLi64ELi4ELi4EEvPKT_PKfPKiS6_S6_Pfiiiiiiiiiiiiii15HIP_vector_typeIjLj3EES9_.has_indirect_call, or(0, .L_ZL14no_device_codePKciS0_iS0_.has_indirect_call)
	.section	.AMDGPU.csdata,"",@progbits
; Kernel info:
; codeLenInByte = 80
; TotalNumSgprs: 36
; NumVgprs: 38
; ScratchSize: 16
; MemoryBound: 0
; FloatMode: 240
; IeeeMode: 1
; LDSByteSize: 0 bytes/workgroup (compile time only)
; SGPRBlocks: 0
; VGPRBlocks: 4
; NumSGPRsForWavesPerEU: 36
; NumVGPRsForWavesPerEU: 38
; Occupancy: 16
; WaveLimiterHint : 1
; COMPUTE_PGM_RSRC2:SCRATCH_EN: 1
; COMPUTE_PGM_RSRC2:USER_SGPR: 2
; COMPUTE_PGM_RSRC2:TRAP_HANDLER: 0
; COMPUTE_PGM_RSRC2:TGID_X_EN: 1
; COMPUTE_PGM_RSRC2:TGID_Y_EN: 0
; COMPUTE_PGM_RSRC2:TGID_Z_EN: 0
; COMPUTE_PGM_RSRC2:TIDIG_COMP_CNT: 0
	.section	.text._ZL9mul_mat_fIfLi64ELi4ELi4ELb1EEvPKT_PKfPKiPfiiiiiiiiiiiiiiii,"axG",@progbits,_ZL9mul_mat_fIfLi64ELi4ELi4ELb1EEvPKT_PKfPKiPfiiiiiiiiiiiiiiii,comdat
	.globl	_ZL9mul_mat_fIfLi64ELi4ELi4ELb1EEvPKT_PKfPKiPfiiiiiiiiiiiiiiii ; -- Begin function _ZL9mul_mat_fIfLi64ELi4ELi4ELb1EEvPKT_PKfPKiPfiiiiiiiiiiiiiiii
	.p2align	8
	.type	_ZL9mul_mat_fIfLi64ELi4ELi4ELb1EEvPKT_PKfPKiPfiiiiiiiiiiiiiiii,@function
_ZL9mul_mat_fIfLi64ELi4ELi4ELb1EEvPKT_PKfPKiPfiiiiiiiiiiiiiiii: ; @_ZL9mul_mat_fIfLi64ELi4ELi4ELb1EEvPKT_PKfPKiPfiiiiiiiiiiiiiiii
; %bb.0:
	s_getpc_b64 s[2:3]
	s_sext_i32_i16 s3, s3
	s_add_co_u32 s2, s2, __FUNCTION__._ZL9mul_mat_fIfLi32ELi4ELi1ELb1EEvPKT_PKfPKiPfiiiiiiiiiiiiiiii@rel32@lo+8
	s_add_co_ci_u32 s3, s3, __FUNCTION__._ZL9mul_mat_fIfLi32ELi4ELi1ELb1EEvPKT_PKfPKiPfiiiiiiiiiiiiiiii@rel32@hi+16
	v_dual_mov_b32 v0, 59 :: v_dual_mov_b32 v1, s2
	v_mov_b32_e32 v2, s3
	s_add_nc_u64 s[8:9], s[0:1], 0x60
	s_getpc_b64 s[0:1]
	s_sext_i32_i16 s1, s1
	s_add_co_u32 s0, s0, _ZL14no_device_codePKciS0_iS0_@rel32@lo+8
	s_add_co_ci_u32 s1, s1, _ZL14no_device_codePKciS0_iS0_@rel32@hi+16
	s_mov_b32 s32, 0
	s_swappc_b64 s[30:31], s[0:1]
	.section	.rodata,"a",@progbits
	.p2align	6, 0x0
	.amdhsa_kernel _ZL9mul_mat_fIfLi64ELi4ELi4ELb1EEvPKT_PKfPKiPfiiiiiiiiiiiiiiii
		.amdhsa_group_segment_fixed_size 0
		.amdhsa_private_segment_fixed_size 16
		.amdhsa_kernarg_size 352
		.amdhsa_user_sgpr_count 2
		.amdhsa_user_sgpr_dispatch_ptr 0
		.amdhsa_user_sgpr_queue_ptr 0
		.amdhsa_user_sgpr_kernarg_segment_ptr 1
		.amdhsa_user_sgpr_dispatch_id 0
		.amdhsa_user_sgpr_private_segment_size 0
		.amdhsa_wavefront_size32 1
		.amdhsa_uses_dynamic_stack 0
		.amdhsa_enable_private_segment 1
		.amdhsa_system_sgpr_workgroup_id_x 1
		.amdhsa_system_sgpr_workgroup_id_y 0
		.amdhsa_system_sgpr_workgroup_id_z 0
		.amdhsa_system_sgpr_workgroup_info 0
		.amdhsa_system_vgpr_workitem_id 0
		.amdhsa_next_free_vgpr 38
		.amdhsa_next_free_sgpr 34
		.amdhsa_reserve_vcc 1
		.amdhsa_float_round_mode_32 0
		.amdhsa_float_round_mode_16_64 0
		.amdhsa_float_denorm_mode_32 3
		.amdhsa_float_denorm_mode_16_64 3
		.amdhsa_fp16_overflow 0
		.amdhsa_workgroup_processor_mode 1
		.amdhsa_memory_ordered 1
		.amdhsa_forward_progress 1
		.amdhsa_inst_pref_size 1
		.amdhsa_round_robin_scheduling 0
		.amdhsa_exception_fp_ieee_invalid_op 0
		.amdhsa_exception_fp_denorm_src 0
		.amdhsa_exception_fp_ieee_div_zero 0
		.amdhsa_exception_fp_ieee_overflow 0
		.amdhsa_exception_fp_ieee_underflow 0
		.amdhsa_exception_fp_ieee_inexact 0
		.amdhsa_exception_int_div_zero 0
	.end_amdhsa_kernel
	.section	.text._ZL9mul_mat_fIfLi64ELi4ELi4ELb1EEvPKT_PKfPKiPfiiiiiiiiiiiiiiii,"axG",@progbits,_ZL9mul_mat_fIfLi64ELi4ELi4ELb1EEvPKT_PKfPKiPfiiiiiiiiiiiiiiii,comdat
.Lfunc_end85:
	.size	_ZL9mul_mat_fIfLi64ELi4ELi4ELb1EEvPKT_PKfPKiPfiiiiiiiiiiiiiiii, .Lfunc_end85-_ZL9mul_mat_fIfLi64ELi4ELi4ELb1EEvPKT_PKfPKiPfiiiiiiiiiiiiiiii
                                        ; -- End function
	.set _ZL9mul_mat_fIfLi64ELi4ELi4ELb1EEvPKT_PKfPKiPfiiiiiiiiiiiiiiii.num_vgpr, max(3, .L_ZL14no_device_codePKciS0_iS0_.num_vgpr)
	.set _ZL9mul_mat_fIfLi64ELi4ELi4ELb1EEvPKT_PKfPKiPfiiiiiiiiiiiiiiii.num_agpr, max(0, .L_ZL14no_device_codePKciS0_iS0_.num_agpr)
	.set _ZL9mul_mat_fIfLi64ELi4ELi4ELb1EEvPKT_PKfPKiPfiiiiiiiiiiiiiiii.numbered_sgpr, max(33, .L_ZL14no_device_codePKciS0_iS0_.numbered_sgpr)
	.set _ZL9mul_mat_fIfLi64ELi4ELi4ELb1EEvPKT_PKfPKiPfiiiiiiiiiiiiiiii.num_named_barrier, max(0, .L_ZL14no_device_codePKciS0_iS0_.num_named_barrier)
	.set _ZL9mul_mat_fIfLi64ELi4ELi4ELb1EEvPKT_PKfPKiPfiiiiiiiiiiiiiiii.private_seg_size, 0+max(.L_ZL14no_device_codePKciS0_iS0_.private_seg_size)
	.set _ZL9mul_mat_fIfLi64ELi4ELi4ELb1EEvPKT_PKfPKiPfiiiiiiiiiiiiiiii.uses_vcc, or(1, .L_ZL14no_device_codePKciS0_iS0_.uses_vcc)
	.set _ZL9mul_mat_fIfLi64ELi4ELi4ELb1EEvPKT_PKfPKiPfiiiiiiiiiiiiiiii.uses_flat_scratch, or(0, .L_ZL14no_device_codePKciS0_iS0_.uses_flat_scratch)
	.set _ZL9mul_mat_fIfLi64ELi4ELi4ELb1EEvPKT_PKfPKiPfiiiiiiiiiiiiiiii.has_dyn_sized_stack, or(0, .L_ZL14no_device_codePKciS0_iS0_.has_dyn_sized_stack)
	.set _ZL9mul_mat_fIfLi64ELi4ELi4ELb1EEvPKT_PKfPKiPfiiiiiiiiiiiiiiii.has_recursion, or(0, .L_ZL14no_device_codePKciS0_iS0_.has_recursion)
	.set _ZL9mul_mat_fIfLi64ELi4ELi4ELb1EEvPKT_PKfPKiPfiiiiiiiiiiiiiiii.has_indirect_call, or(0, .L_ZL14no_device_codePKciS0_iS0_.has_indirect_call)
	.section	.AMDGPU.csdata,"",@progbits
; Kernel info:
; codeLenInByte = 76
; TotalNumSgprs: 36
; NumVgprs: 38
; ScratchSize: 16
; MemoryBound: 0
; FloatMode: 240
; IeeeMode: 1
; LDSByteSize: 0 bytes/workgroup (compile time only)
; SGPRBlocks: 0
; VGPRBlocks: 4
; NumSGPRsForWavesPerEU: 36
; NumVGPRsForWavesPerEU: 38
; Occupancy: 16
; WaveLimiterHint : 1
; COMPUTE_PGM_RSRC2:SCRATCH_EN: 1
; COMPUTE_PGM_RSRC2:USER_SGPR: 2
; COMPUTE_PGM_RSRC2:TRAP_HANDLER: 0
; COMPUTE_PGM_RSRC2:TGID_X_EN: 1
; COMPUTE_PGM_RSRC2:TGID_Y_EN: 0
; COMPUTE_PGM_RSRC2:TGID_Z_EN: 0
; COMPUTE_PGM_RSRC2:TIDIG_COMP_CNT: 0
	.section	.text._ZL9mul_mat_fIfLi64ELi4ELi4ELb0EEvPKT_PKfPKiPfiiiiiiiiiiiiiiii,"axG",@progbits,_ZL9mul_mat_fIfLi64ELi4ELi4ELb0EEvPKT_PKfPKiPfiiiiiiiiiiiiiiii,comdat
	.globl	_ZL9mul_mat_fIfLi64ELi4ELi4ELb0EEvPKT_PKfPKiPfiiiiiiiiiiiiiiii ; -- Begin function _ZL9mul_mat_fIfLi64ELi4ELi4ELb0EEvPKT_PKfPKiPfiiiiiiiiiiiiiiii
	.p2align	8
	.type	_ZL9mul_mat_fIfLi64ELi4ELi4ELb0EEvPKT_PKfPKiPfiiiiiiiiiiiiiiii,@function
_ZL9mul_mat_fIfLi64ELi4ELi4ELb0EEvPKT_PKfPKiPfiiiiiiiiiiiiiiii: ; @_ZL9mul_mat_fIfLi64ELi4ELi4ELb0EEvPKT_PKfPKiPfiiiiiiiiiiiiiiii
; %bb.0:
	s_getpc_b64 s[2:3]
	s_sext_i32_i16 s3, s3
	s_add_co_u32 s2, s2, __FUNCTION__._ZL9mul_mat_fIfLi32ELi4ELi1ELb1EEvPKT_PKfPKiPfiiiiiiiiiiiiiiii@rel32@lo+8
	s_add_co_ci_u32 s3, s3, __FUNCTION__._ZL9mul_mat_fIfLi32ELi4ELi1ELb1EEvPKT_PKfPKiPfiiiiiiiiiiiiiiii@rel32@hi+16
	v_dual_mov_b32 v0, 59 :: v_dual_mov_b32 v1, s2
	v_mov_b32_e32 v2, s3
	s_add_nc_u64 s[8:9], s[0:1], 0x60
	s_getpc_b64 s[0:1]
	s_sext_i32_i16 s1, s1
	s_add_co_u32 s0, s0, _ZL14no_device_codePKciS0_iS0_@rel32@lo+8
	s_add_co_ci_u32 s1, s1, _ZL14no_device_codePKciS0_iS0_@rel32@hi+16
	s_mov_b32 s32, 0
	s_swappc_b64 s[30:31], s[0:1]
	.section	.rodata,"a",@progbits
	.p2align	6, 0x0
	.amdhsa_kernel _ZL9mul_mat_fIfLi64ELi4ELi4ELb0EEvPKT_PKfPKiPfiiiiiiiiiiiiiiii
		.amdhsa_group_segment_fixed_size 0
		.amdhsa_private_segment_fixed_size 16
		.amdhsa_kernarg_size 352
		.amdhsa_user_sgpr_count 2
		.amdhsa_user_sgpr_dispatch_ptr 0
		.amdhsa_user_sgpr_queue_ptr 0
		.amdhsa_user_sgpr_kernarg_segment_ptr 1
		.amdhsa_user_sgpr_dispatch_id 0
		.amdhsa_user_sgpr_private_segment_size 0
		.amdhsa_wavefront_size32 1
		.amdhsa_uses_dynamic_stack 0
		.amdhsa_enable_private_segment 1
		.amdhsa_system_sgpr_workgroup_id_x 1
		.amdhsa_system_sgpr_workgroup_id_y 0
		.amdhsa_system_sgpr_workgroup_id_z 0
		.amdhsa_system_sgpr_workgroup_info 0
		.amdhsa_system_vgpr_workitem_id 0
		.amdhsa_next_free_vgpr 38
		.amdhsa_next_free_sgpr 34
		.amdhsa_reserve_vcc 1
		.amdhsa_float_round_mode_32 0
		.amdhsa_float_round_mode_16_64 0
		.amdhsa_float_denorm_mode_32 3
		.amdhsa_float_denorm_mode_16_64 3
		.amdhsa_fp16_overflow 0
		.amdhsa_workgroup_processor_mode 1
		.amdhsa_memory_ordered 1
		.amdhsa_forward_progress 1
		.amdhsa_inst_pref_size 1
		.amdhsa_round_robin_scheduling 0
		.amdhsa_exception_fp_ieee_invalid_op 0
		.amdhsa_exception_fp_denorm_src 0
		.amdhsa_exception_fp_ieee_div_zero 0
		.amdhsa_exception_fp_ieee_overflow 0
		.amdhsa_exception_fp_ieee_underflow 0
		.amdhsa_exception_fp_ieee_inexact 0
		.amdhsa_exception_int_div_zero 0
	.end_amdhsa_kernel
	.section	.text._ZL9mul_mat_fIfLi64ELi4ELi4ELb0EEvPKT_PKfPKiPfiiiiiiiiiiiiiiii,"axG",@progbits,_ZL9mul_mat_fIfLi64ELi4ELi4ELb0EEvPKT_PKfPKiPfiiiiiiiiiiiiiiii,comdat
.Lfunc_end86:
	.size	_ZL9mul_mat_fIfLi64ELi4ELi4ELb0EEvPKT_PKfPKiPfiiiiiiiiiiiiiiii, .Lfunc_end86-_ZL9mul_mat_fIfLi64ELi4ELi4ELb0EEvPKT_PKfPKiPfiiiiiiiiiiiiiiii
                                        ; -- End function
	.set _ZL9mul_mat_fIfLi64ELi4ELi4ELb0EEvPKT_PKfPKiPfiiiiiiiiiiiiiiii.num_vgpr, max(3, .L_ZL14no_device_codePKciS0_iS0_.num_vgpr)
	.set _ZL9mul_mat_fIfLi64ELi4ELi4ELb0EEvPKT_PKfPKiPfiiiiiiiiiiiiiiii.num_agpr, max(0, .L_ZL14no_device_codePKciS0_iS0_.num_agpr)
	.set _ZL9mul_mat_fIfLi64ELi4ELi4ELb0EEvPKT_PKfPKiPfiiiiiiiiiiiiiiii.numbered_sgpr, max(33, .L_ZL14no_device_codePKciS0_iS0_.numbered_sgpr)
	.set _ZL9mul_mat_fIfLi64ELi4ELi4ELb0EEvPKT_PKfPKiPfiiiiiiiiiiiiiiii.num_named_barrier, max(0, .L_ZL14no_device_codePKciS0_iS0_.num_named_barrier)
	.set _ZL9mul_mat_fIfLi64ELi4ELi4ELb0EEvPKT_PKfPKiPfiiiiiiiiiiiiiiii.private_seg_size, 0+max(.L_ZL14no_device_codePKciS0_iS0_.private_seg_size)
	.set _ZL9mul_mat_fIfLi64ELi4ELi4ELb0EEvPKT_PKfPKiPfiiiiiiiiiiiiiiii.uses_vcc, or(1, .L_ZL14no_device_codePKciS0_iS0_.uses_vcc)
	.set _ZL9mul_mat_fIfLi64ELi4ELi4ELb0EEvPKT_PKfPKiPfiiiiiiiiiiiiiiii.uses_flat_scratch, or(0, .L_ZL14no_device_codePKciS0_iS0_.uses_flat_scratch)
	.set _ZL9mul_mat_fIfLi64ELi4ELi4ELb0EEvPKT_PKfPKiPfiiiiiiiiiiiiiiii.has_dyn_sized_stack, or(0, .L_ZL14no_device_codePKciS0_iS0_.has_dyn_sized_stack)
	.set _ZL9mul_mat_fIfLi64ELi4ELi4ELb0EEvPKT_PKfPKiPfiiiiiiiiiiiiiiii.has_recursion, or(0, .L_ZL14no_device_codePKciS0_iS0_.has_recursion)
	.set _ZL9mul_mat_fIfLi64ELi4ELi4ELb0EEvPKT_PKfPKiPfiiiiiiiiiiiiiiii.has_indirect_call, or(0, .L_ZL14no_device_codePKciS0_iS0_.has_indirect_call)
	.section	.AMDGPU.csdata,"",@progbits
; Kernel info:
; codeLenInByte = 76
; TotalNumSgprs: 36
; NumVgprs: 38
; ScratchSize: 16
; MemoryBound: 0
; FloatMode: 240
; IeeeMode: 1
; LDSByteSize: 0 bytes/workgroup (compile time only)
; SGPRBlocks: 0
; VGPRBlocks: 4
; NumSGPRsForWavesPerEU: 36
; NumVGPRsForWavesPerEU: 38
; Occupancy: 16
; WaveLimiterHint : 1
; COMPUTE_PGM_RSRC2:SCRATCH_EN: 1
; COMPUTE_PGM_RSRC2:USER_SGPR: 2
; COMPUTE_PGM_RSRC2:TRAP_HANDLER: 0
; COMPUTE_PGM_RSRC2:TGID_X_EN: 1
; COMPUTE_PGM_RSRC2:TGID_Y_EN: 0
; COMPUTE_PGM_RSRC2:TGID_Z_EN: 0
; COMPUTE_PGM_RSRC2:TIDIG_COMP_CNT: 0
	.section	.text._ZL13mul_mat_f_idsIfLi64ELi4ELi5EEvPKT_PKfPKiS6_S6_Pfiiiiiiiiiiiiii15HIP_vector_typeIjLj3EES9_,"axG",@progbits,_ZL13mul_mat_f_idsIfLi64ELi4ELi5EEvPKT_PKfPKiS6_S6_Pfiiiiiiiiiiiiii15HIP_vector_typeIjLj3EES9_,comdat
	.globl	_ZL13mul_mat_f_idsIfLi64ELi4ELi5EEvPKT_PKfPKiS6_S6_Pfiiiiiiiiiiiiii15HIP_vector_typeIjLj3EES9_ ; -- Begin function _ZL13mul_mat_f_idsIfLi64ELi4ELi5EEvPKT_PKfPKiS6_S6_Pfiiiiiiiiiiiiii15HIP_vector_typeIjLj3EES9_
	.p2align	8
	.type	_ZL13mul_mat_f_idsIfLi64ELi4ELi5EEvPKT_PKfPKiS6_S6_Pfiiiiiiiiiiiiii15HIP_vector_typeIjLj3EES9_,@function
_ZL13mul_mat_f_idsIfLi64ELi4ELi5EEvPKT_PKfPKiS6_S6_Pfiiiiiiiiiiiiii15HIP_vector_typeIjLj3EES9_: ; @_ZL13mul_mat_f_idsIfLi64ELi4ELi5EEvPKT_PKfPKiS6_S6_Pfiiiiiiiiiiiiii15HIP_vector_typeIjLj3EES9_
; %bb.0:
	s_getpc_b64 s[2:3]
	s_sext_i32_i16 s3, s3
	s_add_co_u32 s2, s2, __FUNCTION__._ZL13mul_mat_f_idsIfLi32ELi4ELi1EEvPKT_PKfPKiS6_S6_Pfiiiiiiiiiiiiii15HIP_vector_typeIjLj3EES9_@rel32@lo+8
	s_add_co_ci_u32 s3, s3, __FUNCTION__._ZL13mul_mat_f_idsIfLi32ELi4ELi1EEvPKT_PKfPKiS6_S6_Pfiiiiiiiiiiiiii15HIP_vector_typeIjLj3EES9_@rel32@hi+16
	v_dual_mov_b32 v0, 0x136 :: v_dual_mov_b32 v1, s2
	v_mov_b32_e32 v2, s3
	s_add_nc_u64 s[8:9], s[0:1], 0x80
	s_getpc_b64 s[0:1]
	s_sext_i32_i16 s1, s1
	s_add_co_u32 s0, s0, _ZL14no_device_codePKciS0_iS0_@rel32@lo+8
	s_add_co_ci_u32 s1, s1, _ZL14no_device_codePKciS0_iS0_@rel32@hi+16
	s_mov_b32 s32, 0
	s_swappc_b64 s[30:31], s[0:1]
	.section	.rodata,"a",@progbits
	.p2align	6, 0x0
	.amdhsa_kernel _ZL13mul_mat_f_idsIfLi64ELi4ELi5EEvPKT_PKfPKiS6_S6_Pfiiiiiiiiiiiiii15HIP_vector_typeIjLj3EES9_
		.amdhsa_group_segment_fixed_size 0
		.amdhsa_private_segment_fixed_size 16
		.amdhsa_kernarg_size 384
		.amdhsa_user_sgpr_count 2
		.amdhsa_user_sgpr_dispatch_ptr 0
		.amdhsa_user_sgpr_queue_ptr 0
		.amdhsa_user_sgpr_kernarg_segment_ptr 1
		.amdhsa_user_sgpr_dispatch_id 0
		.amdhsa_user_sgpr_private_segment_size 0
		.amdhsa_wavefront_size32 1
		.amdhsa_uses_dynamic_stack 0
		.amdhsa_enable_private_segment 1
		.amdhsa_system_sgpr_workgroup_id_x 1
		.amdhsa_system_sgpr_workgroup_id_y 0
		.amdhsa_system_sgpr_workgroup_id_z 0
		.amdhsa_system_sgpr_workgroup_info 0
		.amdhsa_system_vgpr_workitem_id 0
		.amdhsa_next_free_vgpr 38
		.amdhsa_next_free_sgpr 34
		.amdhsa_reserve_vcc 1
		.amdhsa_float_round_mode_32 0
		.amdhsa_float_round_mode_16_64 0
		.amdhsa_float_denorm_mode_32 3
		.amdhsa_float_denorm_mode_16_64 3
		.amdhsa_fp16_overflow 0
		.amdhsa_workgroup_processor_mode 1
		.amdhsa_memory_ordered 1
		.amdhsa_forward_progress 1
		.amdhsa_inst_pref_size 1
		.amdhsa_round_robin_scheduling 0
		.amdhsa_exception_fp_ieee_invalid_op 0
		.amdhsa_exception_fp_denorm_src 0
		.amdhsa_exception_fp_ieee_div_zero 0
		.amdhsa_exception_fp_ieee_overflow 0
		.amdhsa_exception_fp_ieee_underflow 0
		.amdhsa_exception_fp_ieee_inexact 0
		.amdhsa_exception_int_div_zero 0
	.end_amdhsa_kernel
	.section	.text._ZL13mul_mat_f_idsIfLi64ELi4ELi5EEvPKT_PKfPKiS6_S6_Pfiiiiiiiiiiiiii15HIP_vector_typeIjLj3EES9_,"axG",@progbits,_ZL13mul_mat_f_idsIfLi64ELi4ELi5EEvPKT_PKfPKiS6_S6_Pfiiiiiiiiiiiiii15HIP_vector_typeIjLj3EES9_,comdat
.Lfunc_end87:
	.size	_ZL13mul_mat_f_idsIfLi64ELi4ELi5EEvPKT_PKfPKiS6_S6_Pfiiiiiiiiiiiiii15HIP_vector_typeIjLj3EES9_, .Lfunc_end87-_ZL13mul_mat_f_idsIfLi64ELi4ELi5EEvPKT_PKfPKiS6_S6_Pfiiiiiiiiiiiiii15HIP_vector_typeIjLj3EES9_
                                        ; -- End function
	.set _ZL13mul_mat_f_idsIfLi64ELi4ELi5EEvPKT_PKfPKiS6_S6_Pfiiiiiiiiiiiiii15HIP_vector_typeIjLj3EES9_.num_vgpr, max(3, .L_ZL14no_device_codePKciS0_iS0_.num_vgpr)
	.set _ZL13mul_mat_f_idsIfLi64ELi4ELi5EEvPKT_PKfPKiS6_S6_Pfiiiiiiiiiiiiii15HIP_vector_typeIjLj3EES9_.num_agpr, max(0, .L_ZL14no_device_codePKciS0_iS0_.num_agpr)
	.set _ZL13mul_mat_f_idsIfLi64ELi4ELi5EEvPKT_PKfPKiS6_S6_Pfiiiiiiiiiiiiii15HIP_vector_typeIjLj3EES9_.numbered_sgpr, max(33, .L_ZL14no_device_codePKciS0_iS0_.numbered_sgpr)
	.set _ZL13mul_mat_f_idsIfLi64ELi4ELi5EEvPKT_PKfPKiS6_S6_Pfiiiiiiiiiiiiii15HIP_vector_typeIjLj3EES9_.num_named_barrier, max(0, .L_ZL14no_device_codePKciS0_iS0_.num_named_barrier)
	.set _ZL13mul_mat_f_idsIfLi64ELi4ELi5EEvPKT_PKfPKiS6_S6_Pfiiiiiiiiiiiiii15HIP_vector_typeIjLj3EES9_.private_seg_size, 0+max(.L_ZL14no_device_codePKciS0_iS0_.private_seg_size)
	.set _ZL13mul_mat_f_idsIfLi64ELi4ELi5EEvPKT_PKfPKiS6_S6_Pfiiiiiiiiiiiiii15HIP_vector_typeIjLj3EES9_.uses_vcc, or(1, .L_ZL14no_device_codePKciS0_iS0_.uses_vcc)
	.set _ZL13mul_mat_f_idsIfLi64ELi4ELi5EEvPKT_PKfPKiS6_S6_Pfiiiiiiiiiiiiii15HIP_vector_typeIjLj3EES9_.uses_flat_scratch, or(0, .L_ZL14no_device_codePKciS0_iS0_.uses_flat_scratch)
	.set _ZL13mul_mat_f_idsIfLi64ELi4ELi5EEvPKT_PKfPKiS6_S6_Pfiiiiiiiiiiiiii15HIP_vector_typeIjLj3EES9_.has_dyn_sized_stack, or(0, .L_ZL14no_device_codePKciS0_iS0_.has_dyn_sized_stack)
	.set _ZL13mul_mat_f_idsIfLi64ELi4ELi5EEvPKT_PKfPKiS6_S6_Pfiiiiiiiiiiiiii15HIP_vector_typeIjLj3EES9_.has_recursion, or(0, .L_ZL14no_device_codePKciS0_iS0_.has_recursion)
	.set _ZL13mul_mat_f_idsIfLi64ELi4ELi5EEvPKT_PKfPKiS6_S6_Pfiiiiiiiiiiiiii15HIP_vector_typeIjLj3EES9_.has_indirect_call, or(0, .L_ZL14no_device_codePKciS0_iS0_.has_indirect_call)
	.section	.AMDGPU.csdata,"",@progbits
; Kernel info:
; codeLenInByte = 80
; TotalNumSgprs: 36
; NumVgprs: 38
; ScratchSize: 16
; MemoryBound: 0
; FloatMode: 240
; IeeeMode: 1
; LDSByteSize: 0 bytes/workgroup (compile time only)
; SGPRBlocks: 0
; VGPRBlocks: 4
; NumSGPRsForWavesPerEU: 36
; NumVGPRsForWavesPerEU: 38
; Occupancy: 16
; WaveLimiterHint : 1
; COMPUTE_PGM_RSRC2:SCRATCH_EN: 1
; COMPUTE_PGM_RSRC2:USER_SGPR: 2
; COMPUTE_PGM_RSRC2:TRAP_HANDLER: 0
; COMPUTE_PGM_RSRC2:TGID_X_EN: 1
; COMPUTE_PGM_RSRC2:TGID_Y_EN: 0
; COMPUTE_PGM_RSRC2:TGID_Z_EN: 0
; COMPUTE_PGM_RSRC2:TIDIG_COMP_CNT: 0
	.section	.text._ZL9mul_mat_fIfLi64ELi4ELi5ELb1EEvPKT_PKfPKiPfiiiiiiiiiiiiiiii,"axG",@progbits,_ZL9mul_mat_fIfLi64ELi4ELi5ELb1EEvPKT_PKfPKiPfiiiiiiiiiiiiiiii,comdat
	.globl	_ZL9mul_mat_fIfLi64ELi4ELi5ELb1EEvPKT_PKfPKiPfiiiiiiiiiiiiiiii ; -- Begin function _ZL9mul_mat_fIfLi64ELi4ELi5ELb1EEvPKT_PKfPKiPfiiiiiiiiiiiiiiii
	.p2align	8
	.type	_ZL9mul_mat_fIfLi64ELi4ELi5ELb1EEvPKT_PKfPKiPfiiiiiiiiiiiiiiii,@function
_ZL9mul_mat_fIfLi64ELi4ELi5ELb1EEvPKT_PKfPKiPfiiiiiiiiiiiiiiii: ; @_ZL9mul_mat_fIfLi64ELi4ELi5ELb1EEvPKT_PKfPKiPfiiiiiiiiiiiiiiii
; %bb.0:
	s_getpc_b64 s[2:3]
	s_sext_i32_i16 s3, s3
	s_add_co_u32 s2, s2, __FUNCTION__._ZL9mul_mat_fIfLi32ELi4ELi1ELb1EEvPKT_PKfPKiPfiiiiiiiiiiiiiiii@rel32@lo+8
	s_add_co_ci_u32 s3, s3, __FUNCTION__._ZL9mul_mat_fIfLi32ELi4ELi1ELb1EEvPKT_PKfPKiPfiiiiiiiiiiiiiiii@rel32@hi+16
	v_dual_mov_b32 v0, 59 :: v_dual_mov_b32 v1, s2
	v_mov_b32_e32 v2, s3
	s_add_nc_u64 s[8:9], s[0:1], 0x60
	s_getpc_b64 s[0:1]
	s_sext_i32_i16 s1, s1
	s_add_co_u32 s0, s0, _ZL14no_device_codePKciS0_iS0_@rel32@lo+8
	s_add_co_ci_u32 s1, s1, _ZL14no_device_codePKciS0_iS0_@rel32@hi+16
	s_mov_b32 s32, 0
	s_swappc_b64 s[30:31], s[0:1]
	.section	.rodata,"a",@progbits
	.p2align	6, 0x0
	.amdhsa_kernel _ZL9mul_mat_fIfLi64ELi4ELi5ELb1EEvPKT_PKfPKiPfiiiiiiiiiiiiiiii
		.amdhsa_group_segment_fixed_size 0
		.amdhsa_private_segment_fixed_size 16
		.amdhsa_kernarg_size 352
		.amdhsa_user_sgpr_count 2
		.amdhsa_user_sgpr_dispatch_ptr 0
		.amdhsa_user_sgpr_queue_ptr 0
		.amdhsa_user_sgpr_kernarg_segment_ptr 1
		.amdhsa_user_sgpr_dispatch_id 0
		.amdhsa_user_sgpr_private_segment_size 0
		.amdhsa_wavefront_size32 1
		.amdhsa_uses_dynamic_stack 0
		.amdhsa_enable_private_segment 1
		.amdhsa_system_sgpr_workgroup_id_x 1
		.amdhsa_system_sgpr_workgroup_id_y 0
		.amdhsa_system_sgpr_workgroup_id_z 0
		.amdhsa_system_sgpr_workgroup_info 0
		.amdhsa_system_vgpr_workitem_id 0
		.amdhsa_next_free_vgpr 38
		.amdhsa_next_free_sgpr 34
		.amdhsa_reserve_vcc 1
		.amdhsa_float_round_mode_32 0
		.amdhsa_float_round_mode_16_64 0
		.amdhsa_float_denorm_mode_32 3
		.amdhsa_float_denorm_mode_16_64 3
		.amdhsa_fp16_overflow 0
		.amdhsa_workgroup_processor_mode 1
		.amdhsa_memory_ordered 1
		.amdhsa_forward_progress 1
		.amdhsa_inst_pref_size 1
		.amdhsa_round_robin_scheduling 0
		.amdhsa_exception_fp_ieee_invalid_op 0
		.amdhsa_exception_fp_denorm_src 0
		.amdhsa_exception_fp_ieee_div_zero 0
		.amdhsa_exception_fp_ieee_overflow 0
		.amdhsa_exception_fp_ieee_underflow 0
		.amdhsa_exception_fp_ieee_inexact 0
		.amdhsa_exception_int_div_zero 0
	.end_amdhsa_kernel
	.section	.text._ZL9mul_mat_fIfLi64ELi4ELi5ELb1EEvPKT_PKfPKiPfiiiiiiiiiiiiiiii,"axG",@progbits,_ZL9mul_mat_fIfLi64ELi4ELi5ELb1EEvPKT_PKfPKiPfiiiiiiiiiiiiiiii,comdat
.Lfunc_end88:
	.size	_ZL9mul_mat_fIfLi64ELi4ELi5ELb1EEvPKT_PKfPKiPfiiiiiiiiiiiiiiii, .Lfunc_end88-_ZL9mul_mat_fIfLi64ELi4ELi5ELb1EEvPKT_PKfPKiPfiiiiiiiiiiiiiiii
                                        ; -- End function
	.set _ZL9mul_mat_fIfLi64ELi4ELi5ELb1EEvPKT_PKfPKiPfiiiiiiiiiiiiiiii.num_vgpr, max(3, .L_ZL14no_device_codePKciS0_iS0_.num_vgpr)
	.set _ZL9mul_mat_fIfLi64ELi4ELi5ELb1EEvPKT_PKfPKiPfiiiiiiiiiiiiiiii.num_agpr, max(0, .L_ZL14no_device_codePKciS0_iS0_.num_agpr)
	.set _ZL9mul_mat_fIfLi64ELi4ELi5ELb1EEvPKT_PKfPKiPfiiiiiiiiiiiiiiii.numbered_sgpr, max(33, .L_ZL14no_device_codePKciS0_iS0_.numbered_sgpr)
	.set _ZL9mul_mat_fIfLi64ELi4ELi5ELb1EEvPKT_PKfPKiPfiiiiiiiiiiiiiiii.num_named_barrier, max(0, .L_ZL14no_device_codePKciS0_iS0_.num_named_barrier)
	.set _ZL9mul_mat_fIfLi64ELi4ELi5ELb1EEvPKT_PKfPKiPfiiiiiiiiiiiiiiii.private_seg_size, 0+max(.L_ZL14no_device_codePKciS0_iS0_.private_seg_size)
	.set _ZL9mul_mat_fIfLi64ELi4ELi5ELb1EEvPKT_PKfPKiPfiiiiiiiiiiiiiiii.uses_vcc, or(1, .L_ZL14no_device_codePKciS0_iS0_.uses_vcc)
	.set _ZL9mul_mat_fIfLi64ELi4ELi5ELb1EEvPKT_PKfPKiPfiiiiiiiiiiiiiiii.uses_flat_scratch, or(0, .L_ZL14no_device_codePKciS0_iS0_.uses_flat_scratch)
	.set _ZL9mul_mat_fIfLi64ELi4ELi5ELb1EEvPKT_PKfPKiPfiiiiiiiiiiiiiiii.has_dyn_sized_stack, or(0, .L_ZL14no_device_codePKciS0_iS0_.has_dyn_sized_stack)
	.set _ZL9mul_mat_fIfLi64ELi4ELi5ELb1EEvPKT_PKfPKiPfiiiiiiiiiiiiiiii.has_recursion, or(0, .L_ZL14no_device_codePKciS0_iS0_.has_recursion)
	.set _ZL9mul_mat_fIfLi64ELi4ELi5ELb1EEvPKT_PKfPKiPfiiiiiiiiiiiiiiii.has_indirect_call, or(0, .L_ZL14no_device_codePKciS0_iS0_.has_indirect_call)
	.section	.AMDGPU.csdata,"",@progbits
; Kernel info:
; codeLenInByte = 76
; TotalNumSgprs: 36
; NumVgprs: 38
; ScratchSize: 16
; MemoryBound: 0
; FloatMode: 240
; IeeeMode: 1
; LDSByteSize: 0 bytes/workgroup (compile time only)
; SGPRBlocks: 0
; VGPRBlocks: 4
; NumSGPRsForWavesPerEU: 36
; NumVGPRsForWavesPerEU: 38
; Occupancy: 16
; WaveLimiterHint : 1
; COMPUTE_PGM_RSRC2:SCRATCH_EN: 1
; COMPUTE_PGM_RSRC2:USER_SGPR: 2
; COMPUTE_PGM_RSRC2:TRAP_HANDLER: 0
; COMPUTE_PGM_RSRC2:TGID_X_EN: 1
; COMPUTE_PGM_RSRC2:TGID_Y_EN: 0
; COMPUTE_PGM_RSRC2:TGID_Z_EN: 0
; COMPUTE_PGM_RSRC2:TIDIG_COMP_CNT: 0
	.section	.text._ZL9mul_mat_fIfLi64ELi4ELi5ELb0EEvPKT_PKfPKiPfiiiiiiiiiiiiiiii,"axG",@progbits,_ZL9mul_mat_fIfLi64ELi4ELi5ELb0EEvPKT_PKfPKiPfiiiiiiiiiiiiiiii,comdat
	.globl	_ZL9mul_mat_fIfLi64ELi4ELi5ELb0EEvPKT_PKfPKiPfiiiiiiiiiiiiiiii ; -- Begin function _ZL9mul_mat_fIfLi64ELi4ELi5ELb0EEvPKT_PKfPKiPfiiiiiiiiiiiiiiii
	.p2align	8
	.type	_ZL9mul_mat_fIfLi64ELi4ELi5ELb0EEvPKT_PKfPKiPfiiiiiiiiiiiiiiii,@function
_ZL9mul_mat_fIfLi64ELi4ELi5ELb0EEvPKT_PKfPKiPfiiiiiiiiiiiiiiii: ; @_ZL9mul_mat_fIfLi64ELi4ELi5ELb0EEvPKT_PKfPKiPfiiiiiiiiiiiiiiii
; %bb.0:
	s_getpc_b64 s[2:3]
	s_sext_i32_i16 s3, s3
	s_add_co_u32 s2, s2, __FUNCTION__._ZL9mul_mat_fIfLi32ELi4ELi1ELb1EEvPKT_PKfPKiPfiiiiiiiiiiiiiiii@rel32@lo+8
	s_add_co_ci_u32 s3, s3, __FUNCTION__._ZL9mul_mat_fIfLi32ELi4ELi1ELb1EEvPKT_PKfPKiPfiiiiiiiiiiiiiiii@rel32@hi+16
	v_dual_mov_b32 v0, 59 :: v_dual_mov_b32 v1, s2
	v_mov_b32_e32 v2, s3
	s_add_nc_u64 s[8:9], s[0:1], 0x60
	s_getpc_b64 s[0:1]
	s_sext_i32_i16 s1, s1
	s_add_co_u32 s0, s0, _ZL14no_device_codePKciS0_iS0_@rel32@lo+8
	s_add_co_ci_u32 s1, s1, _ZL14no_device_codePKciS0_iS0_@rel32@hi+16
	s_mov_b32 s32, 0
	s_swappc_b64 s[30:31], s[0:1]
	.section	.rodata,"a",@progbits
	.p2align	6, 0x0
	.amdhsa_kernel _ZL9mul_mat_fIfLi64ELi4ELi5ELb0EEvPKT_PKfPKiPfiiiiiiiiiiiiiiii
		.amdhsa_group_segment_fixed_size 0
		.amdhsa_private_segment_fixed_size 16
		.amdhsa_kernarg_size 352
		.amdhsa_user_sgpr_count 2
		.amdhsa_user_sgpr_dispatch_ptr 0
		.amdhsa_user_sgpr_queue_ptr 0
		.amdhsa_user_sgpr_kernarg_segment_ptr 1
		.amdhsa_user_sgpr_dispatch_id 0
		.amdhsa_user_sgpr_private_segment_size 0
		.amdhsa_wavefront_size32 1
		.amdhsa_uses_dynamic_stack 0
		.amdhsa_enable_private_segment 1
		.amdhsa_system_sgpr_workgroup_id_x 1
		.amdhsa_system_sgpr_workgroup_id_y 0
		.amdhsa_system_sgpr_workgroup_id_z 0
		.amdhsa_system_sgpr_workgroup_info 0
		.amdhsa_system_vgpr_workitem_id 0
		.amdhsa_next_free_vgpr 38
		.amdhsa_next_free_sgpr 34
		.amdhsa_reserve_vcc 1
		.amdhsa_float_round_mode_32 0
		.amdhsa_float_round_mode_16_64 0
		.amdhsa_float_denorm_mode_32 3
		.amdhsa_float_denorm_mode_16_64 3
		.amdhsa_fp16_overflow 0
		.amdhsa_workgroup_processor_mode 1
		.amdhsa_memory_ordered 1
		.amdhsa_forward_progress 1
		.amdhsa_inst_pref_size 1
		.amdhsa_round_robin_scheduling 0
		.amdhsa_exception_fp_ieee_invalid_op 0
		.amdhsa_exception_fp_denorm_src 0
		.amdhsa_exception_fp_ieee_div_zero 0
		.amdhsa_exception_fp_ieee_overflow 0
		.amdhsa_exception_fp_ieee_underflow 0
		.amdhsa_exception_fp_ieee_inexact 0
		.amdhsa_exception_int_div_zero 0
	.end_amdhsa_kernel
	.section	.text._ZL9mul_mat_fIfLi64ELi4ELi5ELb0EEvPKT_PKfPKiPfiiiiiiiiiiiiiiii,"axG",@progbits,_ZL9mul_mat_fIfLi64ELi4ELi5ELb0EEvPKT_PKfPKiPfiiiiiiiiiiiiiiii,comdat
.Lfunc_end89:
	.size	_ZL9mul_mat_fIfLi64ELi4ELi5ELb0EEvPKT_PKfPKiPfiiiiiiiiiiiiiiii, .Lfunc_end89-_ZL9mul_mat_fIfLi64ELi4ELi5ELb0EEvPKT_PKfPKiPfiiiiiiiiiiiiiiii
                                        ; -- End function
	.set _ZL9mul_mat_fIfLi64ELi4ELi5ELb0EEvPKT_PKfPKiPfiiiiiiiiiiiiiiii.num_vgpr, max(3, .L_ZL14no_device_codePKciS0_iS0_.num_vgpr)
	.set _ZL9mul_mat_fIfLi64ELi4ELi5ELb0EEvPKT_PKfPKiPfiiiiiiiiiiiiiiii.num_agpr, max(0, .L_ZL14no_device_codePKciS0_iS0_.num_agpr)
	.set _ZL9mul_mat_fIfLi64ELi4ELi5ELb0EEvPKT_PKfPKiPfiiiiiiiiiiiiiiii.numbered_sgpr, max(33, .L_ZL14no_device_codePKciS0_iS0_.numbered_sgpr)
	.set _ZL9mul_mat_fIfLi64ELi4ELi5ELb0EEvPKT_PKfPKiPfiiiiiiiiiiiiiiii.num_named_barrier, max(0, .L_ZL14no_device_codePKciS0_iS0_.num_named_barrier)
	.set _ZL9mul_mat_fIfLi64ELi4ELi5ELb0EEvPKT_PKfPKiPfiiiiiiiiiiiiiiii.private_seg_size, 0+max(.L_ZL14no_device_codePKciS0_iS0_.private_seg_size)
	.set _ZL9mul_mat_fIfLi64ELi4ELi5ELb0EEvPKT_PKfPKiPfiiiiiiiiiiiiiiii.uses_vcc, or(1, .L_ZL14no_device_codePKciS0_iS0_.uses_vcc)
	.set _ZL9mul_mat_fIfLi64ELi4ELi5ELb0EEvPKT_PKfPKiPfiiiiiiiiiiiiiiii.uses_flat_scratch, or(0, .L_ZL14no_device_codePKciS0_iS0_.uses_flat_scratch)
	.set _ZL9mul_mat_fIfLi64ELi4ELi5ELb0EEvPKT_PKfPKiPfiiiiiiiiiiiiiiii.has_dyn_sized_stack, or(0, .L_ZL14no_device_codePKciS0_iS0_.has_dyn_sized_stack)
	.set _ZL9mul_mat_fIfLi64ELi4ELi5ELb0EEvPKT_PKfPKiPfiiiiiiiiiiiiiiii.has_recursion, or(0, .L_ZL14no_device_codePKciS0_iS0_.has_recursion)
	.set _ZL9mul_mat_fIfLi64ELi4ELi5ELb0EEvPKT_PKfPKiPfiiiiiiiiiiiiiiii.has_indirect_call, or(0, .L_ZL14no_device_codePKciS0_iS0_.has_indirect_call)
	.section	.AMDGPU.csdata,"",@progbits
; Kernel info:
; codeLenInByte = 76
; TotalNumSgprs: 36
; NumVgprs: 38
; ScratchSize: 16
; MemoryBound: 0
; FloatMode: 240
; IeeeMode: 1
; LDSByteSize: 0 bytes/workgroup (compile time only)
; SGPRBlocks: 0
; VGPRBlocks: 4
; NumSGPRsForWavesPerEU: 36
; NumVGPRsForWavesPerEU: 38
; Occupancy: 16
; WaveLimiterHint : 1
; COMPUTE_PGM_RSRC2:SCRATCH_EN: 1
; COMPUTE_PGM_RSRC2:USER_SGPR: 2
; COMPUTE_PGM_RSRC2:TRAP_HANDLER: 0
; COMPUTE_PGM_RSRC2:TGID_X_EN: 1
; COMPUTE_PGM_RSRC2:TGID_Y_EN: 0
; COMPUTE_PGM_RSRC2:TGID_Z_EN: 0
; COMPUTE_PGM_RSRC2:TIDIG_COMP_CNT: 0
	.section	.text._ZL13mul_mat_f_idsIfLi64ELi4ELi6EEvPKT_PKfPKiS6_S6_Pfiiiiiiiiiiiiii15HIP_vector_typeIjLj3EES9_,"axG",@progbits,_ZL13mul_mat_f_idsIfLi64ELi4ELi6EEvPKT_PKfPKiS6_S6_Pfiiiiiiiiiiiiii15HIP_vector_typeIjLj3EES9_,comdat
	.globl	_ZL13mul_mat_f_idsIfLi64ELi4ELi6EEvPKT_PKfPKiS6_S6_Pfiiiiiiiiiiiiii15HIP_vector_typeIjLj3EES9_ ; -- Begin function _ZL13mul_mat_f_idsIfLi64ELi4ELi6EEvPKT_PKfPKiS6_S6_Pfiiiiiiiiiiiiii15HIP_vector_typeIjLj3EES9_
	.p2align	8
	.type	_ZL13mul_mat_f_idsIfLi64ELi4ELi6EEvPKT_PKfPKiS6_S6_Pfiiiiiiiiiiiiii15HIP_vector_typeIjLj3EES9_,@function
_ZL13mul_mat_f_idsIfLi64ELi4ELi6EEvPKT_PKfPKiS6_S6_Pfiiiiiiiiiiiiii15HIP_vector_typeIjLj3EES9_: ; @_ZL13mul_mat_f_idsIfLi64ELi4ELi6EEvPKT_PKfPKiS6_S6_Pfiiiiiiiiiiiiii15HIP_vector_typeIjLj3EES9_
; %bb.0:
	s_getpc_b64 s[2:3]
	s_sext_i32_i16 s3, s3
	s_add_co_u32 s2, s2, __FUNCTION__._ZL13mul_mat_f_idsIfLi32ELi4ELi1EEvPKT_PKfPKiS6_S6_Pfiiiiiiiiiiiiii15HIP_vector_typeIjLj3EES9_@rel32@lo+8
	s_add_co_ci_u32 s3, s3, __FUNCTION__._ZL13mul_mat_f_idsIfLi32ELi4ELi1EEvPKT_PKfPKiS6_S6_Pfiiiiiiiiiiiiii15HIP_vector_typeIjLj3EES9_@rel32@hi+16
	v_dual_mov_b32 v0, 0x136 :: v_dual_mov_b32 v1, s2
	v_mov_b32_e32 v2, s3
	s_add_nc_u64 s[8:9], s[0:1], 0x80
	s_getpc_b64 s[0:1]
	s_sext_i32_i16 s1, s1
	s_add_co_u32 s0, s0, _ZL14no_device_codePKciS0_iS0_@rel32@lo+8
	s_add_co_ci_u32 s1, s1, _ZL14no_device_codePKciS0_iS0_@rel32@hi+16
	s_mov_b32 s32, 0
	s_swappc_b64 s[30:31], s[0:1]
	.section	.rodata,"a",@progbits
	.p2align	6, 0x0
	.amdhsa_kernel _ZL13mul_mat_f_idsIfLi64ELi4ELi6EEvPKT_PKfPKiS6_S6_Pfiiiiiiiiiiiiii15HIP_vector_typeIjLj3EES9_
		.amdhsa_group_segment_fixed_size 0
		.amdhsa_private_segment_fixed_size 16
		.amdhsa_kernarg_size 384
		.amdhsa_user_sgpr_count 2
		.amdhsa_user_sgpr_dispatch_ptr 0
		.amdhsa_user_sgpr_queue_ptr 0
		.amdhsa_user_sgpr_kernarg_segment_ptr 1
		.amdhsa_user_sgpr_dispatch_id 0
		.amdhsa_user_sgpr_private_segment_size 0
		.amdhsa_wavefront_size32 1
		.amdhsa_uses_dynamic_stack 0
		.amdhsa_enable_private_segment 1
		.amdhsa_system_sgpr_workgroup_id_x 1
		.amdhsa_system_sgpr_workgroup_id_y 0
		.amdhsa_system_sgpr_workgroup_id_z 0
		.amdhsa_system_sgpr_workgroup_info 0
		.amdhsa_system_vgpr_workitem_id 0
		.amdhsa_next_free_vgpr 38
		.amdhsa_next_free_sgpr 34
		.amdhsa_reserve_vcc 1
		.amdhsa_float_round_mode_32 0
		.amdhsa_float_round_mode_16_64 0
		.amdhsa_float_denorm_mode_32 3
		.amdhsa_float_denorm_mode_16_64 3
		.amdhsa_fp16_overflow 0
		.amdhsa_workgroup_processor_mode 1
		.amdhsa_memory_ordered 1
		.amdhsa_forward_progress 1
		.amdhsa_inst_pref_size 1
		.amdhsa_round_robin_scheduling 0
		.amdhsa_exception_fp_ieee_invalid_op 0
		.amdhsa_exception_fp_denorm_src 0
		.amdhsa_exception_fp_ieee_div_zero 0
		.amdhsa_exception_fp_ieee_overflow 0
		.amdhsa_exception_fp_ieee_underflow 0
		.amdhsa_exception_fp_ieee_inexact 0
		.amdhsa_exception_int_div_zero 0
	.end_amdhsa_kernel
	.section	.text._ZL13mul_mat_f_idsIfLi64ELi4ELi6EEvPKT_PKfPKiS6_S6_Pfiiiiiiiiiiiiii15HIP_vector_typeIjLj3EES9_,"axG",@progbits,_ZL13mul_mat_f_idsIfLi64ELi4ELi6EEvPKT_PKfPKiS6_S6_Pfiiiiiiiiiiiiii15HIP_vector_typeIjLj3EES9_,comdat
.Lfunc_end90:
	.size	_ZL13mul_mat_f_idsIfLi64ELi4ELi6EEvPKT_PKfPKiS6_S6_Pfiiiiiiiiiiiiii15HIP_vector_typeIjLj3EES9_, .Lfunc_end90-_ZL13mul_mat_f_idsIfLi64ELi4ELi6EEvPKT_PKfPKiS6_S6_Pfiiiiiiiiiiiiii15HIP_vector_typeIjLj3EES9_
                                        ; -- End function
	.set _ZL13mul_mat_f_idsIfLi64ELi4ELi6EEvPKT_PKfPKiS6_S6_Pfiiiiiiiiiiiiii15HIP_vector_typeIjLj3EES9_.num_vgpr, max(3, .L_ZL14no_device_codePKciS0_iS0_.num_vgpr)
	.set _ZL13mul_mat_f_idsIfLi64ELi4ELi6EEvPKT_PKfPKiS6_S6_Pfiiiiiiiiiiiiii15HIP_vector_typeIjLj3EES9_.num_agpr, max(0, .L_ZL14no_device_codePKciS0_iS0_.num_agpr)
	.set _ZL13mul_mat_f_idsIfLi64ELi4ELi6EEvPKT_PKfPKiS6_S6_Pfiiiiiiiiiiiiii15HIP_vector_typeIjLj3EES9_.numbered_sgpr, max(33, .L_ZL14no_device_codePKciS0_iS0_.numbered_sgpr)
	.set _ZL13mul_mat_f_idsIfLi64ELi4ELi6EEvPKT_PKfPKiS6_S6_Pfiiiiiiiiiiiiii15HIP_vector_typeIjLj3EES9_.num_named_barrier, max(0, .L_ZL14no_device_codePKciS0_iS0_.num_named_barrier)
	.set _ZL13mul_mat_f_idsIfLi64ELi4ELi6EEvPKT_PKfPKiS6_S6_Pfiiiiiiiiiiiiii15HIP_vector_typeIjLj3EES9_.private_seg_size, 0+max(.L_ZL14no_device_codePKciS0_iS0_.private_seg_size)
	.set _ZL13mul_mat_f_idsIfLi64ELi4ELi6EEvPKT_PKfPKiS6_S6_Pfiiiiiiiiiiiiii15HIP_vector_typeIjLj3EES9_.uses_vcc, or(1, .L_ZL14no_device_codePKciS0_iS0_.uses_vcc)
	.set _ZL13mul_mat_f_idsIfLi64ELi4ELi6EEvPKT_PKfPKiS6_S6_Pfiiiiiiiiiiiiii15HIP_vector_typeIjLj3EES9_.uses_flat_scratch, or(0, .L_ZL14no_device_codePKciS0_iS0_.uses_flat_scratch)
	.set _ZL13mul_mat_f_idsIfLi64ELi4ELi6EEvPKT_PKfPKiS6_S6_Pfiiiiiiiiiiiiii15HIP_vector_typeIjLj3EES9_.has_dyn_sized_stack, or(0, .L_ZL14no_device_codePKciS0_iS0_.has_dyn_sized_stack)
	.set _ZL13mul_mat_f_idsIfLi64ELi4ELi6EEvPKT_PKfPKiS6_S6_Pfiiiiiiiiiiiiii15HIP_vector_typeIjLj3EES9_.has_recursion, or(0, .L_ZL14no_device_codePKciS0_iS0_.has_recursion)
	.set _ZL13mul_mat_f_idsIfLi64ELi4ELi6EEvPKT_PKfPKiS6_S6_Pfiiiiiiiiiiiiii15HIP_vector_typeIjLj3EES9_.has_indirect_call, or(0, .L_ZL14no_device_codePKciS0_iS0_.has_indirect_call)
	.section	.AMDGPU.csdata,"",@progbits
; Kernel info:
; codeLenInByte = 80
; TotalNumSgprs: 36
; NumVgprs: 38
; ScratchSize: 16
; MemoryBound: 0
; FloatMode: 240
; IeeeMode: 1
; LDSByteSize: 0 bytes/workgroup (compile time only)
; SGPRBlocks: 0
; VGPRBlocks: 4
; NumSGPRsForWavesPerEU: 36
; NumVGPRsForWavesPerEU: 38
; Occupancy: 16
; WaveLimiterHint : 1
; COMPUTE_PGM_RSRC2:SCRATCH_EN: 1
; COMPUTE_PGM_RSRC2:USER_SGPR: 2
; COMPUTE_PGM_RSRC2:TRAP_HANDLER: 0
; COMPUTE_PGM_RSRC2:TGID_X_EN: 1
; COMPUTE_PGM_RSRC2:TGID_Y_EN: 0
; COMPUTE_PGM_RSRC2:TGID_Z_EN: 0
; COMPUTE_PGM_RSRC2:TIDIG_COMP_CNT: 0
	.section	.text._ZL9mul_mat_fIfLi64ELi4ELi6ELb1EEvPKT_PKfPKiPfiiiiiiiiiiiiiiii,"axG",@progbits,_ZL9mul_mat_fIfLi64ELi4ELi6ELb1EEvPKT_PKfPKiPfiiiiiiiiiiiiiiii,comdat
	.globl	_ZL9mul_mat_fIfLi64ELi4ELi6ELb1EEvPKT_PKfPKiPfiiiiiiiiiiiiiiii ; -- Begin function _ZL9mul_mat_fIfLi64ELi4ELi6ELb1EEvPKT_PKfPKiPfiiiiiiiiiiiiiiii
	.p2align	8
	.type	_ZL9mul_mat_fIfLi64ELi4ELi6ELb1EEvPKT_PKfPKiPfiiiiiiiiiiiiiiii,@function
_ZL9mul_mat_fIfLi64ELi4ELi6ELb1EEvPKT_PKfPKiPfiiiiiiiiiiiiiiii: ; @_ZL9mul_mat_fIfLi64ELi4ELi6ELb1EEvPKT_PKfPKiPfiiiiiiiiiiiiiiii
; %bb.0:
	s_getpc_b64 s[2:3]
	s_sext_i32_i16 s3, s3
	s_add_co_u32 s2, s2, __FUNCTION__._ZL9mul_mat_fIfLi32ELi4ELi1ELb1EEvPKT_PKfPKiPfiiiiiiiiiiiiiiii@rel32@lo+8
	s_add_co_ci_u32 s3, s3, __FUNCTION__._ZL9mul_mat_fIfLi32ELi4ELi1ELb1EEvPKT_PKfPKiPfiiiiiiiiiiiiiiii@rel32@hi+16
	v_dual_mov_b32 v0, 59 :: v_dual_mov_b32 v1, s2
	v_mov_b32_e32 v2, s3
	s_add_nc_u64 s[8:9], s[0:1], 0x60
	s_getpc_b64 s[0:1]
	s_sext_i32_i16 s1, s1
	s_add_co_u32 s0, s0, _ZL14no_device_codePKciS0_iS0_@rel32@lo+8
	s_add_co_ci_u32 s1, s1, _ZL14no_device_codePKciS0_iS0_@rel32@hi+16
	s_mov_b32 s32, 0
	s_swappc_b64 s[30:31], s[0:1]
	.section	.rodata,"a",@progbits
	.p2align	6, 0x0
	.amdhsa_kernel _ZL9mul_mat_fIfLi64ELi4ELi6ELb1EEvPKT_PKfPKiPfiiiiiiiiiiiiiiii
		.amdhsa_group_segment_fixed_size 0
		.amdhsa_private_segment_fixed_size 16
		.amdhsa_kernarg_size 352
		.amdhsa_user_sgpr_count 2
		.amdhsa_user_sgpr_dispatch_ptr 0
		.amdhsa_user_sgpr_queue_ptr 0
		.amdhsa_user_sgpr_kernarg_segment_ptr 1
		.amdhsa_user_sgpr_dispatch_id 0
		.amdhsa_user_sgpr_private_segment_size 0
		.amdhsa_wavefront_size32 1
		.amdhsa_uses_dynamic_stack 0
		.amdhsa_enable_private_segment 1
		.amdhsa_system_sgpr_workgroup_id_x 1
		.amdhsa_system_sgpr_workgroup_id_y 0
		.amdhsa_system_sgpr_workgroup_id_z 0
		.amdhsa_system_sgpr_workgroup_info 0
		.amdhsa_system_vgpr_workitem_id 0
		.amdhsa_next_free_vgpr 38
		.amdhsa_next_free_sgpr 34
		.amdhsa_reserve_vcc 1
		.amdhsa_float_round_mode_32 0
		.amdhsa_float_round_mode_16_64 0
		.amdhsa_float_denorm_mode_32 3
		.amdhsa_float_denorm_mode_16_64 3
		.amdhsa_fp16_overflow 0
		.amdhsa_workgroup_processor_mode 1
		.amdhsa_memory_ordered 1
		.amdhsa_forward_progress 1
		.amdhsa_inst_pref_size 1
		.amdhsa_round_robin_scheduling 0
		.amdhsa_exception_fp_ieee_invalid_op 0
		.amdhsa_exception_fp_denorm_src 0
		.amdhsa_exception_fp_ieee_div_zero 0
		.amdhsa_exception_fp_ieee_overflow 0
		.amdhsa_exception_fp_ieee_underflow 0
		.amdhsa_exception_fp_ieee_inexact 0
		.amdhsa_exception_int_div_zero 0
	.end_amdhsa_kernel
	.section	.text._ZL9mul_mat_fIfLi64ELi4ELi6ELb1EEvPKT_PKfPKiPfiiiiiiiiiiiiiiii,"axG",@progbits,_ZL9mul_mat_fIfLi64ELi4ELi6ELb1EEvPKT_PKfPKiPfiiiiiiiiiiiiiiii,comdat
.Lfunc_end91:
	.size	_ZL9mul_mat_fIfLi64ELi4ELi6ELb1EEvPKT_PKfPKiPfiiiiiiiiiiiiiiii, .Lfunc_end91-_ZL9mul_mat_fIfLi64ELi4ELi6ELb1EEvPKT_PKfPKiPfiiiiiiiiiiiiiiii
                                        ; -- End function
	.set _ZL9mul_mat_fIfLi64ELi4ELi6ELb1EEvPKT_PKfPKiPfiiiiiiiiiiiiiiii.num_vgpr, max(3, .L_ZL14no_device_codePKciS0_iS0_.num_vgpr)
	.set _ZL9mul_mat_fIfLi64ELi4ELi6ELb1EEvPKT_PKfPKiPfiiiiiiiiiiiiiiii.num_agpr, max(0, .L_ZL14no_device_codePKciS0_iS0_.num_agpr)
	.set _ZL9mul_mat_fIfLi64ELi4ELi6ELb1EEvPKT_PKfPKiPfiiiiiiiiiiiiiiii.numbered_sgpr, max(33, .L_ZL14no_device_codePKciS0_iS0_.numbered_sgpr)
	.set _ZL9mul_mat_fIfLi64ELi4ELi6ELb1EEvPKT_PKfPKiPfiiiiiiiiiiiiiiii.num_named_barrier, max(0, .L_ZL14no_device_codePKciS0_iS0_.num_named_barrier)
	.set _ZL9mul_mat_fIfLi64ELi4ELi6ELb1EEvPKT_PKfPKiPfiiiiiiiiiiiiiiii.private_seg_size, 0+max(.L_ZL14no_device_codePKciS0_iS0_.private_seg_size)
	.set _ZL9mul_mat_fIfLi64ELi4ELi6ELb1EEvPKT_PKfPKiPfiiiiiiiiiiiiiiii.uses_vcc, or(1, .L_ZL14no_device_codePKciS0_iS0_.uses_vcc)
	.set _ZL9mul_mat_fIfLi64ELi4ELi6ELb1EEvPKT_PKfPKiPfiiiiiiiiiiiiiiii.uses_flat_scratch, or(0, .L_ZL14no_device_codePKciS0_iS0_.uses_flat_scratch)
	.set _ZL9mul_mat_fIfLi64ELi4ELi6ELb1EEvPKT_PKfPKiPfiiiiiiiiiiiiiiii.has_dyn_sized_stack, or(0, .L_ZL14no_device_codePKciS0_iS0_.has_dyn_sized_stack)
	.set _ZL9mul_mat_fIfLi64ELi4ELi6ELb1EEvPKT_PKfPKiPfiiiiiiiiiiiiiiii.has_recursion, or(0, .L_ZL14no_device_codePKciS0_iS0_.has_recursion)
	.set _ZL9mul_mat_fIfLi64ELi4ELi6ELb1EEvPKT_PKfPKiPfiiiiiiiiiiiiiiii.has_indirect_call, or(0, .L_ZL14no_device_codePKciS0_iS0_.has_indirect_call)
	.section	.AMDGPU.csdata,"",@progbits
; Kernel info:
; codeLenInByte = 76
; TotalNumSgprs: 36
; NumVgprs: 38
; ScratchSize: 16
; MemoryBound: 0
; FloatMode: 240
; IeeeMode: 1
; LDSByteSize: 0 bytes/workgroup (compile time only)
; SGPRBlocks: 0
; VGPRBlocks: 4
; NumSGPRsForWavesPerEU: 36
; NumVGPRsForWavesPerEU: 38
; Occupancy: 16
; WaveLimiterHint : 1
; COMPUTE_PGM_RSRC2:SCRATCH_EN: 1
; COMPUTE_PGM_RSRC2:USER_SGPR: 2
; COMPUTE_PGM_RSRC2:TRAP_HANDLER: 0
; COMPUTE_PGM_RSRC2:TGID_X_EN: 1
; COMPUTE_PGM_RSRC2:TGID_Y_EN: 0
; COMPUTE_PGM_RSRC2:TGID_Z_EN: 0
; COMPUTE_PGM_RSRC2:TIDIG_COMP_CNT: 0
	.section	.text._ZL9mul_mat_fIfLi64ELi4ELi6ELb0EEvPKT_PKfPKiPfiiiiiiiiiiiiiiii,"axG",@progbits,_ZL9mul_mat_fIfLi64ELi4ELi6ELb0EEvPKT_PKfPKiPfiiiiiiiiiiiiiiii,comdat
	.globl	_ZL9mul_mat_fIfLi64ELi4ELi6ELb0EEvPKT_PKfPKiPfiiiiiiiiiiiiiiii ; -- Begin function _ZL9mul_mat_fIfLi64ELi4ELi6ELb0EEvPKT_PKfPKiPfiiiiiiiiiiiiiiii
	.p2align	8
	.type	_ZL9mul_mat_fIfLi64ELi4ELi6ELb0EEvPKT_PKfPKiPfiiiiiiiiiiiiiiii,@function
_ZL9mul_mat_fIfLi64ELi4ELi6ELb0EEvPKT_PKfPKiPfiiiiiiiiiiiiiiii: ; @_ZL9mul_mat_fIfLi64ELi4ELi6ELb0EEvPKT_PKfPKiPfiiiiiiiiiiiiiiii
; %bb.0:
	s_getpc_b64 s[2:3]
	s_sext_i32_i16 s3, s3
	s_add_co_u32 s2, s2, __FUNCTION__._ZL9mul_mat_fIfLi32ELi4ELi1ELb1EEvPKT_PKfPKiPfiiiiiiiiiiiiiiii@rel32@lo+8
	s_add_co_ci_u32 s3, s3, __FUNCTION__._ZL9mul_mat_fIfLi32ELi4ELi1ELb1EEvPKT_PKfPKiPfiiiiiiiiiiiiiiii@rel32@hi+16
	v_dual_mov_b32 v0, 59 :: v_dual_mov_b32 v1, s2
	v_mov_b32_e32 v2, s3
	s_add_nc_u64 s[8:9], s[0:1], 0x60
	s_getpc_b64 s[0:1]
	s_sext_i32_i16 s1, s1
	s_add_co_u32 s0, s0, _ZL14no_device_codePKciS0_iS0_@rel32@lo+8
	s_add_co_ci_u32 s1, s1, _ZL14no_device_codePKciS0_iS0_@rel32@hi+16
	s_mov_b32 s32, 0
	s_swappc_b64 s[30:31], s[0:1]
	.section	.rodata,"a",@progbits
	.p2align	6, 0x0
	.amdhsa_kernel _ZL9mul_mat_fIfLi64ELi4ELi6ELb0EEvPKT_PKfPKiPfiiiiiiiiiiiiiiii
		.amdhsa_group_segment_fixed_size 0
		.amdhsa_private_segment_fixed_size 16
		.amdhsa_kernarg_size 352
		.amdhsa_user_sgpr_count 2
		.amdhsa_user_sgpr_dispatch_ptr 0
		.amdhsa_user_sgpr_queue_ptr 0
		.amdhsa_user_sgpr_kernarg_segment_ptr 1
		.amdhsa_user_sgpr_dispatch_id 0
		.amdhsa_user_sgpr_private_segment_size 0
		.amdhsa_wavefront_size32 1
		.amdhsa_uses_dynamic_stack 0
		.amdhsa_enable_private_segment 1
		.amdhsa_system_sgpr_workgroup_id_x 1
		.amdhsa_system_sgpr_workgroup_id_y 0
		.amdhsa_system_sgpr_workgroup_id_z 0
		.amdhsa_system_sgpr_workgroup_info 0
		.amdhsa_system_vgpr_workitem_id 0
		.amdhsa_next_free_vgpr 38
		.amdhsa_next_free_sgpr 34
		.amdhsa_reserve_vcc 1
		.amdhsa_float_round_mode_32 0
		.amdhsa_float_round_mode_16_64 0
		.amdhsa_float_denorm_mode_32 3
		.amdhsa_float_denorm_mode_16_64 3
		.amdhsa_fp16_overflow 0
		.amdhsa_workgroup_processor_mode 1
		.amdhsa_memory_ordered 1
		.amdhsa_forward_progress 1
		.amdhsa_inst_pref_size 1
		.amdhsa_round_robin_scheduling 0
		.amdhsa_exception_fp_ieee_invalid_op 0
		.amdhsa_exception_fp_denorm_src 0
		.amdhsa_exception_fp_ieee_div_zero 0
		.amdhsa_exception_fp_ieee_overflow 0
		.amdhsa_exception_fp_ieee_underflow 0
		.amdhsa_exception_fp_ieee_inexact 0
		.amdhsa_exception_int_div_zero 0
	.end_amdhsa_kernel
	.section	.text._ZL9mul_mat_fIfLi64ELi4ELi6ELb0EEvPKT_PKfPKiPfiiiiiiiiiiiiiiii,"axG",@progbits,_ZL9mul_mat_fIfLi64ELi4ELi6ELb0EEvPKT_PKfPKiPfiiiiiiiiiiiiiiii,comdat
.Lfunc_end92:
	.size	_ZL9mul_mat_fIfLi64ELi4ELi6ELb0EEvPKT_PKfPKiPfiiiiiiiiiiiiiiii, .Lfunc_end92-_ZL9mul_mat_fIfLi64ELi4ELi6ELb0EEvPKT_PKfPKiPfiiiiiiiiiiiiiiii
                                        ; -- End function
	.set _ZL9mul_mat_fIfLi64ELi4ELi6ELb0EEvPKT_PKfPKiPfiiiiiiiiiiiiiiii.num_vgpr, max(3, .L_ZL14no_device_codePKciS0_iS0_.num_vgpr)
	.set _ZL9mul_mat_fIfLi64ELi4ELi6ELb0EEvPKT_PKfPKiPfiiiiiiiiiiiiiiii.num_agpr, max(0, .L_ZL14no_device_codePKciS0_iS0_.num_agpr)
	.set _ZL9mul_mat_fIfLi64ELi4ELi6ELb0EEvPKT_PKfPKiPfiiiiiiiiiiiiiiii.numbered_sgpr, max(33, .L_ZL14no_device_codePKciS0_iS0_.numbered_sgpr)
	.set _ZL9mul_mat_fIfLi64ELi4ELi6ELb0EEvPKT_PKfPKiPfiiiiiiiiiiiiiiii.num_named_barrier, max(0, .L_ZL14no_device_codePKciS0_iS0_.num_named_barrier)
	.set _ZL9mul_mat_fIfLi64ELi4ELi6ELb0EEvPKT_PKfPKiPfiiiiiiiiiiiiiiii.private_seg_size, 0+max(.L_ZL14no_device_codePKciS0_iS0_.private_seg_size)
	.set _ZL9mul_mat_fIfLi64ELi4ELi6ELb0EEvPKT_PKfPKiPfiiiiiiiiiiiiiiii.uses_vcc, or(1, .L_ZL14no_device_codePKciS0_iS0_.uses_vcc)
	.set _ZL9mul_mat_fIfLi64ELi4ELi6ELb0EEvPKT_PKfPKiPfiiiiiiiiiiiiiiii.uses_flat_scratch, or(0, .L_ZL14no_device_codePKciS0_iS0_.uses_flat_scratch)
	.set _ZL9mul_mat_fIfLi64ELi4ELi6ELb0EEvPKT_PKfPKiPfiiiiiiiiiiiiiiii.has_dyn_sized_stack, or(0, .L_ZL14no_device_codePKciS0_iS0_.has_dyn_sized_stack)
	.set _ZL9mul_mat_fIfLi64ELi4ELi6ELb0EEvPKT_PKfPKiPfiiiiiiiiiiiiiiii.has_recursion, or(0, .L_ZL14no_device_codePKciS0_iS0_.has_recursion)
	.set _ZL9mul_mat_fIfLi64ELi4ELi6ELb0EEvPKT_PKfPKiPfiiiiiiiiiiiiiiii.has_indirect_call, or(0, .L_ZL14no_device_codePKciS0_iS0_.has_indirect_call)
	.section	.AMDGPU.csdata,"",@progbits
; Kernel info:
; codeLenInByte = 76
; TotalNumSgprs: 36
; NumVgprs: 38
; ScratchSize: 16
; MemoryBound: 0
; FloatMode: 240
; IeeeMode: 1
; LDSByteSize: 0 bytes/workgroup (compile time only)
; SGPRBlocks: 0
; VGPRBlocks: 4
; NumSGPRsForWavesPerEU: 36
; NumVGPRsForWavesPerEU: 38
; Occupancy: 16
; WaveLimiterHint : 1
; COMPUTE_PGM_RSRC2:SCRATCH_EN: 1
; COMPUTE_PGM_RSRC2:USER_SGPR: 2
; COMPUTE_PGM_RSRC2:TRAP_HANDLER: 0
; COMPUTE_PGM_RSRC2:TGID_X_EN: 1
; COMPUTE_PGM_RSRC2:TGID_Y_EN: 0
; COMPUTE_PGM_RSRC2:TGID_Z_EN: 0
; COMPUTE_PGM_RSRC2:TIDIG_COMP_CNT: 0
	.section	.text._ZL13mul_mat_f_idsIfLi64ELi4ELi7EEvPKT_PKfPKiS6_S6_Pfiiiiiiiiiiiiii15HIP_vector_typeIjLj3EES9_,"axG",@progbits,_ZL13mul_mat_f_idsIfLi64ELi4ELi7EEvPKT_PKfPKiS6_S6_Pfiiiiiiiiiiiiii15HIP_vector_typeIjLj3EES9_,comdat
	.globl	_ZL13mul_mat_f_idsIfLi64ELi4ELi7EEvPKT_PKfPKiS6_S6_Pfiiiiiiiiiiiiii15HIP_vector_typeIjLj3EES9_ ; -- Begin function _ZL13mul_mat_f_idsIfLi64ELi4ELi7EEvPKT_PKfPKiS6_S6_Pfiiiiiiiiiiiiii15HIP_vector_typeIjLj3EES9_
	.p2align	8
	.type	_ZL13mul_mat_f_idsIfLi64ELi4ELi7EEvPKT_PKfPKiS6_S6_Pfiiiiiiiiiiiiii15HIP_vector_typeIjLj3EES9_,@function
_ZL13mul_mat_f_idsIfLi64ELi4ELi7EEvPKT_PKfPKiS6_S6_Pfiiiiiiiiiiiiii15HIP_vector_typeIjLj3EES9_: ; @_ZL13mul_mat_f_idsIfLi64ELi4ELi7EEvPKT_PKfPKiS6_S6_Pfiiiiiiiiiiiiii15HIP_vector_typeIjLj3EES9_
; %bb.0:
	s_getpc_b64 s[2:3]
	s_sext_i32_i16 s3, s3
	s_add_co_u32 s2, s2, __FUNCTION__._ZL13mul_mat_f_idsIfLi32ELi4ELi1EEvPKT_PKfPKiS6_S6_Pfiiiiiiiiiiiiii15HIP_vector_typeIjLj3EES9_@rel32@lo+8
	s_add_co_ci_u32 s3, s3, __FUNCTION__._ZL13mul_mat_f_idsIfLi32ELi4ELi1EEvPKT_PKfPKiS6_S6_Pfiiiiiiiiiiiiii15HIP_vector_typeIjLj3EES9_@rel32@hi+16
	v_dual_mov_b32 v0, 0x136 :: v_dual_mov_b32 v1, s2
	v_mov_b32_e32 v2, s3
	s_add_nc_u64 s[8:9], s[0:1], 0x80
	s_getpc_b64 s[0:1]
	s_sext_i32_i16 s1, s1
	s_add_co_u32 s0, s0, _ZL14no_device_codePKciS0_iS0_@rel32@lo+8
	s_add_co_ci_u32 s1, s1, _ZL14no_device_codePKciS0_iS0_@rel32@hi+16
	s_mov_b32 s32, 0
	s_swappc_b64 s[30:31], s[0:1]
	.section	.rodata,"a",@progbits
	.p2align	6, 0x0
	.amdhsa_kernel _ZL13mul_mat_f_idsIfLi64ELi4ELi7EEvPKT_PKfPKiS6_S6_Pfiiiiiiiiiiiiii15HIP_vector_typeIjLj3EES9_
		.amdhsa_group_segment_fixed_size 0
		.amdhsa_private_segment_fixed_size 16
		.amdhsa_kernarg_size 384
		.amdhsa_user_sgpr_count 2
		.amdhsa_user_sgpr_dispatch_ptr 0
		.amdhsa_user_sgpr_queue_ptr 0
		.amdhsa_user_sgpr_kernarg_segment_ptr 1
		.amdhsa_user_sgpr_dispatch_id 0
		.amdhsa_user_sgpr_private_segment_size 0
		.amdhsa_wavefront_size32 1
		.amdhsa_uses_dynamic_stack 0
		.amdhsa_enable_private_segment 1
		.amdhsa_system_sgpr_workgroup_id_x 1
		.amdhsa_system_sgpr_workgroup_id_y 0
		.amdhsa_system_sgpr_workgroup_id_z 0
		.amdhsa_system_sgpr_workgroup_info 0
		.amdhsa_system_vgpr_workitem_id 0
		.amdhsa_next_free_vgpr 38
		.amdhsa_next_free_sgpr 34
		.amdhsa_reserve_vcc 1
		.amdhsa_float_round_mode_32 0
		.amdhsa_float_round_mode_16_64 0
		.amdhsa_float_denorm_mode_32 3
		.amdhsa_float_denorm_mode_16_64 3
		.amdhsa_fp16_overflow 0
		.amdhsa_workgroup_processor_mode 1
		.amdhsa_memory_ordered 1
		.amdhsa_forward_progress 1
		.amdhsa_inst_pref_size 1
		.amdhsa_round_robin_scheduling 0
		.amdhsa_exception_fp_ieee_invalid_op 0
		.amdhsa_exception_fp_denorm_src 0
		.amdhsa_exception_fp_ieee_div_zero 0
		.amdhsa_exception_fp_ieee_overflow 0
		.amdhsa_exception_fp_ieee_underflow 0
		.amdhsa_exception_fp_ieee_inexact 0
		.amdhsa_exception_int_div_zero 0
	.end_amdhsa_kernel
	.section	.text._ZL13mul_mat_f_idsIfLi64ELi4ELi7EEvPKT_PKfPKiS6_S6_Pfiiiiiiiiiiiiii15HIP_vector_typeIjLj3EES9_,"axG",@progbits,_ZL13mul_mat_f_idsIfLi64ELi4ELi7EEvPKT_PKfPKiS6_S6_Pfiiiiiiiiiiiiii15HIP_vector_typeIjLj3EES9_,comdat
.Lfunc_end93:
	.size	_ZL13mul_mat_f_idsIfLi64ELi4ELi7EEvPKT_PKfPKiS6_S6_Pfiiiiiiiiiiiiii15HIP_vector_typeIjLj3EES9_, .Lfunc_end93-_ZL13mul_mat_f_idsIfLi64ELi4ELi7EEvPKT_PKfPKiS6_S6_Pfiiiiiiiiiiiiii15HIP_vector_typeIjLj3EES9_
                                        ; -- End function
	.set _ZL13mul_mat_f_idsIfLi64ELi4ELi7EEvPKT_PKfPKiS6_S6_Pfiiiiiiiiiiiiii15HIP_vector_typeIjLj3EES9_.num_vgpr, max(3, .L_ZL14no_device_codePKciS0_iS0_.num_vgpr)
	.set _ZL13mul_mat_f_idsIfLi64ELi4ELi7EEvPKT_PKfPKiS6_S6_Pfiiiiiiiiiiiiii15HIP_vector_typeIjLj3EES9_.num_agpr, max(0, .L_ZL14no_device_codePKciS0_iS0_.num_agpr)
	.set _ZL13mul_mat_f_idsIfLi64ELi4ELi7EEvPKT_PKfPKiS6_S6_Pfiiiiiiiiiiiiii15HIP_vector_typeIjLj3EES9_.numbered_sgpr, max(33, .L_ZL14no_device_codePKciS0_iS0_.numbered_sgpr)
	.set _ZL13mul_mat_f_idsIfLi64ELi4ELi7EEvPKT_PKfPKiS6_S6_Pfiiiiiiiiiiiiii15HIP_vector_typeIjLj3EES9_.num_named_barrier, max(0, .L_ZL14no_device_codePKciS0_iS0_.num_named_barrier)
	.set _ZL13mul_mat_f_idsIfLi64ELi4ELi7EEvPKT_PKfPKiS6_S6_Pfiiiiiiiiiiiiii15HIP_vector_typeIjLj3EES9_.private_seg_size, 0+max(.L_ZL14no_device_codePKciS0_iS0_.private_seg_size)
	.set _ZL13mul_mat_f_idsIfLi64ELi4ELi7EEvPKT_PKfPKiS6_S6_Pfiiiiiiiiiiiiii15HIP_vector_typeIjLj3EES9_.uses_vcc, or(1, .L_ZL14no_device_codePKciS0_iS0_.uses_vcc)
	.set _ZL13mul_mat_f_idsIfLi64ELi4ELi7EEvPKT_PKfPKiS6_S6_Pfiiiiiiiiiiiiii15HIP_vector_typeIjLj3EES9_.uses_flat_scratch, or(0, .L_ZL14no_device_codePKciS0_iS0_.uses_flat_scratch)
	.set _ZL13mul_mat_f_idsIfLi64ELi4ELi7EEvPKT_PKfPKiS6_S6_Pfiiiiiiiiiiiiii15HIP_vector_typeIjLj3EES9_.has_dyn_sized_stack, or(0, .L_ZL14no_device_codePKciS0_iS0_.has_dyn_sized_stack)
	.set _ZL13mul_mat_f_idsIfLi64ELi4ELi7EEvPKT_PKfPKiS6_S6_Pfiiiiiiiiiiiiii15HIP_vector_typeIjLj3EES9_.has_recursion, or(0, .L_ZL14no_device_codePKciS0_iS0_.has_recursion)
	.set _ZL13mul_mat_f_idsIfLi64ELi4ELi7EEvPKT_PKfPKiS6_S6_Pfiiiiiiiiiiiiii15HIP_vector_typeIjLj3EES9_.has_indirect_call, or(0, .L_ZL14no_device_codePKciS0_iS0_.has_indirect_call)
	.section	.AMDGPU.csdata,"",@progbits
; Kernel info:
; codeLenInByte = 80
; TotalNumSgprs: 36
; NumVgprs: 38
; ScratchSize: 16
; MemoryBound: 0
; FloatMode: 240
; IeeeMode: 1
; LDSByteSize: 0 bytes/workgroup (compile time only)
; SGPRBlocks: 0
; VGPRBlocks: 4
; NumSGPRsForWavesPerEU: 36
; NumVGPRsForWavesPerEU: 38
; Occupancy: 16
; WaveLimiterHint : 1
; COMPUTE_PGM_RSRC2:SCRATCH_EN: 1
; COMPUTE_PGM_RSRC2:USER_SGPR: 2
; COMPUTE_PGM_RSRC2:TRAP_HANDLER: 0
; COMPUTE_PGM_RSRC2:TGID_X_EN: 1
; COMPUTE_PGM_RSRC2:TGID_Y_EN: 0
; COMPUTE_PGM_RSRC2:TGID_Z_EN: 0
; COMPUTE_PGM_RSRC2:TIDIG_COMP_CNT: 0
	.section	.text._ZL9mul_mat_fIfLi64ELi4ELi7ELb1EEvPKT_PKfPKiPfiiiiiiiiiiiiiiii,"axG",@progbits,_ZL9mul_mat_fIfLi64ELi4ELi7ELb1EEvPKT_PKfPKiPfiiiiiiiiiiiiiiii,comdat
	.globl	_ZL9mul_mat_fIfLi64ELi4ELi7ELb1EEvPKT_PKfPKiPfiiiiiiiiiiiiiiii ; -- Begin function _ZL9mul_mat_fIfLi64ELi4ELi7ELb1EEvPKT_PKfPKiPfiiiiiiiiiiiiiiii
	.p2align	8
	.type	_ZL9mul_mat_fIfLi64ELi4ELi7ELb1EEvPKT_PKfPKiPfiiiiiiiiiiiiiiii,@function
_ZL9mul_mat_fIfLi64ELi4ELi7ELb1EEvPKT_PKfPKiPfiiiiiiiiiiiiiiii: ; @_ZL9mul_mat_fIfLi64ELi4ELi7ELb1EEvPKT_PKfPKiPfiiiiiiiiiiiiiiii
; %bb.0:
	s_getpc_b64 s[2:3]
	s_sext_i32_i16 s3, s3
	s_add_co_u32 s2, s2, __FUNCTION__._ZL9mul_mat_fIfLi32ELi4ELi1ELb1EEvPKT_PKfPKiPfiiiiiiiiiiiiiiii@rel32@lo+8
	s_add_co_ci_u32 s3, s3, __FUNCTION__._ZL9mul_mat_fIfLi32ELi4ELi1ELb1EEvPKT_PKfPKiPfiiiiiiiiiiiiiiii@rel32@hi+16
	v_dual_mov_b32 v0, 59 :: v_dual_mov_b32 v1, s2
	v_mov_b32_e32 v2, s3
	s_add_nc_u64 s[8:9], s[0:1], 0x60
	s_getpc_b64 s[0:1]
	s_sext_i32_i16 s1, s1
	s_add_co_u32 s0, s0, _ZL14no_device_codePKciS0_iS0_@rel32@lo+8
	s_add_co_ci_u32 s1, s1, _ZL14no_device_codePKciS0_iS0_@rel32@hi+16
	s_mov_b32 s32, 0
	s_swappc_b64 s[30:31], s[0:1]
	.section	.rodata,"a",@progbits
	.p2align	6, 0x0
	.amdhsa_kernel _ZL9mul_mat_fIfLi64ELi4ELi7ELb1EEvPKT_PKfPKiPfiiiiiiiiiiiiiiii
		.amdhsa_group_segment_fixed_size 0
		.amdhsa_private_segment_fixed_size 16
		.amdhsa_kernarg_size 352
		.amdhsa_user_sgpr_count 2
		.amdhsa_user_sgpr_dispatch_ptr 0
		.amdhsa_user_sgpr_queue_ptr 0
		.amdhsa_user_sgpr_kernarg_segment_ptr 1
		.amdhsa_user_sgpr_dispatch_id 0
		.amdhsa_user_sgpr_private_segment_size 0
		.amdhsa_wavefront_size32 1
		.amdhsa_uses_dynamic_stack 0
		.amdhsa_enable_private_segment 1
		.amdhsa_system_sgpr_workgroup_id_x 1
		.amdhsa_system_sgpr_workgroup_id_y 0
		.amdhsa_system_sgpr_workgroup_id_z 0
		.amdhsa_system_sgpr_workgroup_info 0
		.amdhsa_system_vgpr_workitem_id 0
		.amdhsa_next_free_vgpr 38
		.amdhsa_next_free_sgpr 34
		.amdhsa_reserve_vcc 1
		.amdhsa_float_round_mode_32 0
		.amdhsa_float_round_mode_16_64 0
		.amdhsa_float_denorm_mode_32 3
		.amdhsa_float_denorm_mode_16_64 3
		.amdhsa_fp16_overflow 0
		.amdhsa_workgroup_processor_mode 1
		.amdhsa_memory_ordered 1
		.amdhsa_forward_progress 1
		.amdhsa_inst_pref_size 1
		.amdhsa_round_robin_scheduling 0
		.amdhsa_exception_fp_ieee_invalid_op 0
		.amdhsa_exception_fp_denorm_src 0
		.amdhsa_exception_fp_ieee_div_zero 0
		.amdhsa_exception_fp_ieee_overflow 0
		.amdhsa_exception_fp_ieee_underflow 0
		.amdhsa_exception_fp_ieee_inexact 0
		.amdhsa_exception_int_div_zero 0
	.end_amdhsa_kernel
	.section	.text._ZL9mul_mat_fIfLi64ELi4ELi7ELb1EEvPKT_PKfPKiPfiiiiiiiiiiiiiiii,"axG",@progbits,_ZL9mul_mat_fIfLi64ELi4ELi7ELb1EEvPKT_PKfPKiPfiiiiiiiiiiiiiiii,comdat
.Lfunc_end94:
	.size	_ZL9mul_mat_fIfLi64ELi4ELi7ELb1EEvPKT_PKfPKiPfiiiiiiiiiiiiiiii, .Lfunc_end94-_ZL9mul_mat_fIfLi64ELi4ELi7ELb1EEvPKT_PKfPKiPfiiiiiiiiiiiiiiii
                                        ; -- End function
	.set _ZL9mul_mat_fIfLi64ELi4ELi7ELb1EEvPKT_PKfPKiPfiiiiiiiiiiiiiiii.num_vgpr, max(3, .L_ZL14no_device_codePKciS0_iS0_.num_vgpr)
	.set _ZL9mul_mat_fIfLi64ELi4ELi7ELb1EEvPKT_PKfPKiPfiiiiiiiiiiiiiiii.num_agpr, max(0, .L_ZL14no_device_codePKciS0_iS0_.num_agpr)
	.set _ZL9mul_mat_fIfLi64ELi4ELi7ELb1EEvPKT_PKfPKiPfiiiiiiiiiiiiiiii.numbered_sgpr, max(33, .L_ZL14no_device_codePKciS0_iS0_.numbered_sgpr)
	.set _ZL9mul_mat_fIfLi64ELi4ELi7ELb1EEvPKT_PKfPKiPfiiiiiiiiiiiiiiii.num_named_barrier, max(0, .L_ZL14no_device_codePKciS0_iS0_.num_named_barrier)
	.set _ZL9mul_mat_fIfLi64ELi4ELi7ELb1EEvPKT_PKfPKiPfiiiiiiiiiiiiiiii.private_seg_size, 0+max(.L_ZL14no_device_codePKciS0_iS0_.private_seg_size)
	.set _ZL9mul_mat_fIfLi64ELi4ELi7ELb1EEvPKT_PKfPKiPfiiiiiiiiiiiiiiii.uses_vcc, or(1, .L_ZL14no_device_codePKciS0_iS0_.uses_vcc)
	.set _ZL9mul_mat_fIfLi64ELi4ELi7ELb1EEvPKT_PKfPKiPfiiiiiiiiiiiiiiii.uses_flat_scratch, or(0, .L_ZL14no_device_codePKciS0_iS0_.uses_flat_scratch)
	.set _ZL9mul_mat_fIfLi64ELi4ELi7ELb1EEvPKT_PKfPKiPfiiiiiiiiiiiiiiii.has_dyn_sized_stack, or(0, .L_ZL14no_device_codePKciS0_iS0_.has_dyn_sized_stack)
	.set _ZL9mul_mat_fIfLi64ELi4ELi7ELb1EEvPKT_PKfPKiPfiiiiiiiiiiiiiiii.has_recursion, or(0, .L_ZL14no_device_codePKciS0_iS0_.has_recursion)
	.set _ZL9mul_mat_fIfLi64ELi4ELi7ELb1EEvPKT_PKfPKiPfiiiiiiiiiiiiiiii.has_indirect_call, or(0, .L_ZL14no_device_codePKciS0_iS0_.has_indirect_call)
	.section	.AMDGPU.csdata,"",@progbits
; Kernel info:
; codeLenInByte = 76
; TotalNumSgprs: 36
; NumVgprs: 38
; ScratchSize: 16
; MemoryBound: 0
; FloatMode: 240
; IeeeMode: 1
; LDSByteSize: 0 bytes/workgroup (compile time only)
; SGPRBlocks: 0
; VGPRBlocks: 4
; NumSGPRsForWavesPerEU: 36
; NumVGPRsForWavesPerEU: 38
; Occupancy: 16
; WaveLimiterHint : 1
; COMPUTE_PGM_RSRC2:SCRATCH_EN: 1
; COMPUTE_PGM_RSRC2:USER_SGPR: 2
; COMPUTE_PGM_RSRC2:TRAP_HANDLER: 0
; COMPUTE_PGM_RSRC2:TGID_X_EN: 1
; COMPUTE_PGM_RSRC2:TGID_Y_EN: 0
; COMPUTE_PGM_RSRC2:TGID_Z_EN: 0
; COMPUTE_PGM_RSRC2:TIDIG_COMP_CNT: 0
	.section	.text._ZL9mul_mat_fIfLi64ELi4ELi7ELb0EEvPKT_PKfPKiPfiiiiiiiiiiiiiiii,"axG",@progbits,_ZL9mul_mat_fIfLi64ELi4ELi7ELb0EEvPKT_PKfPKiPfiiiiiiiiiiiiiiii,comdat
	.globl	_ZL9mul_mat_fIfLi64ELi4ELi7ELb0EEvPKT_PKfPKiPfiiiiiiiiiiiiiiii ; -- Begin function _ZL9mul_mat_fIfLi64ELi4ELi7ELb0EEvPKT_PKfPKiPfiiiiiiiiiiiiiiii
	.p2align	8
	.type	_ZL9mul_mat_fIfLi64ELi4ELi7ELb0EEvPKT_PKfPKiPfiiiiiiiiiiiiiiii,@function
_ZL9mul_mat_fIfLi64ELi4ELi7ELb0EEvPKT_PKfPKiPfiiiiiiiiiiiiiiii: ; @_ZL9mul_mat_fIfLi64ELi4ELi7ELb0EEvPKT_PKfPKiPfiiiiiiiiiiiiiiii
; %bb.0:
	s_getpc_b64 s[2:3]
	s_sext_i32_i16 s3, s3
	s_add_co_u32 s2, s2, __FUNCTION__._ZL9mul_mat_fIfLi32ELi4ELi1ELb1EEvPKT_PKfPKiPfiiiiiiiiiiiiiiii@rel32@lo+8
	s_add_co_ci_u32 s3, s3, __FUNCTION__._ZL9mul_mat_fIfLi32ELi4ELi1ELb1EEvPKT_PKfPKiPfiiiiiiiiiiiiiiii@rel32@hi+16
	v_dual_mov_b32 v0, 59 :: v_dual_mov_b32 v1, s2
	v_mov_b32_e32 v2, s3
	s_add_nc_u64 s[8:9], s[0:1], 0x60
	s_getpc_b64 s[0:1]
	s_sext_i32_i16 s1, s1
	s_add_co_u32 s0, s0, _ZL14no_device_codePKciS0_iS0_@rel32@lo+8
	s_add_co_ci_u32 s1, s1, _ZL14no_device_codePKciS0_iS0_@rel32@hi+16
	s_mov_b32 s32, 0
	s_swappc_b64 s[30:31], s[0:1]
	.section	.rodata,"a",@progbits
	.p2align	6, 0x0
	.amdhsa_kernel _ZL9mul_mat_fIfLi64ELi4ELi7ELb0EEvPKT_PKfPKiPfiiiiiiiiiiiiiiii
		.amdhsa_group_segment_fixed_size 0
		.amdhsa_private_segment_fixed_size 16
		.amdhsa_kernarg_size 352
		.amdhsa_user_sgpr_count 2
		.amdhsa_user_sgpr_dispatch_ptr 0
		.amdhsa_user_sgpr_queue_ptr 0
		.amdhsa_user_sgpr_kernarg_segment_ptr 1
		.amdhsa_user_sgpr_dispatch_id 0
		.amdhsa_user_sgpr_private_segment_size 0
		.amdhsa_wavefront_size32 1
		.amdhsa_uses_dynamic_stack 0
		.amdhsa_enable_private_segment 1
		.amdhsa_system_sgpr_workgroup_id_x 1
		.amdhsa_system_sgpr_workgroup_id_y 0
		.amdhsa_system_sgpr_workgroup_id_z 0
		.amdhsa_system_sgpr_workgroup_info 0
		.amdhsa_system_vgpr_workitem_id 0
		.amdhsa_next_free_vgpr 38
		.amdhsa_next_free_sgpr 34
		.amdhsa_reserve_vcc 1
		.amdhsa_float_round_mode_32 0
		.amdhsa_float_round_mode_16_64 0
		.amdhsa_float_denorm_mode_32 3
		.amdhsa_float_denorm_mode_16_64 3
		.amdhsa_fp16_overflow 0
		.amdhsa_workgroup_processor_mode 1
		.amdhsa_memory_ordered 1
		.amdhsa_forward_progress 1
		.amdhsa_inst_pref_size 1
		.amdhsa_round_robin_scheduling 0
		.amdhsa_exception_fp_ieee_invalid_op 0
		.amdhsa_exception_fp_denorm_src 0
		.amdhsa_exception_fp_ieee_div_zero 0
		.amdhsa_exception_fp_ieee_overflow 0
		.amdhsa_exception_fp_ieee_underflow 0
		.amdhsa_exception_fp_ieee_inexact 0
		.amdhsa_exception_int_div_zero 0
	.end_amdhsa_kernel
	.section	.text._ZL9mul_mat_fIfLi64ELi4ELi7ELb0EEvPKT_PKfPKiPfiiiiiiiiiiiiiiii,"axG",@progbits,_ZL9mul_mat_fIfLi64ELi4ELi7ELb0EEvPKT_PKfPKiPfiiiiiiiiiiiiiiii,comdat
.Lfunc_end95:
	.size	_ZL9mul_mat_fIfLi64ELi4ELi7ELb0EEvPKT_PKfPKiPfiiiiiiiiiiiiiiii, .Lfunc_end95-_ZL9mul_mat_fIfLi64ELi4ELi7ELb0EEvPKT_PKfPKiPfiiiiiiiiiiiiiiii
                                        ; -- End function
	.set _ZL9mul_mat_fIfLi64ELi4ELi7ELb0EEvPKT_PKfPKiPfiiiiiiiiiiiiiiii.num_vgpr, max(3, .L_ZL14no_device_codePKciS0_iS0_.num_vgpr)
	.set _ZL9mul_mat_fIfLi64ELi4ELi7ELb0EEvPKT_PKfPKiPfiiiiiiiiiiiiiiii.num_agpr, max(0, .L_ZL14no_device_codePKciS0_iS0_.num_agpr)
	.set _ZL9mul_mat_fIfLi64ELi4ELi7ELb0EEvPKT_PKfPKiPfiiiiiiiiiiiiiiii.numbered_sgpr, max(33, .L_ZL14no_device_codePKciS0_iS0_.numbered_sgpr)
	.set _ZL9mul_mat_fIfLi64ELi4ELi7ELb0EEvPKT_PKfPKiPfiiiiiiiiiiiiiiii.num_named_barrier, max(0, .L_ZL14no_device_codePKciS0_iS0_.num_named_barrier)
	.set _ZL9mul_mat_fIfLi64ELi4ELi7ELb0EEvPKT_PKfPKiPfiiiiiiiiiiiiiiii.private_seg_size, 0+max(.L_ZL14no_device_codePKciS0_iS0_.private_seg_size)
	.set _ZL9mul_mat_fIfLi64ELi4ELi7ELb0EEvPKT_PKfPKiPfiiiiiiiiiiiiiiii.uses_vcc, or(1, .L_ZL14no_device_codePKciS0_iS0_.uses_vcc)
	.set _ZL9mul_mat_fIfLi64ELi4ELi7ELb0EEvPKT_PKfPKiPfiiiiiiiiiiiiiiii.uses_flat_scratch, or(0, .L_ZL14no_device_codePKciS0_iS0_.uses_flat_scratch)
	.set _ZL9mul_mat_fIfLi64ELi4ELi7ELb0EEvPKT_PKfPKiPfiiiiiiiiiiiiiiii.has_dyn_sized_stack, or(0, .L_ZL14no_device_codePKciS0_iS0_.has_dyn_sized_stack)
	.set _ZL9mul_mat_fIfLi64ELi4ELi7ELb0EEvPKT_PKfPKiPfiiiiiiiiiiiiiiii.has_recursion, or(0, .L_ZL14no_device_codePKciS0_iS0_.has_recursion)
	.set _ZL9mul_mat_fIfLi64ELi4ELi7ELb0EEvPKT_PKfPKiPfiiiiiiiiiiiiiiii.has_indirect_call, or(0, .L_ZL14no_device_codePKciS0_iS0_.has_indirect_call)
	.section	.AMDGPU.csdata,"",@progbits
; Kernel info:
; codeLenInByte = 76
; TotalNumSgprs: 36
; NumVgprs: 38
; ScratchSize: 16
; MemoryBound: 0
; FloatMode: 240
; IeeeMode: 1
; LDSByteSize: 0 bytes/workgroup (compile time only)
; SGPRBlocks: 0
; VGPRBlocks: 4
; NumSGPRsForWavesPerEU: 36
; NumVGPRsForWavesPerEU: 38
; Occupancy: 16
; WaveLimiterHint : 1
; COMPUTE_PGM_RSRC2:SCRATCH_EN: 1
; COMPUTE_PGM_RSRC2:USER_SGPR: 2
; COMPUTE_PGM_RSRC2:TRAP_HANDLER: 0
; COMPUTE_PGM_RSRC2:TGID_X_EN: 1
; COMPUTE_PGM_RSRC2:TGID_Y_EN: 0
; COMPUTE_PGM_RSRC2:TGID_Z_EN: 0
; COMPUTE_PGM_RSRC2:TIDIG_COMP_CNT: 0
	.section	.text._ZL13mul_mat_f_idsIfLi64ELi4ELi8EEvPKT_PKfPKiS6_S6_Pfiiiiiiiiiiiiii15HIP_vector_typeIjLj3EES9_,"axG",@progbits,_ZL13mul_mat_f_idsIfLi64ELi4ELi8EEvPKT_PKfPKiS6_S6_Pfiiiiiiiiiiiiii15HIP_vector_typeIjLj3EES9_,comdat
	.globl	_ZL13mul_mat_f_idsIfLi64ELi4ELi8EEvPKT_PKfPKiS6_S6_Pfiiiiiiiiiiiiii15HIP_vector_typeIjLj3EES9_ ; -- Begin function _ZL13mul_mat_f_idsIfLi64ELi4ELi8EEvPKT_PKfPKiS6_S6_Pfiiiiiiiiiiiiii15HIP_vector_typeIjLj3EES9_
	.p2align	8
	.type	_ZL13mul_mat_f_idsIfLi64ELi4ELi8EEvPKT_PKfPKiS6_S6_Pfiiiiiiiiiiiiii15HIP_vector_typeIjLj3EES9_,@function
_ZL13mul_mat_f_idsIfLi64ELi4ELi8EEvPKT_PKfPKiS6_S6_Pfiiiiiiiiiiiiii15HIP_vector_typeIjLj3EES9_: ; @_ZL13mul_mat_f_idsIfLi64ELi4ELi8EEvPKT_PKfPKiS6_S6_Pfiiiiiiiiiiiiii15HIP_vector_typeIjLj3EES9_
; %bb.0:
	s_getpc_b64 s[2:3]
	s_sext_i32_i16 s3, s3
	s_add_co_u32 s2, s2, __FUNCTION__._ZL13mul_mat_f_idsIfLi32ELi4ELi1EEvPKT_PKfPKiS6_S6_Pfiiiiiiiiiiiiii15HIP_vector_typeIjLj3EES9_@rel32@lo+8
	s_add_co_ci_u32 s3, s3, __FUNCTION__._ZL13mul_mat_f_idsIfLi32ELi4ELi1EEvPKT_PKfPKiS6_S6_Pfiiiiiiiiiiiiii15HIP_vector_typeIjLj3EES9_@rel32@hi+16
	v_dual_mov_b32 v0, 0x136 :: v_dual_mov_b32 v1, s2
	v_mov_b32_e32 v2, s3
	s_add_nc_u64 s[8:9], s[0:1], 0x80
	s_getpc_b64 s[0:1]
	s_sext_i32_i16 s1, s1
	s_add_co_u32 s0, s0, _ZL14no_device_codePKciS0_iS0_@rel32@lo+8
	s_add_co_ci_u32 s1, s1, _ZL14no_device_codePKciS0_iS0_@rel32@hi+16
	s_mov_b32 s32, 0
	s_swappc_b64 s[30:31], s[0:1]
	.section	.rodata,"a",@progbits
	.p2align	6, 0x0
	.amdhsa_kernel _ZL13mul_mat_f_idsIfLi64ELi4ELi8EEvPKT_PKfPKiS6_S6_Pfiiiiiiiiiiiiii15HIP_vector_typeIjLj3EES9_
		.amdhsa_group_segment_fixed_size 0
		.amdhsa_private_segment_fixed_size 16
		.amdhsa_kernarg_size 384
		.amdhsa_user_sgpr_count 2
		.amdhsa_user_sgpr_dispatch_ptr 0
		.amdhsa_user_sgpr_queue_ptr 0
		.amdhsa_user_sgpr_kernarg_segment_ptr 1
		.amdhsa_user_sgpr_dispatch_id 0
		.amdhsa_user_sgpr_private_segment_size 0
		.amdhsa_wavefront_size32 1
		.amdhsa_uses_dynamic_stack 0
		.amdhsa_enable_private_segment 1
		.amdhsa_system_sgpr_workgroup_id_x 1
		.amdhsa_system_sgpr_workgroup_id_y 0
		.amdhsa_system_sgpr_workgroup_id_z 0
		.amdhsa_system_sgpr_workgroup_info 0
		.amdhsa_system_vgpr_workitem_id 0
		.amdhsa_next_free_vgpr 38
		.amdhsa_next_free_sgpr 34
		.amdhsa_reserve_vcc 1
		.amdhsa_float_round_mode_32 0
		.amdhsa_float_round_mode_16_64 0
		.amdhsa_float_denorm_mode_32 3
		.amdhsa_float_denorm_mode_16_64 3
		.amdhsa_fp16_overflow 0
		.amdhsa_workgroup_processor_mode 1
		.amdhsa_memory_ordered 1
		.amdhsa_forward_progress 1
		.amdhsa_inst_pref_size 1
		.amdhsa_round_robin_scheduling 0
		.amdhsa_exception_fp_ieee_invalid_op 0
		.amdhsa_exception_fp_denorm_src 0
		.amdhsa_exception_fp_ieee_div_zero 0
		.amdhsa_exception_fp_ieee_overflow 0
		.amdhsa_exception_fp_ieee_underflow 0
		.amdhsa_exception_fp_ieee_inexact 0
		.amdhsa_exception_int_div_zero 0
	.end_amdhsa_kernel
	.section	.text._ZL13mul_mat_f_idsIfLi64ELi4ELi8EEvPKT_PKfPKiS6_S6_Pfiiiiiiiiiiiiii15HIP_vector_typeIjLj3EES9_,"axG",@progbits,_ZL13mul_mat_f_idsIfLi64ELi4ELi8EEvPKT_PKfPKiS6_S6_Pfiiiiiiiiiiiiii15HIP_vector_typeIjLj3EES9_,comdat
.Lfunc_end96:
	.size	_ZL13mul_mat_f_idsIfLi64ELi4ELi8EEvPKT_PKfPKiS6_S6_Pfiiiiiiiiiiiiii15HIP_vector_typeIjLj3EES9_, .Lfunc_end96-_ZL13mul_mat_f_idsIfLi64ELi4ELi8EEvPKT_PKfPKiS6_S6_Pfiiiiiiiiiiiiii15HIP_vector_typeIjLj3EES9_
                                        ; -- End function
	.set _ZL13mul_mat_f_idsIfLi64ELi4ELi8EEvPKT_PKfPKiS6_S6_Pfiiiiiiiiiiiiii15HIP_vector_typeIjLj3EES9_.num_vgpr, max(3, .L_ZL14no_device_codePKciS0_iS0_.num_vgpr)
	.set _ZL13mul_mat_f_idsIfLi64ELi4ELi8EEvPKT_PKfPKiS6_S6_Pfiiiiiiiiiiiiii15HIP_vector_typeIjLj3EES9_.num_agpr, max(0, .L_ZL14no_device_codePKciS0_iS0_.num_agpr)
	.set _ZL13mul_mat_f_idsIfLi64ELi4ELi8EEvPKT_PKfPKiS6_S6_Pfiiiiiiiiiiiiii15HIP_vector_typeIjLj3EES9_.numbered_sgpr, max(33, .L_ZL14no_device_codePKciS0_iS0_.numbered_sgpr)
	.set _ZL13mul_mat_f_idsIfLi64ELi4ELi8EEvPKT_PKfPKiS6_S6_Pfiiiiiiiiiiiiii15HIP_vector_typeIjLj3EES9_.num_named_barrier, max(0, .L_ZL14no_device_codePKciS0_iS0_.num_named_barrier)
	.set _ZL13mul_mat_f_idsIfLi64ELi4ELi8EEvPKT_PKfPKiS6_S6_Pfiiiiiiiiiiiiii15HIP_vector_typeIjLj3EES9_.private_seg_size, 0+max(.L_ZL14no_device_codePKciS0_iS0_.private_seg_size)
	.set _ZL13mul_mat_f_idsIfLi64ELi4ELi8EEvPKT_PKfPKiS6_S6_Pfiiiiiiiiiiiiii15HIP_vector_typeIjLj3EES9_.uses_vcc, or(1, .L_ZL14no_device_codePKciS0_iS0_.uses_vcc)
	.set _ZL13mul_mat_f_idsIfLi64ELi4ELi8EEvPKT_PKfPKiS6_S6_Pfiiiiiiiiiiiiii15HIP_vector_typeIjLj3EES9_.uses_flat_scratch, or(0, .L_ZL14no_device_codePKciS0_iS0_.uses_flat_scratch)
	.set _ZL13mul_mat_f_idsIfLi64ELi4ELi8EEvPKT_PKfPKiS6_S6_Pfiiiiiiiiiiiiii15HIP_vector_typeIjLj3EES9_.has_dyn_sized_stack, or(0, .L_ZL14no_device_codePKciS0_iS0_.has_dyn_sized_stack)
	.set _ZL13mul_mat_f_idsIfLi64ELi4ELi8EEvPKT_PKfPKiS6_S6_Pfiiiiiiiiiiiiii15HIP_vector_typeIjLj3EES9_.has_recursion, or(0, .L_ZL14no_device_codePKciS0_iS0_.has_recursion)
	.set _ZL13mul_mat_f_idsIfLi64ELi4ELi8EEvPKT_PKfPKiS6_S6_Pfiiiiiiiiiiiiii15HIP_vector_typeIjLj3EES9_.has_indirect_call, or(0, .L_ZL14no_device_codePKciS0_iS0_.has_indirect_call)
	.section	.AMDGPU.csdata,"",@progbits
; Kernel info:
; codeLenInByte = 80
; TotalNumSgprs: 36
; NumVgprs: 38
; ScratchSize: 16
; MemoryBound: 0
; FloatMode: 240
; IeeeMode: 1
; LDSByteSize: 0 bytes/workgroup (compile time only)
; SGPRBlocks: 0
; VGPRBlocks: 4
; NumSGPRsForWavesPerEU: 36
; NumVGPRsForWavesPerEU: 38
; Occupancy: 16
; WaveLimiterHint : 1
; COMPUTE_PGM_RSRC2:SCRATCH_EN: 1
; COMPUTE_PGM_RSRC2:USER_SGPR: 2
; COMPUTE_PGM_RSRC2:TRAP_HANDLER: 0
; COMPUTE_PGM_RSRC2:TGID_X_EN: 1
; COMPUTE_PGM_RSRC2:TGID_Y_EN: 0
; COMPUTE_PGM_RSRC2:TGID_Z_EN: 0
; COMPUTE_PGM_RSRC2:TIDIG_COMP_CNT: 0
	.section	.text._ZL9mul_mat_fIfLi64ELi4ELi8ELb1EEvPKT_PKfPKiPfiiiiiiiiiiiiiiii,"axG",@progbits,_ZL9mul_mat_fIfLi64ELi4ELi8ELb1EEvPKT_PKfPKiPfiiiiiiiiiiiiiiii,comdat
	.globl	_ZL9mul_mat_fIfLi64ELi4ELi8ELb1EEvPKT_PKfPKiPfiiiiiiiiiiiiiiii ; -- Begin function _ZL9mul_mat_fIfLi64ELi4ELi8ELb1EEvPKT_PKfPKiPfiiiiiiiiiiiiiiii
	.p2align	8
	.type	_ZL9mul_mat_fIfLi64ELi4ELi8ELb1EEvPKT_PKfPKiPfiiiiiiiiiiiiiiii,@function
_ZL9mul_mat_fIfLi64ELi4ELi8ELb1EEvPKT_PKfPKiPfiiiiiiiiiiiiiiii: ; @_ZL9mul_mat_fIfLi64ELi4ELi8ELb1EEvPKT_PKfPKiPfiiiiiiiiiiiiiiii
; %bb.0:
	s_getpc_b64 s[2:3]
	s_sext_i32_i16 s3, s3
	s_add_co_u32 s2, s2, __FUNCTION__._ZL9mul_mat_fIfLi32ELi4ELi1ELb1EEvPKT_PKfPKiPfiiiiiiiiiiiiiiii@rel32@lo+8
	s_add_co_ci_u32 s3, s3, __FUNCTION__._ZL9mul_mat_fIfLi32ELi4ELi1ELb1EEvPKT_PKfPKiPfiiiiiiiiiiiiiiii@rel32@hi+16
	v_dual_mov_b32 v0, 59 :: v_dual_mov_b32 v1, s2
	v_mov_b32_e32 v2, s3
	s_add_nc_u64 s[8:9], s[0:1], 0x60
	s_getpc_b64 s[0:1]
	s_sext_i32_i16 s1, s1
	s_add_co_u32 s0, s0, _ZL14no_device_codePKciS0_iS0_@rel32@lo+8
	s_add_co_ci_u32 s1, s1, _ZL14no_device_codePKciS0_iS0_@rel32@hi+16
	s_mov_b32 s32, 0
	s_swappc_b64 s[30:31], s[0:1]
	.section	.rodata,"a",@progbits
	.p2align	6, 0x0
	.amdhsa_kernel _ZL9mul_mat_fIfLi64ELi4ELi8ELb1EEvPKT_PKfPKiPfiiiiiiiiiiiiiiii
		.amdhsa_group_segment_fixed_size 0
		.amdhsa_private_segment_fixed_size 16
		.amdhsa_kernarg_size 352
		.amdhsa_user_sgpr_count 2
		.amdhsa_user_sgpr_dispatch_ptr 0
		.amdhsa_user_sgpr_queue_ptr 0
		.amdhsa_user_sgpr_kernarg_segment_ptr 1
		.amdhsa_user_sgpr_dispatch_id 0
		.amdhsa_user_sgpr_private_segment_size 0
		.amdhsa_wavefront_size32 1
		.amdhsa_uses_dynamic_stack 0
		.amdhsa_enable_private_segment 1
		.amdhsa_system_sgpr_workgroup_id_x 1
		.amdhsa_system_sgpr_workgroup_id_y 0
		.amdhsa_system_sgpr_workgroup_id_z 0
		.amdhsa_system_sgpr_workgroup_info 0
		.amdhsa_system_vgpr_workitem_id 0
		.amdhsa_next_free_vgpr 38
		.amdhsa_next_free_sgpr 34
		.amdhsa_reserve_vcc 1
		.amdhsa_float_round_mode_32 0
		.amdhsa_float_round_mode_16_64 0
		.amdhsa_float_denorm_mode_32 3
		.amdhsa_float_denorm_mode_16_64 3
		.amdhsa_fp16_overflow 0
		.amdhsa_workgroup_processor_mode 1
		.amdhsa_memory_ordered 1
		.amdhsa_forward_progress 1
		.amdhsa_inst_pref_size 1
		.amdhsa_round_robin_scheduling 0
		.amdhsa_exception_fp_ieee_invalid_op 0
		.amdhsa_exception_fp_denorm_src 0
		.amdhsa_exception_fp_ieee_div_zero 0
		.amdhsa_exception_fp_ieee_overflow 0
		.amdhsa_exception_fp_ieee_underflow 0
		.amdhsa_exception_fp_ieee_inexact 0
		.amdhsa_exception_int_div_zero 0
	.end_amdhsa_kernel
	.section	.text._ZL9mul_mat_fIfLi64ELi4ELi8ELb1EEvPKT_PKfPKiPfiiiiiiiiiiiiiiii,"axG",@progbits,_ZL9mul_mat_fIfLi64ELi4ELi8ELb1EEvPKT_PKfPKiPfiiiiiiiiiiiiiiii,comdat
.Lfunc_end97:
	.size	_ZL9mul_mat_fIfLi64ELi4ELi8ELb1EEvPKT_PKfPKiPfiiiiiiiiiiiiiiii, .Lfunc_end97-_ZL9mul_mat_fIfLi64ELi4ELi8ELb1EEvPKT_PKfPKiPfiiiiiiiiiiiiiiii
                                        ; -- End function
	.set _ZL9mul_mat_fIfLi64ELi4ELi8ELb1EEvPKT_PKfPKiPfiiiiiiiiiiiiiiii.num_vgpr, max(3, .L_ZL14no_device_codePKciS0_iS0_.num_vgpr)
	.set _ZL9mul_mat_fIfLi64ELi4ELi8ELb1EEvPKT_PKfPKiPfiiiiiiiiiiiiiiii.num_agpr, max(0, .L_ZL14no_device_codePKciS0_iS0_.num_agpr)
	.set _ZL9mul_mat_fIfLi64ELi4ELi8ELb1EEvPKT_PKfPKiPfiiiiiiiiiiiiiiii.numbered_sgpr, max(33, .L_ZL14no_device_codePKciS0_iS0_.numbered_sgpr)
	.set _ZL9mul_mat_fIfLi64ELi4ELi8ELb1EEvPKT_PKfPKiPfiiiiiiiiiiiiiiii.num_named_barrier, max(0, .L_ZL14no_device_codePKciS0_iS0_.num_named_barrier)
	.set _ZL9mul_mat_fIfLi64ELi4ELi8ELb1EEvPKT_PKfPKiPfiiiiiiiiiiiiiiii.private_seg_size, 0+max(.L_ZL14no_device_codePKciS0_iS0_.private_seg_size)
	.set _ZL9mul_mat_fIfLi64ELi4ELi8ELb1EEvPKT_PKfPKiPfiiiiiiiiiiiiiiii.uses_vcc, or(1, .L_ZL14no_device_codePKciS0_iS0_.uses_vcc)
	.set _ZL9mul_mat_fIfLi64ELi4ELi8ELb1EEvPKT_PKfPKiPfiiiiiiiiiiiiiiii.uses_flat_scratch, or(0, .L_ZL14no_device_codePKciS0_iS0_.uses_flat_scratch)
	.set _ZL9mul_mat_fIfLi64ELi4ELi8ELb1EEvPKT_PKfPKiPfiiiiiiiiiiiiiiii.has_dyn_sized_stack, or(0, .L_ZL14no_device_codePKciS0_iS0_.has_dyn_sized_stack)
	.set _ZL9mul_mat_fIfLi64ELi4ELi8ELb1EEvPKT_PKfPKiPfiiiiiiiiiiiiiiii.has_recursion, or(0, .L_ZL14no_device_codePKciS0_iS0_.has_recursion)
	.set _ZL9mul_mat_fIfLi64ELi4ELi8ELb1EEvPKT_PKfPKiPfiiiiiiiiiiiiiiii.has_indirect_call, or(0, .L_ZL14no_device_codePKciS0_iS0_.has_indirect_call)
	.section	.AMDGPU.csdata,"",@progbits
; Kernel info:
; codeLenInByte = 76
; TotalNumSgprs: 36
; NumVgprs: 38
; ScratchSize: 16
; MemoryBound: 0
; FloatMode: 240
; IeeeMode: 1
; LDSByteSize: 0 bytes/workgroup (compile time only)
; SGPRBlocks: 0
; VGPRBlocks: 4
; NumSGPRsForWavesPerEU: 36
; NumVGPRsForWavesPerEU: 38
; Occupancy: 16
; WaveLimiterHint : 1
; COMPUTE_PGM_RSRC2:SCRATCH_EN: 1
; COMPUTE_PGM_RSRC2:USER_SGPR: 2
; COMPUTE_PGM_RSRC2:TRAP_HANDLER: 0
; COMPUTE_PGM_RSRC2:TGID_X_EN: 1
; COMPUTE_PGM_RSRC2:TGID_Y_EN: 0
; COMPUTE_PGM_RSRC2:TGID_Z_EN: 0
; COMPUTE_PGM_RSRC2:TIDIG_COMP_CNT: 0
	.section	.text._ZL9mul_mat_fIfLi64ELi4ELi8ELb0EEvPKT_PKfPKiPfiiiiiiiiiiiiiiii,"axG",@progbits,_ZL9mul_mat_fIfLi64ELi4ELi8ELb0EEvPKT_PKfPKiPfiiiiiiiiiiiiiiii,comdat
	.globl	_ZL9mul_mat_fIfLi64ELi4ELi8ELb0EEvPKT_PKfPKiPfiiiiiiiiiiiiiiii ; -- Begin function _ZL9mul_mat_fIfLi64ELi4ELi8ELb0EEvPKT_PKfPKiPfiiiiiiiiiiiiiiii
	.p2align	8
	.type	_ZL9mul_mat_fIfLi64ELi4ELi8ELb0EEvPKT_PKfPKiPfiiiiiiiiiiiiiiii,@function
_ZL9mul_mat_fIfLi64ELi4ELi8ELb0EEvPKT_PKfPKiPfiiiiiiiiiiiiiiii: ; @_ZL9mul_mat_fIfLi64ELi4ELi8ELb0EEvPKT_PKfPKiPfiiiiiiiiiiiiiiii
; %bb.0:
	s_getpc_b64 s[2:3]
	s_sext_i32_i16 s3, s3
	s_add_co_u32 s2, s2, __FUNCTION__._ZL9mul_mat_fIfLi32ELi4ELi1ELb1EEvPKT_PKfPKiPfiiiiiiiiiiiiiiii@rel32@lo+8
	s_add_co_ci_u32 s3, s3, __FUNCTION__._ZL9mul_mat_fIfLi32ELi4ELi1ELb1EEvPKT_PKfPKiPfiiiiiiiiiiiiiiii@rel32@hi+16
	v_dual_mov_b32 v0, 59 :: v_dual_mov_b32 v1, s2
	v_mov_b32_e32 v2, s3
	s_add_nc_u64 s[8:9], s[0:1], 0x60
	s_getpc_b64 s[0:1]
	s_sext_i32_i16 s1, s1
	s_add_co_u32 s0, s0, _ZL14no_device_codePKciS0_iS0_@rel32@lo+8
	s_add_co_ci_u32 s1, s1, _ZL14no_device_codePKciS0_iS0_@rel32@hi+16
	s_mov_b32 s32, 0
	s_swappc_b64 s[30:31], s[0:1]
	.section	.rodata,"a",@progbits
	.p2align	6, 0x0
	.amdhsa_kernel _ZL9mul_mat_fIfLi64ELi4ELi8ELb0EEvPKT_PKfPKiPfiiiiiiiiiiiiiiii
		.amdhsa_group_segment_fixed_size 0
		.amdhsa_private_segment_fixed_size 16
		.amdhsa_kernarg_size 352
		.amdhsa_user_sgpr_count 2
		.amdhsa_user_sgpr_dispatch_ptr 0
		.amdhsa_user_sgpr_queue_ptr 0
		.amdhsa_user_sgpr_kernarg_segment_ptr 1
		.amdhsa_user_sgpr_dispatch_id 0
		.amdhsa_user_sgpr_private_segment_size 0
		.amdhsa_wavefront_size32 1
		.amdhsa_uses_dynamic_stack 0
		.amdhsa_enable_private_segment 1
		.amdhsa_system_sgpr_workgroup_id_x 1
		.amdhsa_system_sgpr_workgroup_id_y 0
		.amdhsa_system_sgpr_workgroup_id_z 0
		.amdhsa_system_sgpr_workgroup_info 0
		.amdhsa_system_vgpr_workitem_id 0
		.amdhsa_next_free_vgpr 38
		.amdhsa_next_free_sgpr 34
		.amdhsa_reserve_vcc 1
		.amdhsa_float_round_mode_32 0
		.amdhsa_float_round_mode_16_64 0
		.amdhsa_float_denorm_mode_32 3
		.amdhsa_float_denorm_mode_16_64 3
		.amdhsa_fp16_overflow 0
		.amdhsa_workgroup_processor_mode 1
		.amdhsa_memory_ordered 1
		.amdhsa_forward_progress 1
		.amdhsa_inst_pref_size 1
		.amdhsa_round_robin_scheduling 0
		.amdhsa_exception_fp_ieee_invalid_op 0
		.amdhsa_exception_fp_denorm_src 0
		.amdhsa_exception_fp_ieee_div_zero 0
		.amdhsa_exception_fp_ieee_overflow 0
		.amdhsa_exception_fp_ieee_underflow 0
		.amdhsa_exception_fp_ieee_inexact 0
		.amdhsa_exception_int_div_zero 0
	.end_amdhsa_kernel
	.section	.text._ZL9mul_mat_fIfLi64ELi4ELi8ELb0EEvPKT_PKfPKiPfiiiiiiiiiiiiiiii,"axG",@progbits,_ZL9mul_mat_fIfLi64ELi4ELi8ELb0EEvPKT_PKfPKiPfiiiiiiiiiiiiiiii,comdat
.Lfunc_end98:
	.size	_ZL9mul_mat_fIfLi64ELi4ELi8ELb0EEvPKT_PKfPKiPfiiiiiiiiiiiiiiii, .Lfunc_end98-_ZL9mul_mat_fIfLi64ELi4ELi8ELb0EEvPKT_PKfPKiPfiiiiiiiiiiiiiiii
                                        ; -- End function
	.set _ZL9mul_mat_fIfLi64ELi4ELi8ELb0EEvPKT_PKfPKiPfiiiiiiiiiiiiiiii.num_vgpr, max(3, .L_ZL14no_device_codePKciS0_iS0_.num_vgpr)
	.set _ZL9mul_mat_fIfLi64ELi4ELi8ELb0EEvPKT_PKfPKiPfiiiiiiiiiiiiiiii.num_agpr, max(0, .L_ZL14no_device_codePKciS0_iS0_.num_agpr)
	.set _ZL9mul_mat_fIfLi64ELi4ELi8ELb0EEvPKT_PKfPKiPfiiiiiiiiiiiiiiii.numbered_sgpr, max(33, .L_ZL14no_device_codePKciS0_iS0_.numbered_sgpr)
	.set _ZL9mul_mat_fIfLi64ELi4ELi8ELb0EEvPKT_PKfPKiPfiiiiiiiiiiiiiiii.num_named_barrier, max(0, .L_ZL14no_device_codePKciS0_iS0_.num_named_barrier)
	.set _ZL9mul_mat_fIfLi64ELi4ELi8ELb0EEvPKT_PKfPKiPfiiiiiiiiiiiiiiii.private_seg_size, 0+max(.L_ZL14no_device_codePKciS0_iS0_.private_seg_size)
	.set _ZL9mul_mat_fIfLi64ELi4ELi8ELb0EEvPKT_PKfPKiPfiiiiiiiiiiiiiiii.uses_vcc, or(1, .L_ZL14no_device_codePKciS0_iS0_.uses_vcc)
	.set _ZL9mul_mat_fIfLi64ELi4ELi8ELb0EEvPKT_PKfPKiPfiiiiiiiiiiiiiiii.uses_flat_scratch, or(0, .L_ZL14no_device_codePKciS0_iS0_.uses_flat_scratch)
	.set _ZL9mul_mat_fIfLi64ELi4ELi8ELb0EEvPKT_PKfPKiPfiiiiiiiiiiiiiiii.has_dyn_sized_stack, or(0, .L_ZL14no_device_codePKciS0_iS0_.has_dyn_sized_stack)
	.set _ZL9mul_mat_fIfLi64ELi4ELi8ELb0EEvPKT_PKfPKiPfiiiiiiiiiiiiiiii.has_recursion, or(0, .L_ZL14no_device_codePKciS0_iS0_.has_recursion)
	.set _ZL9mul_mat_fIfLi64ELi4ELi8ELb0EEvPKT_PKfPKiPfiiiiiiiiiiiiiiii.has_indirect_call, or(0, .L_ZL14no_device_codePKciS0_iS0_.has_indirect_call)
	.section	.AMDGPU.csdata,"",@progbits
; Kernel info:
; codeLenInByte = 76
; TotalNumSgprs: 36
; NumVgprs: 38
; ScratchSize: 16
; MemoryBound: 0
; FloatMode: 240
; IeeeMode: 1
; LDSByteSize: 0 bytes/workgroup (compile time only)
; SGPRBlocks: 0
; VGPRBlocks: 4
; NumSGPRsForWavesPerEU: 36
; NumVGPRsForWavesPerEU: 38
; Occupancy: 16
; WaveLimiterHint : 1
; COMPUTE_PGM_RSRC2:SCRATCH_EN: 1
; COMPUTE_PGM_RSRC2:USER_SGPR: 2
; COMPUTE_PGM_RSRC2:TRAP_HANDLER: 0
; COMPUTE_PGM_RSRC2:TGID_X_EN: 1
; COMPUTE_PGM_RSRC2:TGID_Y_EN: 0
; COMPUTE_PGM_RSRC2:TGID_Z_EN: 0
; COMPUTE_PGM_RSRC2:TIDIG_COMP_CNT: 0
	.section	.text._ZL13mul_mat_f_idsI7__half2Li64ELi4ELi1EEvPKT_PKfPKiS7_S7_Pfiiiiiiiiiiiiii15HIP_vector_typeIjLj3EESA_,"axG",@progbits,_ZL13mul_mat_f_idsI7__half2Li64ELi4ELi1EEvPKT_PKfPKiS7_S7_Pfiiiiiiiiiiiiii15HIP_vector_typeIjLj3EESA_,comdat
	.globl	_ZL13mul_mat_f_idsI7__half2Li64ELi4ELi1EEvPKT_PKfPKiS7_S7_Pfiiiiiiiiiiiiii15HIP_vector_typeIjLj3EESA_ ; -- Begin function _ZL13mul_mat_f_idsI7__half2Li64ELi4ELi1EEvPKT_PKfPKiS7_S7_Pfiiiiiiiiiiiiii15HIP_vector_typeIjLj3EESA_
	.p2align	8
	.type	_ZL13mul_mat_f_idsI7__half2Li64ELi4ELi1EEvPKT_PKfPKiS7_S7_Pfiiiiiiiiiiiiii15HIP_vector_typeIjLj3EESA_,@function
_ZL13mul_mat_f_idsI7__half2Li64ELi4ELi1EEvPKT_PKfPKiS7_S7_Pfiiiiiiiiiiiiii15HIP_vector_typeIjLj3EESA_: ; @_ZL13mul_mat_f_idsI7__half2Li64ELi4ELi1EEvPKT_PKfPKiS7_S7_Pfiiiiiiiiiiiiii15HIP_vector_typeIjLj3EESA_
; %bb.0:
	s_getpc_b64 s[2:3]
	s_sext_i32_i16 s3, s3
	s_add_co_u32 s2, s2, __FUNCTION__._ZL13mul_mat_f_idsIfLi32ELi4ELi1EEvPKT_PKfPKiS6_S6_Pfiiiiiiiiiiiiii15HIP_vector_typeIjLj3EES9_@rel32@lo+8
	s_add_co_ci_u32 s3, s3, __FUNCTION__._ZL13mul_mat_f_idsIfLi32ELi4ELi1EEvPKT_PKfPKiS6_S6_Pfiiiiiiiiiiiiii15HIP_vector_typeIjLj3EES9_@rel32@hi+16
	v_dual_mov_b32 v0, 0x136 :: v_dual_mov_b32 v1, s2
	v_mov_b32_e32 v2, s3
	s_add_nc_u64 s[8:9], s[0:1], 0x80
	s_getpc_b64 s[0:1]
	s_sext_i32_i16 s1, s1
	s_add_co_u32 s0, s0, _ZL14no_device_codePKciS0_iS0_@rel32@lo+8
	s_add_co_ci_u32 s1, s1, _ZL14no_device_codePKciS0_iS0_@rel32@hi+16
	s_mov_b32 s32, 0
	s_swappc_b64 s[30:31], s[0:1]
	.section	.rodata,"a",@progbits
	.p2align	6, 0x0
	.amdhsa_kernel _ZL13mul_mat_f_idsI7__half2Li64ELi4ELi1EEvPKT_PKfPKiS7_S7_Pfiiiiiiiiiiiiii15HIP_vector_typeIjLj3EESA_
		.amdhsa_group_segment_fixed_size 0
		.amdhsa_private_segment_fixed_size 16
		.amdhsa_kernarg_size 384
		.amdhsa_user_sgpr_count 2
		.amdhsa_user_sgpr_dispatch_ptr 0
		.amdhsa_user_sgpr_queue_ptr 0
		.amdhsa_user_sgpr_kernarg_segment_ptr 1
		.amdhsa_user_sgpr_dispatch_id 0
		.amdhsa_user_sgpr_private_segment_size 0
		.amdhsa_wavefront_size32 1
		.amdhsa_uses_dynamic_stack 0
		.amdhsa_enable_private_segment 1
		.amdhsa_system_sgpr_workgroup_id_x 1
		.amdhsa_system_sgpr_workgroup_id_y 0
		.amdhsa_system_sgpr_workgroup_id_z 0
		.amdhsa_system_sgpr_workgroup_info 0
		.amdhsa_system_vgpr_workitem_id 0
		.amdhsa_next_free_vgpr 38
		.amdhsa_next_free_sgpr 34
		.amdhsa_reserve_vcc 1
		.amdhsa_float_round_mode_32 0
		.amdhsa_float_round_mode_16_64 0
		.amdhsa_float_denorm_mode_32 3
		.amdhsa_float_denorm_mode_16_64 3
		.amdhsa_fp16_overflow 0
		.amdhsa_workgroup_processor_mode 1
		.amdhsa_memory_ordered 1
		.amdhsa_forward_progress 1
		.amdhsa_inst_pref_size 1
		.amdhsa_round_robin_scheduling 0
		.amdhsa_exception_fp_ieee_invalid_op 0
		.amdhsa_exception_fp_denorm_src 0
		.amdhsa_exception_fp_ieee_div_zero 0
		.amdhsa_exception_fp_ieee_overflow 0
		.amdhsa_exception_fp_ieee_underflow 0
		.amdhsa_exception_fp_ieee_inexact 0
		.amdhsa_exception_int_div_zero 0
	.end_amdhsa_kernel
	.section	.text._ZL13mul_mat_f_idsI7__half2Li64ELi4ELi1EEvPKT_PKfPKiS7_S7_Pfiiiiiiiiiiiiii15HIP_vector_typeIjLj3EESA_,"axG",@progbits,_ZL13mul_mat_f_idsI7__half2Li64ELi4ELi1EEvPKT_PKfPKiS7_S7_Pfiiiiiiiiiiiiii15HIP_vector_typeIjLj3EESA_,comdat
.Lfunc_end99:
	.size	_ZL13mul_mat_f_idsI7__half2Li64ELi4ELi1EEvPKT_PKfPKiS7_S7_Pfiiiiiiiiiiiiii15HIP_vector_typeIjLj3EESA_, .Lfunc_end99-_ZL13mul_mat_f_idsI7__half2Li64ELi4ELi1EEvPKT_PKfPKiS7_S7_Pfiiiiiiiiiiiiii15HIP_vector_typeIjLj3EESA_
                                        ; -- End function
	.set _ZL13mul_mat_f_idsI7__half2Li64ELi4ELi1EEvPKT_PKfPKiS7_S7_Pfiiiiiiiiiiiiii15HIP_vector_typeIjLj3EESA_.num_vgpr, max(3, .L_ZL14no_device_codePKciS0_iS0_.num_vgpr)
	.set _ZL13mul_mat_f_idsI7__half2Li64ELi4ELi1EEvPKT_PKfPKiS7_S7_Pfiiiiiiiiiiiiii15HIP_vector_typeIjLj3EESA_.num_agpr, max(0, .L_ZL14no_device_codePKciS0_iS0_.num_agpr)
	.set _ZL13mul_mat_f_idsI7__half2Li64ELi4ELi1EEvPKT_PKfPKiS7_S7_Pfiiiiiiiiiiiiii15HIP_vector_typeIjLj3EESA_.numbered_sgpr, max(33, .L_ZL14no_device_codePKciS0_iS0_.numbered_sgpr)
	.set _ZL13mul_mat_f_idsI7__half2Li64ELi4ELi1EEvPKT_PKfPKiS7_S7_Pfiiiiiiiiiiiiii15HIP_vector_typeIjLj3EESA_.num_named_barrier, max(0, .L_ZL14no_device_codePKciS0_iS0_.num_named_barrier)
	.set _ZL13mul_mat_f_idsI7__half2Li64ELi4ELi1EEvPKT_PKfPKiS7_S7_Pfiiiiiiiiiiiiii15HIP_vector_typeIjLj3EESA_.private_seg_size, 0+max(.L_ZL14no_device_codePKciS0_iS0_.private_seg_size)
	.set _ZL13mul_mat_f_idsI7__half2Li64ELi4ELi1EEvPKT_PKfPKiS7_S7_Pfiiiiiiiiiiiiii15HIP_vector_typeIjLj3EESA_.uses_vcc, or(1, .L_ZL14no_device_codePKciS0_iS0_.uses_vcc)
	.set _ZL13mul_mat_f_idsI7__half2Li64ELi4ELi1EEvPKT_PKfPKiS7_S7_Pfiiiiiiiiiiiiii15HIP_vector_typeIjLj3EESA_.uses_flat_scratch, or(0, .L_ZL14no_device_codePKciS0_iS0_.uses_flat_scratch)
	.set _ZL13mul_mat_f_idsI7__half2Li64ELi4ELi1EEvPKT_PKfPKiS7_S7_Pfiiiiiiiiiiiiii15HIP_vector_typeIjLj3EESA_.has_dyn_sized_stack, or(0, .L_ZL14no_device_codePKciS0_iS0_.has_dyn_sized_stack)
	.set _ZL13mul_mat_f_idsI7__half2Li64ELi4ELi1EEvPKT_PKfPKiS7_S7_Pfiiiiiiiiiiiiii15HIP_vector_typeIjLj3EESA_.has_recursion, or(0, .L_ZL14no_device_codePKciS0_iS0_.has_recursion)
	.set _ZL13mul_mat_f_idsI7__half2Li64ELi4ELi1EEvPKT_PKfPKiS7_S7_Pfiiiiiiiiiiiiii15HIP_vector_typeIjLj3EESA_.has_indirect_call, or(0, .L_ZL14no_device_codePKciS0_iS0_.has_indirect_call)
	.section	.AMDGPU.csdata,"",@progbits
; Kernel info:
; codeLenInByte = 80
; TotalNumSgprs: 36
; NumVgprs: 38
; ScratchSize: 16
; MemoryBound: 0
; FloatMode: 240
; IeeeMode: 1
; LDSByteSize: 0 bytes/workgroup (compile time only)
; SGPRBlocks: 0
; VGPRBlocks: 4
; NumSGPRsForWavesPerEU: 36
; NumVGPRsForWavesPerEU: 38
; Occupancy: 16
; WaveLimiterHint : 1
; COMPUTE_PGM_RSRC2:SCRATCH_EN: 1
; COMPUTE_PGM_RSRC2:USER_SGPR: 2
; COMPUTE_PGM_RSRC2:TRAP_HANDLER: 0
; COMPUTE_PGM_RSRC2:TGID_X_EN: 1
; COMPUTE_PGM_RSRC2:TGID_Y_EN: 0
; COMPUTE_PGM_RSRC2:TGID_Z_EN: 0
; COMPUTE_PGM_RSRC2:TIDIG_COMP_CNT: 0
	.section	.text._ZL9mul_mat_fI7__half2Li64ELi4ELi1ELb1EEvPKT_PKfPKiPfiiiiiiiiiiiiiiii,"axG",@progbits,_ZL9mul_mat_fI7__half2Li64ELi4ELi1ELb1EEvPKT_PKfPKiPfiiiiiiiiiiiiiiii,comdat
	.globl	_ZL9mul_mat_fI7__half2Li64ELi4ELi1ELb1EEvPKT_PKfPKiPfiiiiiiiiiiiiiiii ; -- Begin function _ZL9mul_mat_fI7__half2Li64ELi4ELi1ELb1EEvPKT_PKfPKiPfiiiiiiiiiiiiiiii
	.p2align	8
	.type	_ZL9mul_mat_fI7__half2Li64ELi4ELi1ELb1EEvPKT_PKfPKiPfiiiiiiiiiiiiiiii,@function
_ZL9mul_mat_fI7__half2Li64ELi4ELi1ELb1EEvPKT_PKfPKiPfiiiiiiiiiiiiiiii: ; @_ZL9mul_mat_fI7__half2Li64ELi4ELi1ELb1EEvPKT_PKfPKiPfiiiiiiiiiiiiiiii
; %bb.0:
	s_getpc_b64 s[2:3]
	s_sext_i32_i16 s3, s3
	s_add_co_u32 s2, s2, __FUNCTION__._ZL9mul_mat_fIfLi32ELi4ELi1ELb1EEvPKT_PKfPKiPfiiiiiiiiiiiiiiii@rel32@lo+8
	s_add_co_ci_u32 s3, s3, __FUNCTION__._ZL9mul_mat_fIfLi32ELi4ELi1ELb1EEvPKT_PKfPKiPfiiiiiiiiiiiiiiii@rel32@hi+16
	v_dual_mov_b32 v0, 59 :: v_dual_mov_b32 v1, s2
	v_mov_b32_e32 v2, s3
	s_add_nc_u64 s[8:9], s[0:1], 0x60
	s_getpc_b64 s[0:1]
	s_sext_i32_i16 s1, s1
	s_add_co_u32 s0, s0, _ZL14no_device_codePKciS0_iS0_@rel32@lo+8
	s_add_co_ci_u32 s1, s1, _ZL14no_device_codePKciS0_iS0_@rel32@hi+16
	s_mov_b32 s32, 0
	s_swappc_b64 s[30:31], s[0:1]
	.section	.rodata,"a",@progbits
	.p2align	6, 0x0
	.amdhsa_kernel _ZL9mul_mat_fI7__half2Li64ELi4ELi1ELb1EEvPKT_PKfPKiPfiiiiiiiiiiiiiiii
		.amdhsa_group_segment_fixed_size 0
		.amdhsa_private_segment_fixed_size 16
		.amdhsa_kernarg_size 352
		.amdhsa_user_sgpr_count 2
		.amdhsa_user_sgpr_dispatch_ptr 0
		.amdhsa_user_sgpr_queue_ptr 0
		.amdhsa_user_sgpr_kernarg_segment_ptr 1
		.amdhsa_user_sgpr_dispatch_id 0
		.amdhsa_user_sgpr_private_segment_size 0
		.amdhsa_wavefront_size32 1
		.amdhsa_uses_dynamic_stack 0
		.amdhsa_enable_private_segment 1
		.amdhsa_system_sgpr_workgroup_id_x 1
		.amdhsa_system_sgpr_workgroup_id_y 0
		.amdhsa_system_sgpr_workgroup_id_z 0
		.amdhsa_system_sgpr_workgroup_info 0
		.amdhsa_system_vgpr_workitem_id 0
		.amdhsa_next_free_vgpr 38
		.amdhsa_next_free_sgpr 34
		.amdhsa_reserve_vcc 1
		.amdhsa_float_round_mode_32 0
		.amdhsa_float_round_mode_16_64 0
		.amdhsa_float_denorm_mode_32 3
		.amdhsa_float_denorm_mode_16_64 3
		.amdhsa_fp16_overflow 0
		.amdhsa_workgroup_processor_mode 1
		.amdhsa_memory_ordered 1
		.amdhsa_forward_progress 1
		.amdhsa_inst_pref_size 1
		.amdhsa_round_robin_scheduling 0
		.amdhsa_exception_fp_ieee_invalid_op 0
		.amdhsa_exception_fp_denorm_src 0
		.amdhsa_exception_fp_ieee_div_zero 0
		.amdhsa_exception_fp_ieee_overflow 0
		.amdhsa_exception_fp_ieee_underflow 0
		.amdhsa_exception_fp_ieee_inexact 0
		.amdhsa_exception_int_div_zero 0
	.end_amdhsa_kernel
	.section	.text._ZL9mul_mat_fI7__half2Li64ELi4ELi1ELb1EEvPKT_PKfPKiPfiiiiiiiiiiiiiiii,"axG",@progbits,_ZL9mul_mat_fI7__half2Li64ELi4ELi1ELb1EEvPKT_PKfPKiPfiiiiiiiiiiiiiiii,comdat
.Lfunc_end100:
	.size	_ZL9mul_mat_fI7__half2Li64ELi4ELi1ELb1EEvPKT_PKfPKiPfiiiiiiiiiiiiiiii, .Lfunc_end100-_ZL9mul_mat_fI7__half2Li64ELi4ELi1ELb1EEvPKT_PKfPKiPfiiiiiiiiiiiiiiii
                                        ; -- End function
	.set _ZL9mul_mat_fI7__half2Li64ELi4ELi1ELb1EEvPKT_PKfPKiPfiiiiiiiiiiiiiiii.num_vgpr, max(3, .L_ZL14no_device_codePKciS0_iS0_.num_vgpr)
	.set _ZL9mul_mat_fI7__half2Li64ELi4ELi1ELb1EEvPKT_PKfPKiPfiiiiiiiiiiiiiiii.num_agpr, max(0, .L_ZL14no_device_codePKciS0_iS0_.num_agpr)
	.set _ZL9mul_mat_fI7__half2Li64ELi4ELi1ELb1EEvPKT_PKfPKiPfiiiiiiiiiiiiiiii.numbered_sgpr, max(33, .L_ZL14no_device_codePKciS0_iS0_.numbered_sgpr)
	.set _ZL9mul_mat_fI7__half2Li64ELi4ELi1ELb1EEvPKT_PKfPKiPfiiiiiiiiiiiiiiii.num_named_barrier, max(0, .L_ZL14no_device_codePKciS0_iS0_.num_named_barrier)
	.set _ZL9mul_mat_fI7__half2Li64ELi4ELi1ELb1EEvPKT_PKfPKiPfiiiiiiiiiiiiiiii.private_seg_size, 0+max(.L_ZL14no_device_codePKciS0_iS0_.private_seg_size)
	.set _ZL9mul_mat_fI7__half2Li64ELi4ELi1ELb1EEvPKT_PKfPKiPfiiiiiiiiiiiiiiii.uses_vcc, or(1, .L_ZL14no_device_codePKciS0_iS0_.uses_vcc)
	.set _ZL9mul_mat_fI7__half2Li64ELi4ELi1ELb1EEvPKT_PKfPKiPfiiiiiiiiiiiiiiii.uses_flat_scratch, or(0, .L_ZL14no_device_codePKciS0_iS0_.uses_flat_scratch)
	.set _ZL9mul_mat_fI7__half2Li64ELi4ELi1ELb1EEvPKT_PKfPKiPfiiiiiiiiiiiiiiii.has_dyn_sized_stack, or(0, .L_ZL14no_device_codePKciS0_iS0_.has_dyn_sized_stack)
	.set _ZL9mul_mat_fI7__half2Li64ELi4ELi1ELb1EEvPKT_PKfPKiPfiiiiiiiiiiiiiiii.has_recursion, or(0, .L_ZL14no_device_codePKciS0_iS0_.has_recursion)
	.set _ZL9mul_mat_fI7__half2Li64ELi4ELi1ELb1EEvPKT_PKfPKiPfiiiiiiiiiiiiiiii.has_indirect_call, or(0, .L_ZL14no_device_codePKciS0_iS0_.has_indirect_call)
	.section	.AMDGPU.csdata,"",@progbits
; Kernel info:
; codeLenInByte = 76
; TotalNumSgprs: 36
; NumVgprs: 38
; ScratchSize: 16
; MemoryBound: 0
; FloatMode: 240
; IeeeMode: 1
; LDSByteSize: 0 bytes/workgroup (compile time only)
; SGPRBlocks: 0
; VGPRBlocks: 4
; NumSGPRsForWavesPerEU: 36
; NumVGPRsForWavesPerEU: 38
; Occupancy: 16
; WaveLimiterHint : 1
; COMPUTE_PGM_RSRC2:SCRATCH_EN: 1
; COMPUTE_PGM_RSRC2:USER_SGPR: 2
; COMPUTE_PGM_RSRC2:TRAP_HANDLER: 0
; COMPUTE_PGM_RSRC2:TGID_X_EN: 1
; COMPUTE_PGM_RSRC2:TGID_Y_EN: 0
; COMPUTE_PGM_RSRC2:TGID_Z_EN: 0
; COMPUTE_PGM_RSRC2:TIDIG_COMP_CNT: 0
	.section	.text._ZL9mul_mat_fI7__half2Li64ELi4ELi1ELb0EEvPKT_PKfPKiPfiiiiiiiiiiiiiiii,"axG",@progbits,_ZL9mul_mat_fI7__half2Li64ELi4ELi1ELb0EEvPKT_PKfPKiPfiiiiiiiiiiiiiiii,comdat
	.globl	_ZL9mul_mat_fI7__half2Li64ELi4ELi1ELb0EEvPKT_PKfPKiPfiiiiiiiiiiiiiiii ; -- Begin function _ZL9mul_mat_fI7__half2Li64ELi4ELi1ELb0EEvPKT_PKfPKiPfiiiiiiiiiiiiiiii
	.p2align	8
	.type	_ZL9mul_mat_fI7__half2Li64ELi4ELi1ELb0EEvPKT_PKfPKiPfiiiiiiiiiiiiiiii,@function
_ZL9mul_mat_fI7__half2Li64ELi4ELi1ELb0EEvPKT_PKfPKiPfiiiiiiiiiiiiiiii: ; @_ZL9mul_mat_fI7__half2Li64ELi4ELi1ELb0EEvPKT_PKfPKiPfiiiiiiiiiiiiiiii
; %bb.0:
	s_getpc_b64 s[2:3]
	s_sext_i32_i16 s3, s3
	s_add_co_u32 s2, s2, __FUNCTION__._ZL9mul_mat_fIfLi32ELi4ELi1ELb1EEvPKT_PKfPKiPfiiiiiiiiiiiiiiii@rel32@lo+8
	s_add_co_ci_u32 s3, s3, __FUNCTION__._ZL9mul_mat_fIfLi32ELi4ELi1ELb1EEvPKT_PKfPKiPfiiiiiiiiiiiiiiii@rel32@hi+16
	v_dual_mov_b32 v0, 59 :: v_dual_mov_b32 v1, s2
	v_mov_b32_e32 v2, s3
	s_add_nc_u64 s[8:9], s[0:1], 0x60
	s_getpc_b64 s[0:1]
	s_sext_i32_i16 s1, s1
	s_add_co_u32 s0, s0, _ZL14no_device_codePKciS0_iS0_@rel32@lo+8
	s_add_co_ci_u32 s1, s1, _ZL14no_device_codePKciS0_iS0_@rel32@hi+16
	s_mov_b32 s32, 0
	s_swappc_b64 s[30:31], s[0:1]
	.section	.rodata,"a",@progbits
	.p2align	6, 0x0
	.amdhsa_kernel _ZL9mul_mat_fI7__half2Li64ELi4ELi1ELb0EEvPKT_PKfPKiPfiiiiiiiiiiiiiiii
		.amdhsa_group_segment_fixed_size 0
		.amdhsa_private_segment_fixed_size 16
		.amdhsa_kernarg_size 352
		.amdhsa_user_sgpr_count 2
		.amdhsa_user_sgpr_dispatch_ptr 0
		.amdhsa_user_sgpr_queue_ptr 0
		.amdhsa_user_sgpr_kernarg_segment_ptr 1
		.amdhsa_user_sgpr_dispatch_id 0
		.amdhsa_user_sgpr_private_segment_size 0
		.amdhsa_wavefront_size32 1
		.amdhsa_uses_dynamic_stack 0
		.amdhsa_enable_private_segment 1
		.amdhsa_system_sgpr_workgroup_id_x 1
		.amdhsa_system_sgpr_workgroup_id_y 0
		.amdhsa_system_sgpr_workgroup_id_z 0
		.amdhsa_system_sgpr_workgroup_info 0
		.amdhsa_system_vgpr_workitem_id 0
		.amdhsa_next_free_vgpr 38
		.amdhsa_next_free_sgpr 34
		.amdhsa_reserve_vcc 1
		.amdhsa_float_round_mode_32 0
		.amdhsa_float_round_mode_16_64 0
		.amdhsa_float_denorm_mode_32 3
		.amdhsa_float_denorm_mode_16_64 3
		.amdhsa_fp16_overflow 0
		.amdhsa_workgroup_processor_mode 1
		.amdhsa_memory_ordered 1
		.amdhsa_forward_progress 1
		.amdhsa_inst_pref_size 1
		.amdhsa_round_robin_scheduling 0
		.amdhsa_exception_fp_ieee_invalid_op 0
		.amdhsa_exception_fp_denorm_src 0
		.amdhsa_exception_fp_ieee_div_zero 0
		.amdhsa_exception_fp_ieee_overflow 0
		.amdhsa_exception_fp_ieee_underflow 0
		.amdhsa_exception_fp_ieee_inexact 0
		.amdhsa_exception_int_div_zero 0
	.end_amdhsa_kernel
	.section	.text._ZL9mul_mat_fI7__half2Li64ELi4ELi1ELb0EEvPKT_PKfPKiPfiiiiiiiiiiiiiiii,"axG",@progbits,_ZL9mul_mat_fI7__half2Li64ELi4ELi1ELb0EEvPKT_PKfPKiPfiiiiiiiiiiiiiiii,comdat
.Lfunc_end101:
	.size	_ZL9mul_mat_fI7__half2Li64ELi4ELi1ELb0EEvPKT_PKfPKiPfiiiiiiiiiiiiiiii, .Lfunc_end101-_ZL9mul_mat_fI7__half2Li64ELi4ELi1ELb0EEvPKT_PKfPKiPfiiiiiiiiiiiiiiii
                                        ; -- End function
	.set _ZL9mul_mat_fI7__half2Li64ELi4ELi1ELb0EEvPKT_PKfPKiPfiiiiiiiiiiiiiiii.num_vgpr, max(3, .L_ZL14no_device_codePKciS0_iS0_.num_vgpr)
	.set _ZL9mul_mat_fI7__half2Li64ELi4ELi1ELb0EEvPKT_PKfPKiPfiiiiiiiiiiiiiiii.num_agpr, max(0, .L_ZL14no_device_codePKciS0_iS0_.num_agpr)
	.set _ZL9mul_mat_fI7__half2Li64ELi4ELi1ELb0EEvPKT_PKfPKiPfiiiiiiiiiiiiiiii.numbered_sgpr, max(33, .L_ZL14no_device_codePKciS0_iS0_.numbered_sgpr)
	.set _ZL9mul_mat_fI7__half2Li64ELi4ELi1ELb0EEvPKT_PKfPKiPfiiiiiiiiiiiiiiii.num_named_barrier, max(0, .L_ZL14no_device_codePKciS0_iS0_.num_named_barrier)
	.set _ZL9mul_mat_fI7__half2Li64ELi4ELi1ELb0EEvPKT_PKfPKiPfiiiiiiiiiiiiiiii.private_seg_size, 0+max(.L_ZL14no_device_codePKciS0_iS0_.private_seg_size)
	.set _ZL9mul_mat_fI7__half2Li64ELi4ELi1ELb0EEvPKT_PKfPKiPfiiiiiiiiiiiiiiii.uses_vcc, or(1, .L_ZL14no_device_codePKciS0_iS0_.uses_vcc)
	.set _ZL9mul_mat_fI7__half2Li64ELi4ELi1ELb0EEvPKT_PKfPKiPfiiiiiiiiiiiiiiii.uses_flat_scratch, or(0, .L_ZL14no_device_codePKciS0_iS0_.uses_flat_scratch)
	.set _ZL9mul_mat_fI7__half2Li64ELi4ELi1ELb0EEvPKT_PKfPKiPfiiiiiiiiiiiiiiii.has_dyn_sized_stack, or(0, .L_ZL14no_device_codePKciS0_iS0_.has_dyn_sized_stack)
	.set _ZL9mul_mat_fI7__half2Li64ELi4ELi1ELb0EEvPKT_PKfPKiPfiiiiiiiiiiiiiiii.has_recursion, or(0, .L_ZL14no_device_codePKciS0_iS0_.has_recursion)
	.set _ZL9mul_mat_fI7__half2Li64ELi4ELi1ELb0EEvPKT_PKfPKiPfiiiiiiiiiiiiiiii.has_indirect_call, or(0, .L_ZL14no_device_codePKciS0_iS0_.has_indirect_call)
	.section	.AMDGPU.csdata,"",@progbits
; Kernel info:
; codeLenInByte = 76
; TotalNumSgprs: 36
; NumVgprs: 38
; ScratchSize: 16
; MemoryBound: 0
; FloatMode: 240
; IeeeMode: 1
; LDSByteSize: 0 bytes/workgroup (compile time only)
; SGPRBlocks: 0
; VGPRBlocks: 4
; NumSGPRsForWavesPerEU: 36
; NumVGPRsForWavesPerEU: 38
; Occupancy: 16
; WaveLimiterHint : 1
; COMPUTE_PGM_RSRC2:SCRATCH_EN: 1
; COMPUTE_PGM_RSRC2:USER_SGPR: 2
; COMPUTE_PGM_RSRC2:TRAP_HANDLER: 0
; COMPUTE_PGM_RSRC2:TGID_X_EN: 1
; COMPUTE_PGM_RSRC2:TGID_Y_EN: 0
; COMPUTE_PGM_RSRC2:TGID_Z_EN: 0
; COMPUTE_PGM_RSRC2:TIDIG_COMP_CNT: 0
	.section	.text._ZL13mul_mat_f_idsI7__half2Li64ELi4ELi2EEvPKT_PKfPKiS7_S7_Pfiiiiiiiiiiiiii15HIP_vector_typeIjLj3EESA_,"axG",@progbits,_ZL13mul_mat_f_idsI7__half2Li64ELi4ELi2EEvPKT_PKfPKiS7_S7_Pfiiiiiiiiiiiiii15HIP_vector_typeIjLj3EESA_,comdat
	.globl	_ZL13mul_mat_f_idsI7__half2Li64ELi4ELi2EEvPKT_PKfPKiS7_S7_Pfiiiiiiiiiiiiii15HIP_vector_typeIjLj3EESA_ ; -- Begin function _ZL13mul_mat_f_idsI7__half2Li64ELi4ELi2EEvPKT_PKfPKiS7_S7_Pfiiiiiiiiiiiiii15HIP_vector_typeIjLj3EESA_
	.p2align	8
	.type	_ZL13mul_mat_f_idsI7__half2Li64ELi4ELi2EEvPKT_PKfPKiS7_S7_Pfiiiiiiiiiiiiii15HIP_vector_typeIjLj3EESA_,@function
_ZL13mul_mat_f_idsI7__half2Li64ELi4ELi2EEvPKT_PKfPKiS7_S7_Pfiiiiiiiiiiiiii15HIP_vector_typeIjLj3EESA_: ; @_ZL13mul_mat_f_idsI7__half2Li64ELi4ELi2EEvPKT_PKfPKiS7_S7_Pfiiiiiiiiiiiiii15HIP_vector_typeIjLj3EESA_
; %bb.0:
	s_getpc_b64 s[2:3]
	s_sext_i32_i16 s3, s3
	s_add_co_u32 s2, s2, __FUNCTION__._ZL13mul_mat_f_idsIfLi32ELi4ELi1EEvPKT_PKfPKiS6_S6_Pfiiiiiiiiiiiiii15HIP_vector_typeIjLj3EES9_@rel32@lo+8
	s_add_co_ci_u32 s3, s3, __FUNCTION__._ZL13mul_mat_f_idsIfLi32ELi4ELi1EEvPKT_PKfPKiS6_S6_Pfiiiiiiiiiiiiii15HIP_vector_typeIjLj3EES9_@rel32@hi+16
	v_dual_mov_b32 v0, 0x136 :: v_dual_mov_b32 v1, s2
	v_mov_b32_e32 v2, s3
	s_add_nc_u64 s[8:9], s[0:1], 0x80
	s_getpc_b64 s[0:1]
	s_sext_i32_i16 s1, s1
	s_add_co_u32 s0, s0, _ZL14no_device_codePKciS0_iS0_@rel32@lo+8
	s_add_co_ci_u32 s1, s1, _ZL14no_device_codePKciS0_iS0_@rel32@hi+16
	s_mov_b32 s32, 0
	s_swappc_b64 s[30:31], s[0:1]
	.section	.rodata,"a",@progbits
	.p2align	6, 0x0
	.amdhsa_kernel _ZL13mul_mat_f_idsI7__half2Li64ELi4ELi2EEvPKT_PKfPKiS7_S7_Pfiiiiiiiiiiiiii15HIP_vector_typeIjLj3EESA_
		.amdhsa_group_segment_fixed_size 0
		.amdhsa_private_segment_fixed_size 16
		.amdhsa_kernarg_size 384
		.amdhsa_user_sgpr_count 2
		.amdhsa_user_sgpr_dispatch_ptr 0
		.amdhsa_user_sgpr_queue_ptr 0
		.amdhsa_user_sgpr_kernarg_segment_ptr 1
		.amdhsa_user_sgpr_dispatch_id 0
		.amdhsa_user_sgpr_private_segment_size 0
		.amdhsa_wavefront_size32 1
		.amdhsa_uses_dynamic_stack 0
		.amdhsa_enable_private_segment 1
		.amdhsa_system_sgpr_workgroup_id_x 1
		.amdhsa_system_sgpr_workgroup_id_y 0
		.amdhsa_system_sgpr_workgroup_id_z 0
		.amdhsa_system_sgpr_workgroup_info 0
		.amdhsa_system_vgpr_workitem_id 0
		.amdhsa_next_free_vgpr 38
		.amdhsa_next_free_sgpr 34
		.amdhsa_reserve_vcc 1
		.amdhsa_float_round_mode_32 0
		.amdhsa_float_round_mode_16_64 0
		.amdhsa_float_denorm_mode_32 3
		.amdhsa_float_denorm_mode_16_64 3
		.amdhsa_fp16_overflow 0
		.amdhsa_workgroup_processor_mode 1
		.amdhsa_memory_ordered 1
		.amdhsa_forward_progress 1
		.amdhsa_inst_pref_size 1
		.amdhsa_round_robin_scheduling 0
		.amdhsa_exception_fp_ieee_invalid_op 0
		.amdhsa_exception_fp_denorm_src 0
		.amdhsa_exception_fp_ieee_div_zero 0
		.amdhsa_exception_fp_ieee_overflow 0
		.amdhsa_exception_fp_ieee_underflow 0
		.amdhsa_exception_fp_ieee_inexact 0
		.amdhsa_exception_int_div_zero 0
	.end_amdhsa_kernel
	.section	.text._ZL13mul_mat_f_idsI7__half2Li64ELi4ELi2EEvPKT_PKfPKiS7_S7_Pfiiiiiiiiiiiiii15HIP_vector_typeIjLj3EESA_,"axG",@progbits,_ZL13mul_mat_f_idsI7__half2Li64ELi4ELi2EEvPKT_PKfPKiS7_S7_Pfiiiiiiiiiiiiii15HIP_vector_typeIjLj3EESA_,comdat
.Lfunc_end102:
	.size	_ZL13mul_mat_f_idsI7__half2Li64ELi4ELi2EEvPKT_PKfPKiS7_S7_Pfiiiiiiiiiiiiii15HIP_vector_typeIjLj3EESA_, .Lfunc_end102-_ZL13mul_mat_f_idsI7__half2Li64ELi4ELi2EEvPKT_PKfPKiS7_S7_Pfiiiiiiiiiiiiii15HIP_vector_typeIjLj3EESA_
                                        ; -- End function
	.set _ZL13mul_mat_f_idsI7__half2Li64ELi4ELi2EEvPKT_PKfPKiS7_S7_Pfiiiiiiiiiiiiii15HIP_vector_typeIjLj3EESA_.num_vgpr, max(3, .L_ZL14no_device_codePKciS0_iS0_.num_vgpr)
	.set _ZL13mul_mat_f_idsI7__half2Li64ELi4ELi2EEvPKT_PKfPKiS7_S7_Pfiiiiiiiiiiiiii15HIP_vector_typeIjLj3EESA_.num_agpr, max(0, .L_ZL14no_device_codePKciS0_iS0_.num_agpr)
	.set _ZL13mul_mat_f_idsI7__half2Li64ELi4ELi2EEvPKT_PKfPKiS7_S7_Pfiiiiiiiiiiiiii15HIP_vector_typeIjLj3EESA_.numbered_sgpr, max(33, .L_ZL14no_device_codePKciS0_iS0_.numbered_sgpr)
	.set _ZL13mul_mat_f_idsI7__half2Li64ELi4ELi2EEvPKT_PKfPKiS7_S7_Pfiiiiiiiiiiiiii15HIP_vector_typeIjLj3EESA_.num_named_barrier, max(0, .L_ZL14no_device_codePKciS0_iS0_.num_named_barrier)
	.set _ZL13mul_mat_f_idsI7__half2Li64ELi4ELi2EEvPKT_PKfPKiS7_S7_Pfiiiiiiiiiiiiii15HIP_vector_typeIjLj3EESA_.private_seg_size, 0+max(.L_ZL14no_device_codePKciS0_iS0_.private_seg_size)
	.set _ZL13mul_mat_f_idsI7__half2Li64ELi4ELi2EEvPKT_PKfPKiS7_S7_Pfiiiiiiiiiiiiii15HIP_vector_typeIjLj3EESA_.uses_vcc, or(1, .L_ZL14no_device_codePKciS0_iS0_.uses_vcc)
	.set _ZL13mul_mat_f_idsI7__half2Li64ELi4ELi2EEvPKT_PKfPKiS7_S7_Pfiiiiiiiiiiiiii15HIP_vector_typeIjLj3EESA_.uses_flat_scratch, or(0, .L_ZL14no_device_codePKciS0_iS0_.uses_flat_scratch)
	.set _ZL13mul_mat_f_idsI7__half2Li64ELi4ELi2EEvPKT_PKfPKiS7_S7_Pfiiiiiiiiiiiiii15HIP_vector_typeIjLj3EESA_.has_dyn_sized_stack, or(0, .L_ZL14no_device_codePKciS0_iS0_.has_dyn_sized_stack)
	.set _ZL13mul_mat_f_idsI7__half2Li64ELi4ELi2EEvPKT_PKfPKiS7_S7_Pfiiiiiiiiiiiiii15HIP_vector_typeIjLj3EESA_.has_recursion, or(0, .L_ZL14no_device_codePKciS0_iS0_.has_recursion)
	.set _ZL13mul_mat_f_idsI7__half2Li64ELi4ELi2EEvPKT_PKfPKiS7_S7_Pfiiiiiiiiiiiiii15HIP_vector_typeIjLj3EESA_.has_indirect_call, or(0, .L_ZL14no_device_codePKciS0_iS0_.has_indirect_call)
	.section	.AMDGPU.csdata,"",@progbits
; Kernel info:
; codeLenInByte = 80
; TotalNumSgprs: 36
; NumVgprs: 38
; ScratchSize: 16
; MemoryBound: 0
; FloatMode: 240
; IeeeMode: 1
; LDSByteSize: 0 bytes/workgroup (compile time only)
; SGPRBlocks: 0
; VGPRBlocks: 4
; NumSGPRsForWavesPerEU: 36
; NumVGPRsForWavesPerEU: 38
; Occupancy: 16
; WaveLimiterHint : 1
; COMPUTE_PGM_RSRC2:SCRATCH_EN: 1
; COMPUTE_PGM_RSRC2:USER_SGPR: 2
; COMPUTE_PGM_RSRC2:TRAP_HANDLER: 0
; COMPUTE_PGM_RSRC2:TGID_X_EN: 1
; COMPUTE_PGM_RSRC2:TGID_Y_EN: 0
; COMPUTE_PGM_RSRC2:TGID_Z_EN: 0
; COMPUTE_PGM_RSRC2:TIDIG_COMP_CNT: 0
	.section	.text._ZL9mul_mat_fI7__half2Li64ELi4ELi2ELb1EEvPKT_PKfPKiPfiiiiiiiiiiiiiiii,"axG",@progbits,_ZL9mul_mat_fI7__half2Li64ELi4ELi2ELb1EEvPKT_PKfPKiPfiiiiiiiiiiiiiiii,comdat
	.globl	_ZL9mul_mat_fI7__half2Li64ELi4ELi2ELb1EEvPKT_PKfPKiPfiiiiiiiiiiiiiiii ; -- Begin function _ZL9mul_mat_fI7__half2Li64ELi4ELi2ELb1EEvPKT_PKfPKiPfiiiiiiiiiiiiiiii
	.p2align	8
	.type	_ZL9mul_mat_fI7__half2Li64ELi4ELi2ELb1EEvPKT_PKfPKiPfiiiiiiiiiiiiiiii,@function
_ZL9mul_mat_fI7__half2Li64ELi4ELi2ELb1EEvPKT_PKfPKiPfiiiiiiiiiiiiiiii: ; @_ZL9mul_mat_fI7__half2Li64ELi4ELi2ELb1EEvPKT_PKfPKiPfiiiiiiiiiiiiiiii
; %bb.0:
	s_getpc_b64 s[2:3]
	s_sext_i32_i16 s3, s3
	s_add_co_u32 s2, s2, __FUNCTION__._ZL9mul_mat_fIfLi32ELi4ELi1ELb1EEvPKT_PKfPKiPfiiiiiiiiiiiiiiii@rel32@lo+8
	s_add_co_ci_u32 s3, s3, __FUNCTION__._ZL9mul_mat_fIfLi32ELi4ELi1ELb1EEvPKT_PKfPKiPfiiiiiiiiiiiiiiii@rel32@hi+16
	v_dual_mov_b32 v0, 59 :: v_dual_mov_b32 v1, s2
	v_mov_b32_e32 v2, s3
	s_add_nc_u64 s[8:9], s[0:1], 0x60
	s_getpc_b64 s[0:1]
	s_sext_i32_i16 s1, s1
	s_add_co_u32 s0, s0, _ZL14no_device_codePKciS0_iS0_@rel32@lo+8
	s_add_co_ci_u32 s1, s1, _ZL14no_device_codePKciS0_iS0_@rel32@hi+16
	s_mov_b32 s32, 0
	s_swappc_b64 s[30:31], s[0:1]
	.section	.rodata,"a",@progbits
	.p2align	6, 0x0
	.amdhsa_kernel _ZL9mul_mat_fI7__half2Li64ELi4ELi2ELb1EEvPKT_PKfPKiPfiiiiiiiiiiiiiiii
		.amdhsa_group_segment_fixed_size 0
		.amdhsa_private_segment_fixed_size 16
		.amdhsa_kernarg_size 352
		.amdhsa_user_sgpr_count 2
		.amdhsa_user_sgpr_dispatch_ptr 0
		.amdhsa_user_sgpr_queue_ptr 0
		.amdhsa_user_sgpr_kernarg_segment_ptr 1
		.amdhsa_user_sgpr_dispatch_id 0
		.amdhsa_user_sgpr_private_segment_size 0
		.amdhsa_wavefront_size32 1
		.amdhsa_uses_dynamic_stack 0
		.amdhsa_enable_private_segment 1
		.amdhsa_system_sgpr_workgroup_id_x 1
		.amdhsa_system_sgpr_workgroup_id_y 0
		.amdhsa_system_sgpr_workgroup_id_z 0
		.amdhsa_system_sgpr_workgroup_info 0
		.amdhsa_system_vgpr_workitem_id 0
		.amdhsa_next_free_vgpr 38
		.amdhsa_next_free_sgpr 34
		.amdhsa_reserve_vcc 1
		.amdhsa_float_round_mode_32 0
		.amdhsa_float_round_mode_16_64 0
		.amdhsa_float_denorm_mode_32 3
		.amdhsa_float_denorm_mode_16_64 3
		.amdhsa_fp16_overflow 0
		.amdhsa_workgroup_processor_mode 1
		.amdhsa_memory_ordered 1
		.amdhsa_forward_progress 1
		.amdhsa_inst_pref_size 1
		.amdhsa_round_robin_scheduling 0
		.amdhsa_exception_fp_ieee_invalid_op 0
		.amdhsa_exception_fp_denorm_src 0
		.amdhsa_exception_fp_ieee_div_zero 0
		.amdhsa_exception_fp_ieee_overflow 0
		.amdhsa_exception_fp_ieee_underflow 0
		.amdhsa_exception_fp_ieee_inexact 0
		.amdhsa_exception_int_div_zero 0
	.end_amdhsa_kernel
	.section	.text._ZL9mul_mat_fI7__half2Li64ELi4ELi2ELb1EEvPKT_PKfPKiPfiiiiiiiiiiiiiiii,"axG",@progbits,_ZL9mul_mat_fI7__half2Li64ELi4ELi2ELb1EEvPKT_PKfPKiPfiiiiiiiiiiiiiiii,comdat
.Lfunc_end103:
	.size	_ZL9mul_mat_fI7__half2Li64ELi4ELi2ELb1EEvPKT_PKfPKiPfiiiiiiiiiiiiiiii, .Lfunc_end103-_ZL9mul_mat_fI7__half2Li64ELi4ELi2ELb1EEvPKT_PKfPKiPfiiiiiiiiiiiiiiii
                                        ; -- End function
	.set _ZL9mul_mat_fI7__half2Li64ELi4ELi2ELb1EEvPKT_PKfPKiPfiiiiiiiiiiiiiiii.num_vgpr, max(3, .L_ZL14no_device_codePKciS0_iS0_.num_vgpr)
	.set _ZL9mul_mat_fI7__half2Li64ELi4ELi2ELb1EEvPKT_PKfPKiPfiiiiiiiiiiiiiiii.num_agpr, max(0, .L_ZL14no_device_codePKciS0_iS0_.num_agpr)
	.set _ZL9mul_mat_fI7__half2Li64ELi4ELi2ELb1EEvPKT_PKfPKiPfiiiiiiiiiiiiiiii.numbered_sgpr, max(33, .L_ZL14no_device_codePKciS0_iS0_.numbered_sgpr)
	.set _ZL9mul_mat_fI7__half2Li64ELi4ELi2ELb1EEvPKT_PKfPKiPfiiiiiiiiiiiiiiii.num_named_barrier, max(0, .L_ZL14no_device_codePKciS0_iS0_.num_named_barrier)
	.set _ZL9mul_mat_fI7__half2Li64ELi4ELi2ELb1EEvPKT_PKfPKiPfiiiiiiiiiiiiiiii.private_seg_size, 0+max(.L_ZL14no_device_codePKciS0_iS0_.private_seg_size)
	.set _ZL9mul_mat_fI7__half2Li64ELi4ELi2ELb1EEvPKT_PKfPKiPfiiiiiiiiiiiiiiii.uses_vcc, or(1, .L_ZL14no_device_codePKciS0_iS0_.uses_vcc)
	.set _ZL9mul_mat_fI7__half2Li64ELi4ELi2ELb1EEvPKT_PKfPKiPfiiiiiiiiiiiiiiii.uses_flat_scratch, or(0, .L_ZL14no_device_codePKciS0_iS0_.uses_flat_scratch)
	.set _ZL9mul_mat_fI7__half2Li64ELi4ELi2ELb1EEvPKT_PKfPKiPfiiiiiiiiiiiiiiii.has_dyn_sized_stack, or(0, .L_ZL14no_device_codePKciS0_iS0_.has_dyn_sized_stack)
	.set _ZL9mul_mat_fI7__half2Li64ELi4ELi2ELb1EEvPKT_PKfPKiPfiiiiiiiiiiiiiiii.has_recursion, or(0, .L_ZL14no_device_codePKciS0_iS0_.has_recursion)
	.set _ZL9mul_mat_fI7__half2Li64ELi4ELi2ELb1EEvPKT_PKfPKiPfiiiiiiiiiiiiiiii.has_indirect_call, or(0, .L_ZL14no_device_codePKciS0_iS0_.has_indirect_call)
	.section	.AMDGPU.csdata,"",@progbits
; Kernel info:
; codeLenInByte = 76
; TotalNumSgprs: 36
; NumVgprs: 38
; ScratchSize: 16
; MemoryBound: 0
; FloatMode: 240
; IeeeMode: 1
; LDSByteSize: 0 bytes/workgroup (compile time only)
; SGPRBlocks: 0
; VGPRBlocks: 4
; NumSGPRsForWavesPerEU: 36
; NumVGPRsForWavesPerEU: 38
; Occupancy: 16
; WaveLimiterHint : 1
; COMPUTE_PGM_RSRC2:SCRATCH_EN: 1
; COMPUTE_PGM_RSRC2:USER_SGPR: 2
; COMPUTE_PGM_RSRC2:TRAP_HANDLER: 0
; COMPUTE_PGM_RSRC2:TGID_X_EN: 1
; COMPUTE_PGM_RSRC2:TGID_Y_EN: 0
; COMPUTE_PGM_RSRC2:TGID_Z_EN: 0
; COMPUTE_PGM_RSRC2:TIDIG_COMP_CNT: 0
	.section	.text._ZL9mul_mat_fI7__half2Li64ELi4ELi2ELb0EEvPKT_PKfPKiPfiiiiiiiiiiiiiiii,"axG",@progbits,_ZL9mul_mat_fI7__half2Li64ELi4ELi2ELb0EEvPKT_PKfPKiPfiiiiiiiiiiiiiiii,comdat
	.globl	_ZL9mul_mat_fI7__half2Li64ELi4ELi2ELb0EEvPKT_PKfPKiPfiiiiiiiiiiiiiiii ; -- Begin function _ZL9mul_mat_fI7__half2Li64ELi4ELi2ELb0EEvPKT_PKfPKiPfiiiiiiiiiiiiiiii
	.p2align	8
	.type	_ZL9mul_mat_fI7__half2Li64ELi4ELi2ELb0EEvPKT_PKfPKiPfiiiiiiiiiiiiiiii,@function
_ZL9mul_mat_fI7__half2Li64ELi4ELi2ELb0EEvPKT_PKfPKiPfiiiiiiiiiiiiiiii: ; @_ZL9mul_mat_fI7__half2Li64ELi4ELi2ELb0EEvPKT_PKfPKiPfiiiiiiiiiiiiiiii
; %bb.0:
	s_getpc_b64 s[2:3]
	s_sext_i32_i16 s3, s3
	s_add_co_u32 s2, s2, __FUNCTION__._ZL9mul_mat_fIfLi32ELi4ELi1ELb1EEvPKT_PKfPKiPfiiiiiiiiiiiiiiii@rel32@lo+8
	s_add_co_ci_u32 s3, s3, __FUNCTION__._ZL9mul_mat_fIfLi32ELi4ELi1ELb1EEvPKT_PKfPKiPfiiiiiiiiiiiiiiii@rel32@hi+16
	v_dual_mov_b32 v0, 59 :: v_dual_mov_b32 v1, s2
	v_mov_b32_e32 v2, s3
	s_add_nc_u64 s[8:9], s[0:1], 0x60
	s_getpc_b64 s[0:1]
	s_sext_i32_i16 s1, s1
	s_add_co_u32 s0, s0, _ZL14no_device_codePKciS0_iS0_@rel32@lo+8
	s_add_co_ci_u32 s1, s1, _ZL14no_device_codePKciS0_iS0_@rel32@hi+16
	s_mov_b32 s32, 0
	s_swappc_b64 s[30:31], s[0:1]
	.section	.rodata,"a",@progbits
	.p2align	6, 0x0
	.amdhsa_kernel _ZL9mul_mat_fI7__half2Li64ELi4ELi2ELb0EEvPKT_PKfPKiPfiiiiiiiiiiiiiiii
		.amdhsa_group_segment_fixed_size 0
		.amdhsa_private_segment_fixed_size 16
		.amdhsa_kernarg_size 352
		.amdhsa_user_sgpr_count 2
		.amdhsa_user_sgpr_dispatch_ptr 0
		.amdhsa_user_sgpr_queue_ptr 0
		.amdhsa_user_sgpr_kernarg_segment_ptr 1
		.amdhsa_user_sgpr_dispatch_id 0
		.amdhsa_user_sgpr_private_segment_size 0
		.amdhsa_wavefront_size32 1
		.amdhsa_uses_dynamic_stack 0
		.amdhsa_enable_private_segment 1
		.amdhsa_system_sgpr_workgroup_id_x 1
		.amdhsa_system_sgpr_workgroup_id_y 0
		.amdhsa_system_sgpr_workgroup_id_z 0
		.amdhsa_system_sgpr_workgroup_info 0
		.amdhsa_system_vgpr_workitem_id 0
		.amdhsa_next_free_vgpr 38
		.amdhsa_next_free_sgpr 34
		.amdhsa_reserve_vcc 1
		.amdhsa_float_round_mode_32 0
		.amdhsa_float_round_mode_16_64 0
		.amdhsa_float_denorm_mode_32 3
		.amdhsa_float_denorm_mode_16_64 3
		.amdhsa_fp16_overflow 0
		.amdhsa_workgroup_processor_mode 1
		.amdhsa_memory_ordered 1
		.amdhsa_forward_progress 1
		.amdhsa_inst_pref_size 1
		.amdhsa_round_robin_scheduling 0
		.amdhsa_exception_fp_ieee_invalid_op 0
		.amdhsa_exception_fp_denorm_src 0
		.amdhsa_exception_fp_ieee_div_zero 0
		.amdhsa_exception_fp_ieee_overflow 0
		.amdhsa_exception_fp_ieee_underflow 0
		.amdhsa_exception_fp_ieee_inexact 0
		.amdhsa_exception_int_div_zero 0
	.end_amdhsa_kernel
	.section	.text._ZL9mul_mat_fI7__half2Li64ELi4ELi2ELb0EEvPKT_PKfPKiPfiiiiiiiiiiiiiiii,"axG",@progbits,_ZL9mul_mat_fI7__half2Li64ELi4ELi2ELb0EEvPKT_PKfPKiPfiiiiiiiiiiiiiiii,comdat
.Lfunc_end104:
	.size	_ZL9mul_mat_fI7__half2Li64ELi4ELi2ELb0EEvPKT_PKfPKiPfiiiiiiiiiiiiiiii, .Lfunc_end104-_ZL9mul_mat_fI7__half2Li64ELi4ELi2ELb0EEvPKT_PKfPKiPfiiiiiiiiiiiiiiii
                                        ; -- End function
	.set _ZL9mul_mat_fI7__half2Li64ELi4ELi2ELb0EEvPKT_PKfPKiPfiiiiiiiiiiiiiiii.num_vgpr, max(3, .L_ZL14no_device_codePKciS0_iS0_.num_vgpr)
	.set _ZL9mul_mat_fI7__half2Li64ELi4ELi2ELb0EEvPKT_PKfPKiPfiiiiiiiiiiiiiiii.num_agpr, max(0, .L_ZL14no_device_codePKciS0_iS0_.num_agpr)
	.set _ZL9mul_mat_fI7__half2Li64ELi4ELi2ELb0EEvPKT_PKfPKiPfiiiiiiiiiiiiiiii.numbered_sgpr, max(33, .L_ZL14no_device_codePKciS0_iS0_.numbered_sgpr)
	.set _ZL9mul_mat_fI7__half2Li64ELi4ELi2ELb0EEvPKT_PKfPKiPfiiiiiiiiiiiiiiii.num_named_barrier, max(0, .L_ZL14no_device_codePKciS0_iS0_.num_named_barrier)
	.set _ZL9mul_mat_fI7__half2Li64ELi4ELi2ELb0EEvPKT_PKfPKiPfiiiiiiiiiiiiiiii.private_seg_size, 0+max(.L_ZL14no_device_codePKciS0_iS0_.private_seg_size)
	.set _ZL9mul_mat_fI7__half2Li64ELi4ELi2ELb0EEvPKT_PKfPKiPfiiiiiiiiiiiiiiii.uses_vcc, or(1, .L_ZL14no_device_codePKciS0_iS0_.uses_vcc)
	.set _ZL9mul_mat_fI7__half2Li64ELi4ELi2ELb0EEvPKT_PKfPKiPfiiiiiiiiiiiiiiii.uses_flat_scratch, or(0, .L_ZL14no_device_codePKciS0_iS0_.uses_flat_scratch)
	.set _ZL9mul_mat_fI7__half2Li64ELi4ELi2ELb0EEvPKT_PKfPKiPfiiiiiiiiiiiiiiii.has_dyn_sized_stack, or(0, .L_ZL14no_device_codePKciS0_iS0_.has_dyn_sized_stack)
	.set _ZL9mul_mat_fI7__half2Li64ELi4ELi2ELb0EEvPKT_PKfPKiPfiiiiiiiiiiiiiiii.has_recursion, or(0, .L_ZL14no_device_codePKciS0_iS0_.has_recursion)
	.set _ZL9mul_mat_fI7__half2Li64ELi4ELi2ELb0EEvPKT_PKfPKiPfiiiiiiiiiiiiiiii.has_indirect_call, or(0, .L_ZL14no_device_codePKciS0_iS0_.has_indirect_call)
	.section	.AMDGPU.csdata,"",@progbits
; Kernel info:
; codeLenInByte = 76
; TotalNumSgprs: 36
; NumVgprs: 38
; ScratchSize: 16
; MemoryBound: 0
; FloatMode: 240
; IeeeMode: 1
; LDSByteSize: 0 bytes/workgroup (compile time only)
; SGPRBlocks: 0
; VGPRBlocks: 4
; NumSGPRsForWavesPerEU: 36
; NumVGPRsForWavesPerEU: 38
; Occupancy: 16
; WaveLimiterHint : 1
; COMPUTE_PGM_RSRC2:SCRATCH_EN: 1
; COMPUTE_PGM_RSRC2:USER_SGPR: 2
; COMPUTE_PGM_RSRC2:TRAP_HANDLER: 0
; COMPUTE_PGM_RSRC2:TGID_X_EN: 1
; COMPUTE_PGM_RSRC2:TGID_Y_EN: 0
; COMPUTE_PGM_RSRC2:TGID_Z_EN: 0
; COMPUTE_PGM_RSRC2:TIDIG_COMP_CNT: 0
	.section	.text._ZL13mul_mat_f_idsI7__half2Li64ELi4ELi3EEvPKT_PKfPKiS7_S7_Pfiiiiiiiiiiiiii15HIP_vector_typeIjLj3EESA_,"axG",@progbits,_ZL13mul_mat_f_idsI7__half2Li64ELi4ELi3EEvPKT_PKfPKiS7_S7_Pfiiiiiiiiiiiiii15HIP_vector_typeIjLj3EESA_,comdat
	.globl	_ZL13mul_mat_f_idsI7__half2Li64ELi4ELi3EEvPKT_PKfPKiS7_S7_Pfiiiiiiiiiiiiii15HIP_vector_typeIjLj3EESA_ ; -- Begin function _ZL13mul_mat_f_idsI7__half2Li64ELi4ELi3EEvPKT_PKfPKiS7_S7_Pfiiiiiiiiiiiiii15HIP_vector_typeIjLj3EESA_
	.p2align	8
	.type	_ZL13mul_mat_f_idsI7__half2Li64ELi4ELi3EEvPKT_PKfPKiS7_S7_Pfiiiiiiiiiiiiii15HIP_vector_typeIjLj3EESA_,@function
_ZL13mul_mat_f_idsI7__half2Li64ELi4ELi3EEvPKT_PKfPKiS7_S7_Pfiiiiiiiiiiiiii15HIP_vector_typeIjLj3EESA_: ; @_ZL13mul_mat_f_idsI7__half2Li64ELi4ELi3EEvPKT_PKfPKiS7_S7_Pfiiiiiiiiiiiiii15HIP_vector_typeIjLj3EESA_
; %bb.0:
	s_getpc_b64 s[2:3]
	s_sext_i32_i16 s3, s3
	s_add_co_u32 s2, s2, __FUNCTION__._ZL13mul_mat_f_idsIfLi32ELi4ELi1EEvPKT_PKfPKiS6_S6_Pfiiiiiiiiiiiiii15HIP_vector_typeIjLj3EES9_@rel32@lo+8
	s_add_co_ci_u32 s3, s3, __FUNCTION__._ZL13mul_mat_f_idsIfLi32ELi4ELi1EEvPKT_PKfPKiS6_S6_Pfiiiiiiiiiiiiii15HIP_vector_typeIjLj3EES9_@rel32@hi+16
	v_dual_mov_b32 v0, 0x136 :: v_dual_mov_b32 v1, s2
	v_mov_b32_e32 v2, s3
	s_add_nc_u64 s[8:9], s[0:1], 0x80
	s_getpc_b64 s[0:1]
	s_sext_i32_i16 s1, s1
	s_add_co_u32 s0, s0, _ZL14no_device_codePKciS0_iS0_@rel32@lo+8
	s_add_co_ci_u32 s1, s1, _ZL14no_device_codePKciS0_iS0_@rel32@hi+16
	s_mov_b32 s32, 0
	s_swappc_b64 s[30:31], s[0:1]
	.section	.rodata,"a",@progbits
	.p2align	6, 0x0
	.amdhsa_kernel _ZL13mul_mat_f_idsI7__half2Li64ELi4ELi3EEvPKT_PKfPKiS7_S7_Pfiiiiiiiiiiiiii15HIP_vector_typeIjLj3EESA_
		.amdhsa_group_segment_fixed_size 0
		.amdhsa_private_segment_fixed_size 16
		.amdhsa_kernarg_size 384
		.amdhsa_user_sgpr_count 2
		.amdhsa_user_sgpr_dispatch_ptr 0
		.amdhsa_user_sgpr_queue_ptr 0
		.amdhsa_user_sgpr_kernarg_segment_ptr 1
		.amdhsa_user_sgpr_dispatch_id 0
		.amdhsa_user_sgpr_private_segment_size 0
		.amdhsa_wavefront_size32 1
		.amdhsa_uses_dynamic_stack 0
		.amdhsa_enable_private_segment 1
		.amdhsa_system_sgpr_workgroup_id_x 1
		.amdhsa_system_sgpr_workgroup_id_y 0
		.amdhsa_system_sgpr_workgroup_id_z 0
		.amdhsa_system_sgpr_workgroup_info 0
		.amdhsa_system_vgpr_workitem_id 0
		.amdhsa_next_free_vgpr 38
		.amdhsa_next_free_sgpr 34
		.amdhsa_reserve_vcc 1
		.amdhsa_float_round_mode_32 0
		.amdhsa_float_round_mode_16_64 0
		.amdhsa_float_denorm_mode_32 3
		.amdhsa_float_denorm_mode_16_64 3
		.amdhsa_fp16_overflow 0
		.amdhsa_workgroup_processor_mode 1
		.amdhsa_memory_ordered 1
		.amdhsa_forward_progress 1
		.amdhsa_inst_pref_size 1
		.amdhsa_round_robin_scheduling 0
		.amdhsa_exception_fp_ieee_invalid_op 0
		.amdhsa_exception_fp_denorm_src 0
		.amdhsa_exception_fp_ieee_div_zero 0
		.amdhsa_exception_fp_ieee_overflow 0
		.amdhsa_exception_fp_ieee_underflow 0
		.amdhsa_exception_fp_ieee_inexact 0
		.amdhsa_exception_int_div_zero 0
	.end_amdhsa_kernel
	.section	.text._ZL13mul_mat_f_idsI7__half2Li64ELi4ELi3EEvPKT_PKfPKiS7_S7_Pfiiiiiiiiiiiiii15HIP_vector_typeIjLj3EESA_,"axG",@progbits,_ZL13mul_mat_f_idsI7__half2Li64ELi4ELi3EEvPKT_PKfPKiS7_S7_Pfiiiiiiiiiiiiii15HIP_vector_typeIjLj3EESA_,comdat
.Lfunc_end105:
	.size	_ZL13mul_mat_f_idsI7__half2Li64ELi4ELi3EEvPKT_PKfPKiS7_S7_Pfiiiiiiiiiiiiii15HIP_vector_typeIjLj3EESA_, .Lfunc_end105-_ZL13mul_mat_f_idsI7__half2Li64ELi4ELi3EEvPKT_PKfPKiS7_S7_Pfiiiiiiiiiiiiii15HIP_vector_typeIjLj3EESA_
                                        ; -- End function
	.set _ZL13mul_mat_f_idsI7__half2Li64ELi4ELi3EEvPKT_PKfPKiS7_S7_Pfiiiiiiiiiiiiii15HIP_vector_typeIjLj3EESA_.num_vgpr, max(3, .L_ZL14no_device_codePKciS0_iS0_.num_vgpr)
	.set _ZL13mul_mat_f_idsI7__half2Li64ELi4ELi3EEvPKT_PKfPKiS7_S7_Pfiiiiiiiiiiiiii15HIP_vector_typeIjLj3EESA_.num_agpr, max(0, .L_ZL14no_device_codePKciS0_iS0_.num_agpr)
	.set _ZL13mul_mat_f_idsI7__half2Li64ELi4ELi3EEvPKT_PKfPKiS7_S7_Pfiiiiiiiiiiiiii15HIP_vector_typeIjLj3EESA_.numbered_sgpr, max(33, .L_ZL14no_device_codePKciS0_iS0_.numbered_sgpr)
	.set _ZL13mul_mat_f_idsI7__half2Li64ELi4ELi3EEvPKT_PKfPKiS7_S7_Pfiiiiiiiiiiiiii15HIP_vector_typeIjLj3EESA_.num_named_barrier, max(0, .L_ZL14no_device_codePKciS0_iS0_.num_named_barrier)
	.set _ZL13mul_mat_f_idsI7__half2Li64ELi4ELi3EEvPKT_PKfPKiS7_S7_Pfiiiiiiiiiiiiii15HIP_vector_typeIjLj3EESA_.private_seg_size, 0+max(.L_ZL14no_device_codePKciS0_iS0_.private_seg_size)
	.set _ZL13mul_mat_f_idsI7__half2Li64ELi4ELi3EEvPKT_PKfPKiS7_S7_Pfiiiiiiiiiiiiii15HIP_vector_typeIjLj3EESA_.uses_vcc, or(1, .L_ZL14no_device_codePKciS0_iS0_.uses_vcc)
	.set _ZL13mul_mat_f_idsI7__half2Li64ELi4ELi3EEvPKT_PKfPKiS7_S7_Pfiiiiiiiiiiiiii15HIP_vector_typeIjLj3EESA_.uses_flat_scratch, or(0, .L_ZL14no_device_codePKciS0_iS0_.uses_flat_scratch)
	.set _ZL13mul_mat_f_idsI7__half2Li64ELi4ELi3EEvPKT_PKfPKiS7_S7_Pfiiiiiiiiiiiiii15HIP_vector_typeIjLj3EESA_.has_dyn_sized_stack, or(0, .L_ZL14no_device_codePKciS0_iS0_.has_dyn_sized_stack)
	.set _ZL13mul_mat_f_idsI7__half2Li64ELi4ELi3EEvPKT_PKfPKiS7_S7_Pfiiiiiiiiiiiiii15HIP_vector_typeIjLj3EESA_.has_recursion, or(0, .L_ZL14no_device_codePKciS0_iS0_.has_recursion)
	.set _ZL13mul_mat_f_idsI7__half2Li64ELi4ELi3EEvPKT_PKfPKiS7_S7_Pfiiiiiiiiiiiiii15HIP_vector_typeIjLj3EESA_.has_indirect_call, or(0, .L_ZL14no_device_codePKciS0_iS0_.has_indirect_call)
	.section	.AMDGPU.csdata,"",@progbits
; Kernel info:
; codeLenInByte = 80
; TotalNumSgprs: 36
; NumVgprs: 38
; ScratchSize: 16
; MemoryBound: 0
; FloatMode: 240
; IeeeMode: 1
; LDSByteSize: 0 bytes/workgroup (compile time only)
; SGPRBlocks: 0
; VGPRBlocks: 4
; NumSGPRsForWavesPerEU: 36
; NumVGPRsForWavesPerEU: 38
; Occupancy: 16
; WaveLimiterHint : 1
; COMPUTE_PGM_RSRC2:SCRATCH_EN: 1
; COMPUTE_PGM_RSRC2:USER_SGPR: 2
; COMPUTE_PGM_RSRC2:TRAP_HANDLER: 0
; COMPUTE_PGM_RSRC2:TGID_X_EN: 1
; COMPUTE_PGM_RSRC2:TGID_Y_EN: 0
; COMPUTE_PGM_RSRC2:TGID_Z_EN: 0
; COMPUTE_PGM_RSRC2:TIDIG_COMP_CNT: 0
	.section	.text._ZL9mul_mat_fI7__half2Li64ELi4ELi3ELb1EEvPKT_PKfPKiPfiiiiiiiiiiiiiiii,"axG",@progbits,_ZL9mul_mat_fI7__half2Li64ELi4ELi3ELb1EEvPKT_PKfPKiPfiiiiiiiiiiiiiiii,comdat
	.globl	_ZL9mul_mat_fI7__half2Li64ELi4ELi3ELb1EEvPKT_PKfPKiPfiiiiiiiiiiiiiiii ; -- Begin function _ZL9mul_mat_fI7__half2Li64ELi4ELi3ELb1EEvPKT_PKfPKiPfiiiiiiiiiiiiiiii
	.p2align	8
	.type	_ZL9mul_mat_fI7__half2Li64ELi4ELi3ELb1EEvPKT_PKfPKiPfiiiiiiiiiiiiiiii,@function
_ZL9mul_mat_fI7__half2Li64ELi4ELi3ELb1EEvPKT_PKfPKiPfiiiiiiiiiiiiiiii: ; @_ZL9mul_mat_fI7__half2Li64ELi4ELi3ELb1EEvPKT_PKfPKiPfiiiiiiiiiiiiiiii
; %bb.0:
	s_getpc_b64 s[2:3]
	s_sext_i32_i16 s3, s3
	s_add_co_u32 s2, s2, __FUNCTION__._ZL9mul_mat_fIfLi32ELi4ELi1ELb1EEvPKT_PKfPKiPfiiiiiiiiiiiiiiii@rel32@lo+8
	s_add_co_ci_u32 s3, s3, __FUNCTION__._ZL9mul_mat_fIfLi32ELi4ELi1ELb1EEvPKT_PKfPKiPfiiiiiiiiiiiiiiii@rel32@hi+16
	v_dual_mov_b32 v0, 59 :: v_dual_mov_b32 v1, s2
	v_mov_b32_e32 v2, s3
	s_add_nc_u64 s[8:9], s[0:1], 0x60
	s_getpc_b64 s[0:1]
	s_sext_i32_i16 s1, s1
	s_add_co_u32 s0, s0, _ZL14no_device_codePKciS0_iS0_@rel32@lo+8
	s_add_co_ci_u32 s1, s1, _ZL14no_device_codePKciS0_iS0_@rel32@hi+16
	s_mov_b32 s32, 0
	s_swappc_b64 s[30:31], s[0:1]
	.section	.rodata,"a",@progbits
	.p2align	6, 0x0
	.amdhsa_kernel _ZL9mul_mat_fI7__half2Li64ELi4ELi3ELb1EEvPKT_PKfPKiPfiiiiiiiiiiiiiiii
		.amdhsa_group_segment_fixed_size 0
		.amdhsa_private_segment_fixed_size 16
		.amdhsa_kernarg_size 352
		.amdhsa_user_sgpr_count 2
		.amdhsa_user_sgpr_dispatch_ptr 0
		.amdhsa_user_sgpr_queue_ptr 0
		.amdhsa_user_sgpr_kernarg_segment_ptr 1
		.amdhsa_user_sgpr_dispatch_id 0
		.amdhsa_user_sgpr_private_segment_size 0
		.amdhsa_wavefront_size32 1
		.amdhsa_uses_dynamic_stack 0
		.amdhsa_enable_private_segment 1
		.amdhsa_system_sgpr_workgroup_id_x 1
		.amdhsa_system_sgpr_workgroup_id_y 0
		.amdhsa_system_sgpr_workgroup_id_z 0
		.amdhsa_system_sgpr_workgroup_info 0
		.amdhsa_system_vgpr_workitem_id 0
		.amdhsa_next_free_vgpr 38
		.amdhsa_next_free_sgpr 34
		.amdhsa_reserve_vcc 1
		.amdhsa_float_round_mode_32 0
		.amdhsa_float_round_mode_16_64 0
		.amdhsa_float_denorm_mode_32 3
		.amdhsa_float_denorm_mode_16_64 3
		.amdhsa_fp16_overflow 0
		.amdhsa_workgroup_processor_mode 1
		.amdhsa_memory_ordered 1
		.amdhsa_forward_progress 1
		.amdhsa_inst_pref_size 1
		.amdhsa_round_robin_scheduling 0
		.amdhsa_exception_fp_ieee_invalid_op 0
		.amdhsa_exception_fp_denorm_src 0
		.amdhsa_exception_fp_ieee_div_zero 0
		.amdhsa_exception_fp_ieee_overflow 0
		.amdhsa_exception_fp_ieee_underflow 0
		.amdhsa_exception_fp_ieee_inexact 0
		.amdhsa_exception_int_div_zero 0
	.end_amdhsa_kernel
	.section	.text._ZL9mul_mat_fI7__half2Li64ELi4ELi3ELb1EEvPKT_PKfPKiPfiiiiiiiiiiiiiiii,"axG",@progbits,_ZL9mul_mat_fI7__half2Li64ELi4ELi3ELb1EEvPKT_PKfPKiPfiiiiiiiiiiiiiiii,comdat
.Lfunc_end106:
	.size	_ZL9mul_mat_fI7__half2Li64ELi4ELi3ELb1EEvPKT_PKfPKiPfiiiiiiiiiiiiiiii, .Lfunc_end106-_ZL9mul_mat_fI7__half2Li64ELi4ELi3ELb1EEvPKT_PKfPKiPfiiiiiiiiiiiiiiii
                                        ; -- End function
	.set _ZL9mul_mat_fI7__half2Li64ELi4ELi3ELb1EEvPKT_PKfPKiPfiiiiiiiiiiiiiiii.num_vgpr, max(3, .L_ZL14no_device_codePKciS0_iS0_.num_vgpr)
	.set _ZL9mul_mat_fI7__half2Li64ELi4ELi3ELb1EEvPKT_PKfPKiPfiiiiiiiiiiiiiiii.num_agpr, max(0, .L_ZL14no_device_codePKciS0_iS0_.num_agpr)
	.set _ZL9mul_mat_fI7__half2Li64ELi4ELi3ELb1EEvPKT_PKfPKiPfiiiiiiiiiiiiiiii.numbered_sgpr, max(33, .L_ZL14no_device_codePKciS0_iS0_.numbered_sgpr)
	.set _ZL9mul_mat_fI7__half2Li64ELi4ELi3ELb1EEvPKT_PKfPKiPfiiiiiiiiiiiiiiii.num_named_barrier, max(0, .L_ZL14no_device_codePKciS0_iS0_.num_named_barrier)
	.set _ZL9mul_mat_fI7__half2Li64ELi4ELi3ELb1EEvPKT_PKfPKiPfiiiiiiiiiiiiiiii.private_seg_size, 0+max(.L_ZL14no_device_codePKciS0_iS0_.private_seg_size)
	.set _ZL9mul_mat_fI7__half2Li64ELi4ELi3ELb1EEvPKT_PKfPKiPfiiiiiiiiiiiiiiii.uses_vcc, or(1, .L_ZL14no_device_codePKciS0_iS0_.uses_vcc)
	.set _ZL9mul_mat_fI7__half2Li64ELi4ELi3ELb1EEvPKT_PKfPKiPfiiiiiiiiiiiiiiii.uses_flat_scratch, or(0, .L_ZL14no_device_codePKciS0_iS0_.uses_flat_scratch)
	.set _ZL9mul_mat_fI7__half2Li64ELi4ELi3ELb1EEvPKT_PKfPKiPfiiiiiiiiiiiiiiii.has_dyn_sized_stack, or(0, .L_ZL14no_device_codePKciS0_iS0_.has_dyn_sized_stack)
	.set _ZL9mul_mat_fI7__half2Li64ELi4ELi3ELb1EEvPKT_PKfPKiPfiiiiiiiiiiiiiiii.has_recursion, or(0, .L_ZL14no_device_codePKciS0_iS0_.has_recursion)
	.set _ZL9mul_mat_fI7__half2Li64ELi4ELi3ELb1EEvPKT_PKfPKiPfiiiiiiiiiiiiiiii.has_indirect_call, or(0, .L_ZL14no_device_codePKciS0_iS0_.has_indirect_call)
	.section	.AMDGPU.csdata,"",@progbits
; Kernel info:
; codeLenInByte = 76
; TotalNumSgprs: 36
; NumVgprs: 38
; ScratchSize: 16
; MemoryBound: 0
; FloatMode: 240
; IeeeMode: 1
; LDSByteSize: 0 bytes/workgroup (compile time only)
; SGPRBlocks: 0
; VGPRBlocks: 4
; NumSGPRsForWavesPerEU: 36
; NumVGPRsForWavesPerEU: 38
; Occupancy: 16
; WaveLimiterHint : 1
; COMPUTE_PGM_RSRC2:SCRATCH_EN: 1
; COMPUTE_PGM_RSRC2:USER_SGPR: 2
; COMPUTE_PGM_RSRC2:TRAP_HANDLER: 0
; COMPUTE_PGM_RSRC2:TGID_X_EN: 1
; COMPUTE_PGM_RSRC2:TGID_Y_EN: 0
; COMPUTE_PGM_RSRC2:TGID_Z_EN: 0
; COMPUTE_PGM_RSRC2:TIDIG_COMP_CNT: 0
	.section	.text._ZL9mul_mat_fI7__half2Li64ELi4ELi3ELb0EEvPKT_PKfPKiPfiiiiiiiiiiiiiiii,"axG",@progbits,_ZL9mul_mat_fI7__half2Li64ELi4ELi3ELb0EEvPKT_PKfPKiPfiiiiiiiiiiiiiiii,comdat
	.globl	_ZL9mul_mat_fI7__half2Li64ELi4ELi3ELb0EEvPKT_PKfPKiPfiiiiiiiiiiiiiiii ; -- Begin function _ZL9mul_mat_fI7__half2Li64ELi4ELi3ELb0EEvPKT_PKfPKiPfiiiiiiiiiiiiiiii
	.p2align	8
	.type	_ZL9mul_mat_fI7__half2Li64ELi4ELi3ELb0EEvPKT_PKfPKiPfiiiiiiiiiiiiiiii,@function
_ZL9mul_mat_fI7__half2Li64ELi4ELi3ELb0EEvPKT_PKfPKiPfiiiiiiiiiiiiiiii: ; @_ZL9mul_mat_fI7__half2Li64ELi4ELi3ELb0EEvPKT_PKfPKiPfiiiiiiiiiiiiiiii
; %bb.0:
	s_getpc_b64 s[2:3]
	s_sext_i32_i16 s3, s3
	s_add_co_u32 s2, s2, __FUNCTION__._ZL9mul_mat_fIfLi32ELi4ELi1ELb1EEvPKT_PKfPKiPfiiiiiiiiiiiiiiii@rel32@lo+8
	s_add_co_ci_u32 s3, s3, __FUNCTION__._ZL9mul_mat_fIfLi32ELi4ELi1ELb1EEvPKT_PKfPKiPfiiiiiiiiiiiiiiii@rel32@hi+16
	v_dual_mov_b32 v0, 59 :: v_dual_mov_b32 v1, s2
	v_mov_b32_e32 v2, s3
	s_add_nc_u64 s[8:9], s[0:1], 0x60
	s_getpc_b64 s[0:1]
	s_sext_i32_i16 s1, s1
	s_add_co_u32 s0, s0, _ZL14no_device_codePKciS0_iS0_@rel32@lo+8
	s_add_co_ci_u32 s1, s1, _ZL14no_device_codePKciS0_iS0_@rel32@hi+16
	s_mov_b32 s32, 0
	s_swappc_b64 s[30:31], s[0:1]
	.section	.rodata,"a",@progbits
	.p2align	6, 0x0
	.amdhsa_kernel _ZL9mul_mat_fI7__half2Li64ELi4ELi3ELb0EEvPKT_PKfPKiPfiiiiiiiiiiiiiiii
		.amdhsa_group_segment_fixed_size 0
		.amdhsa_private_segment_fixed_size 16
		.amdhsa_kernarg_size 352
		.amdhsa_user_sgpr_count 2
		.amdhsa_user_sgpr_dispatch_ptr 0
		.amdhsa_user_sgpr_queue_ptr 0
		.amdhsa_user_sgpr_kernarg_segment_ptr 1
		.amdhsa_user_sgpr_dispatch_id 0
		.amdhsa_user_sgpr_private_segment_size 0
		.amdhsa_wavefront_size32 1
		.amdhsa_uses_dynamic_stack 0
		.amdhsa_enable_private_segment 1
		.amdhsa_system_sgpr_workgroup_id_x 1
		.amdhsa_system_sgpr_workgroup_id_y 0
		.amdhsa_system_sgpr_workgroup_id_z 0
		.amdhsa_system_sgpr_workgroup_info 0
		.amdhsa_system_vgpr_workitem_id 0
		.amdhsa_next_free_vgpr 38
		.amdhsa_next_free_sgpr 34
		.amdhsa_reserve_vcc 1
		.amdhsa_float_round_mode_32 0
		.amdhsa_float_round_mode_16_64 0
		.amdhsa_float_denorm_mode_32 3
		.amdhsa_float_denorm_mode_16_64 3
		.amdhsa_fp16_overflow 0
		.amdhsa_workgroup_processor_mode 1
		.amdhsa_memory_ordered 1
		.amdhsa_forward_progress 1
		.amdhsa_inst_pref_size 1
		.amdhsa_round_robin_scheduling 0
		.amdhsa_exception_fp_ieee_invalid_op 0
		.amdhsa_exception_fp_denorm_src 0
		.amdhsa_exception_fp_ieee_div_zero 0
		.amdhsa_exception_fp_ieee_overflow 0
		.amdhsa_exception_fp_ieee_underflow 0
		.amdhsa_exception_fp_ieee_inexact 0
		.amdhsa_exception_int_div_zero 0
	.end_amdhsa_kernel
	.section	.text._ZL9mul_mat_fI7__half2Li64ELi4ELi3ELb0EEvPKT_PKfPKiPfiiiiiiiiiiiiiiii,"axG",@progbits,_ZL9mul_mat_fI7__half2Li64ELi4ELi3ELb0EEvPKT_PKfPKiPfiiiiiiiiiiiiiiii,comdat
.Lfunc_end107:
	.size	_ZL9mul_mat_fI7__half2Li64ELi4ELi3ELb0EEvPKT_PKfPKiPfiiiiiiiiiiiiiiii, .Lfunc_end107-_ZL9mul_mat_fI7__half2Li64ELi4ELi3ELb0EEvPKT_PKfPKiPfiiiiiiiiiiiiiiii
                                        ; -- End function
	.set _ZL9mul_mat_fI7__half2Li64ELi4ELi3ELb0EEvPKT_PKfPKiPfiiiiiiiiiiiiiiii.num_vgpr, max(3, .L_ZL14no_device_codePKciS0_iS0_.num_vgpr)
	.set _ZL9mul_mat_fI7__half2Li64ELi4ELi3ELb0EEvPKT_PKfPKiPfiiiiiiiiiiiiiiii.num_agpr, max(0, .L_ZL14no_device_codePKciS0_iS0_.num_agpr)
	.set _ZL9mul_mat_fI7__half2Li64ELi4ELi3ELb0EEvPKT_PKfPKiPfiiiiiiiiiiiiiiii.numbered_sgpr, max(33, .L_ZL14no_device_codePKciS0_iS0_.numbered_sgpr)
	.set _ZL9mul_mat_fI7__half2Li64ELi4ELi3ELb0EEvPKT_PKfPKiPfiiiiiiiiiiiiiiii.num_named_barrier, max(0, .L_ZL14no_device_codePKciS0_iS0_.num_named_barrier)
	.set _ZL9mul_mat_fI7__half2Li64ELi4ELi3ELb0EEvPKT_PKfPKiPfiiiiiiiiiiiiiiii.private_seg_size, 0+max(.L_ZL14no_device_codePKciS0_iS0_.private_seg_size)
	.set _ZL9mul_mat_fI7__half2Li64ELi4ELi3ELb0EEvPKT_PKfPKiPfiiiiiiiiiiiiiiii.uses_vcc, or(1, .L_ZL14no_device_codePKciS0_iS0_.uses_vcc)
	.set _ZL9mul_mat_fI7__half2Li64ELi4ELi3ELb0EEvPKT_PKfPKiPfiiiiiiiiiiiiiiii.uses_flat_scratch, or(0, .L_ZL14no_device_codePKciS0_iS0_.uses_flat_scratch)
	.set _ZL9mul_mat_fI7__half2Li64ELi4ELi3ELb0EEvPKT_PKfPKiPfiiiiiiiiiiiiiiii.has_dyn_sized_stack, or(0, .L_ZL14no_device_codePKciS0_iS0_.has_dyn_sized_stack)
	.set _ZL9mul_mat_fI7__half2Li64ELi4ELi3ELb0EEvPKT_PKfPKiPfiiiiiiiiiiiiiiii.has_recursion, or(0, .L_ZL14no_device_codePKciS0_iS0_.has_recursion)
	.set _ZL9mul_mat_fI7__half2Li64ELi4ELi3ELb0EEvPKT_PKfPKiPfiiiiiiiiiiiiiiii.has_indirect_call, or(0, .L_ZL14no_device_codePKciS0_iS0_.has_indirect_call)
	.section	.AMDGPU.csdata,"",@progbits
; Kernel info:
; codeLenInByte = 76
; TotalNumSgprs: 36
; NumVgprs: 38
; ScratchSize: 16
; MemoryBound: 0
; FloatMode: 240
; IeeeMode: 1
; LDSByteSize: 0 bytes/workgroup (compile time only)
; SGPRBlocks: 0
; VGPRBlocks: 4
; NumSGPRsForWavesPerEU: 36
; NumVGPRsForWavesPerEU: 38
; Occupancy: 16
; WaveLimiterHint : 1
; COMPUTE_PGM_RSRC2:SCRATCH_EN: 1
; COMPUTE_PGM_RSRC2:USER_SGPR: 2
; COMPUTE_PGM_RSRC2:TRAP_HANDLER: 0
; COMPUTE_PGM_RSRC2:TGID_X_EN: 1
; COMPUTE_PGM_RSRC2:TGID_Y_EN: 0
; COMPUTE_PGM_RSRC2:TGID_Z_EN: 0
; COMPUTE_PGM_RSRC2:TIDIG_COMP_CNT: 0
	.section	.text._ZL13mul_mat_f_idsI7__half2Li64ELi4ELi4EEvPKT_PKfPKiS7_S7_Pfiiiiiiiiiiiiii15HIP_vector_typeIjLj3EESA_,"axG",@progbits,_ZL13mul_mat_f_idsI7__half2Li64ELi4ELi4EEvPKT_PKfPKiS7_S7_Pfiiiiiiiiiiiiii15HIP_vector_typeIjLj3EESA_,comdat
	.globl	_ZL13mul_mat_f_idsI7__half2Li64ELi4ELi4EEvPKT_PKfPKiS7_S7_Pfiiiiiiiiiiiiii15HIP_vector_typeIjLj3EESA_ ; -- Begin function _ZL13mul_mat_f_idsI7__half2Li64ELi4ELi4EEvPKT_PKfPKiS7_S7_Pfiiiiiiiiiiiiii15HIP_vector_typeIjLj3EESA_
	.p2align	8
	.type	_ZL13mul_mat_f_idsI7__half2Li64ELi4ELi4EEvPKT_PKfPKiS7_S7_Pfiiiiiiiiiiiiii15HIP_vector_typeIjLj3EESA_,@function
_ZL13mul_mat_f_idsI7__half2Li64ELi4ELi4EEvPKT_PKfPKiS7_S7_Pfiiiiiiiiiiiiii15HIP_vector_typeIjLj3EESA_: ; @_ZL13mul_mat_f_idsI7__half2Li64ELi4ELi4EEvPKT_PKfPKiS7_S7_Pfiiiiiiiiiiiiii15HIP_vector_typeIjLj3EESA_
; %bb.0:
	s_getpc_b64 s[2:3]
	s_sext_i32_i16 s3, s3
	s_add_co_u32 s2, s2, __FUNCTION__._ZL13mul_mat_f_idsIfLi32ELi4ELi1EEvPKT_PKfPKiS6_S6_Pfiiiiiiiiiiiiii15HIP_vector_typeIjLj3EES9_@rel32@lo+8
	s_add_co_ci_u32 s3, s3, __FUNCTION__._ZL13mul_mat_f_idsIfLi32ELi4ELi1EEvPKT_PKfPKiS6_S6_Pfiiiiiiiiiiiiii15HIP_vector_typeIjLj3EES9_@rel32@hi+16
	v_dual_mov_b32 v0, 0x136 :: v_dual_mov_b32 v1, s2
	v_mov_b32_e32 v2, s3
	s_add_nc_u64 s[8:9], s[0:1], 0x80
	s_getpc_b64 s[0:1]
	s_sext_i32_i16 s1, s1
	s_add_co_u32 s0, s0, _ZL14no_device_codePKciS0_iS0_@rel32@lo+8
	s_add_co_ci_u32 s1, s1, _ZL14no_device_codePKciS0_iS0_@rel32@hi+16
	s_mov_b32 s32, 0
	s_swappc_b64 s[30:31], s[0:1]
	.section	.rodata,"a",@progbits
	.p2align	6, 0x0
	.amdhsa_kernel _ZL13mul_mat_f_idsI7__half2Li64ELi4ELi4EEvPKT_PKfPKiS7_S7_Pfiiiiiiiiiiiiii15HIP_vector_typeIjLj3EESA_
		.amdhsa_group_segment_fixed_size 0
		.amdhsa_private_segment_fixed_size 16
		.amdhsa_kernarg_size 384
		.amdhsa_user_sgpr_count 2
		.amdhsa_user_sgpr_dispatch_ptr 0
		.amdhsa_user_sgpr_queue_ptr 0
		.amdhsa_user_sgpr_kernarg_segment_ptr 1
		.amdhsa_user_sgpr_dispatch_id 0
		.amdhsa_user_sgpr_private_segment_size 0
		.amdhsa_wavefront_size32 1
		.amdhsa_uses_dynamic_stack 0
		.amdhsa_enable_private_segment 1
		.amdhsa_system_sgpr_workgroup_id_x 1
		.amdhsa_system_sgpr_workgroup_id_y 0
		.amdhsa_system_sgpr_workgroup_id_z 0
		.amdhsa_system_sgpr_workgroup_info 0
		.amdhsa_system_vgpr_workitem_id 0
		.amdhsa_next_free_vgpr 38
		.amdhsa_next_free_sgpr 34
		.amdhsa_reserve_vcc 1
		.amdhsa_float_round_mode_32 0
		.amdhsa_float_round_mode_16_64 0
		.amdhsa_float_denorm_mode_32 3
		.amdhsa_float_denorm_mode_16_64 3
		.amdhsa_fp16_overflow 0
		.amdhsa_workgroup_processor_mode 1
		.amdhsa_memory_ordered 1
		.amdhsa_forward_progress 1
		.amdhsa_inst_pref_size 1
		.amdhsa_round_robin_scheduling 0
		.amdhsa_exception_fp_ieee_invalid_op 0
		.amdhsa_exception_fp_denorm_src 0
		.amdhsa_exception_fp_ieee_div_zero 0
		.amdhsa_exception_fp_ieee_overflow 0
		.amdhsa_exception_fp_ieee_underflow 0
		.amdhsa_exception_fp_ieee_inexact 0
		.amdhsa_exception_int_div_zero 0
	.end_amdhsa_kernel
	.section	.text._ZL13mul_mat_f_idsI7__half2Li64ELi4ELi4EEvPKT_PKfPKiS7_S7_Pfiiiiiiiiiiiiii15HIP_vector_typeIjLj3EESA_,"axG",@progbits,_ZL13mul_mat_f_idsI7__half2Li64ELi4ELi4EEvPKT_PKfPKiS7_S7_Pfiiiiiiiiiiiiii15HIP_vector_typeIjLj3EESA_,comdat
.Lfunc_end108:
	.size	_ZL13mul_mat_f_idsI7__half2Li64ELi4ELi4EEvPKT_PKfPKiS7_S7_Pfiiiiiiiiiiiiii15HIP_vector_typeIjLj3EESA_, .Lfunc_end108-_ZL13mul_mat_f_idsI7__half2Li64ELi4ELi4EEvPKT_PKfPKiS7_S7_Pfiiiiiiiiiiiiii15HIP_vector_typeIjLj3EESA_
                                        ; -- End function
	.set _ZL13mul_mat_f_idsI7__half2Li64ELi4ELi4EEvPKT_PKfPKiS7_S7_Pfiiiiiiiiiiiiii15HIP_vector_typeIjLj3EESA_.num_vgpr, max(3, .L_ZL14no_device_codePKciS0_iS0_.num_vgpr)
	.set _ZL13mul_mat_f_idsI7__half2Li64ELi4ELi4EEvPKT_PKfPKiS7_S7_Pfiiiiiiiiiiiiii15HIP_vector_typeIjLj3EESA_.num_agpr, max(0, .L_ZL14no_device_codePKciS0_iS0_.num_agpr)
	.set _ZL13mul_mat_f_idsI7__half2Li64ELi4ELi4EEvPKT_PKfPKiS7_S7_Pfiiiiiiiiiiiiii15HIP_vector_typeIjLj3EESA_.numbered_sgpr, max(33, .L_ZL14no_device_codePKciS0_iS0_.numbered_sgpr)
	.set _ZL13mul_mat_f_idsI7__half2Li64ELi4ELi4EEvPKT_PKfPKiS7_S7_Pfiiiiiiiiiiiiii15HIP_vector_typeIjLj3EESA_.num_named_barrier, max(0, .L_ZL14no_device_codePKciS0_iS0_.num_named_barrier)
	.set _ZL13mul_mat_f_idsI7__half2Li64ELi4ELi4EEvPKT_PKfPKiS7_S7_Pfiiiiiiiiiiiiii15HIP_vector_typeIjLj3EESA_.private_seg_size, 0+max(.L_ZL14no_device_codePKciS0_iS0_.private_seg_size)
	.set _ZL13mul_mat_f_idsI7__half2Li64ELi4ELi4EEvPKT_PKfPKiS7_S7_Pfiiiiiiiiiiiiii15HIP_vector_typeIjLj3EESA_.uses_vcc, or(1, .L_ZL14no_device_codePKciS0_iS0_.uses_vcc)
	.set _ZL13mul_mat_f_idsI7__half2Li64ELi4ELi4EEvPKT_PKfPKiS7_S7_Pfiiiiiiiiiiiiii15HIP_vector_typeIjLj3EESA_.uses_flat_scratch, or(0, .L_ZL14no_device_codePKciS0_iS0_.uses_flat_scratch)
	.set _ZL13mul_mat_f_idsI7__half2Li64ELi4ELi4EEvPKT_PKfPKiS7_S7_Pfiiiiiiiiiiiiii15HIP_vector_typeIjLj3EESA_.has_dyn_sized_stack, or(0, .L_ZL14no_device_codePKciS0_iS0_.has_dyn_sized_stack)
	.set _ZL13mul_mat_f_idsI7__half2Li64ELi4ELi4EEvPKT_PKfPKiS7_S7_Pfiiiiiiiiiiiiii15HIP_vector_typeIjLj3EESA_.has_recursion, or(0, .L_ZL14no_device_codePKciS0_iS0_.has_recursion)
	.set _ZL13mul_mat_f_idsI7__half2Li64ELi4ELi4EEvPKT_PKfPKiS7_S7_Pfiiiiiiiiiiiiii15HIP_vector_typeIjLj3EESA_.has_indirect_call, or(0, .L_ZL14no_device_codePKciS0_iS0_.has_indirect_call)
	.section	.AMDGPU.csdata,"",@progbits
; Kernel info:
; codeLenInByte = 80
; TotalNumSgprs: 36
; NumVgprs: 38
; ScratchSize: 16
; MemoryBound: 0
; FloatMode: 240
; IeeeMode: 1
; LDSByteSize: 0 bytes/workgroup (compile time only)
; SGPRBlocks: 0
; VGPRBlocks: 4
; NumSGPRsForWavesPerEU: 36
; NumVGPRsForWavesPerEU: 38
; Occupancy: 16
; WaveLimiterHint : 1
; COMPUTE_PGM_RSRC2:SCRATCH_EN: 1
; COMPUTE_PGM_RSRC2:USER_SGPR: 2
; COMPUTE_PGM_RSRC2:TRAP_HANDLER: 0
; COMPUTE_PGM_RSRC2:TGID_X_EN: 1
; COMPUTE_PGM_RSRC2:TGID_Y_EN: 0
; COMPUTE_PGM_RSRC2:TGID_Z_EN: 0
; COMPUTE_PGM_RSRC2:TIDIG_COMP_CNT: 0
	.section	.text._ZL9mul_mat_fI7__half2Li64ELi4ELi4ELb1EEvPKT_PKfPKiPfiiiiiiiiiiiiiiii,"axG",@progbits,_ZL9mul_mat_fI7__half2Li64ELi4ELi4ELb1EEvPKT_PKfPKiPfiiiiiiiiiiiiiiii,comdat
	.globl	_ZL9mul_mat_fI7__half2Li64ELi4ELi4ELb1EEvPKT_PKfPKiPfiiiiiiiiiiiiiiii ; -- Begin function _ZL9mul_mat_fI7__half2Li64ELi4ELi4ELb1EEvPKT_PKfPKiPfiiiiiiiiiiiiiiii
	.p2align	8
	.type	_ZL9mul_mat_fI7__half2Li64ELi4ELi4ELb1EEvPKT_PKfPKiPfiiiiiiiiiiiiiiii,@function
_ZL9mul_mat_fI7__half2Li64ELi4ELi4ELb1EEvPKT_PKfPKiPfiiiiiiiiiiiiiiii: ; @_ZL9mul_mat_fI7__half2Li64ELi4ELi4ELb1EEvPKT_PKfPKiPfiiiiiiiiiiiiiiii
; %bb.0:
	s_getpc_b64 s[2:3]
	s_sext_i32_i16 s3, s3
	s_add_co_u32 s2, s2, __FUNCTION__._ZL9mul_mat_fIfLi32ELi4ELi1ELb1EEvPKT_PKfPKiPfiiiiiiiiiiiiiiii@rel32@lo+8
	s_add_co_ci_u32 s3, s3, __FUNCTION__._ZL9mul_mat_fIfLi32ELi4ELi1ELb1EEvPKT_PKfPKiPfiiiiiiiiiiiiiiii@rel32@hi+16
	v_dual_mov_b32 v0, 59 :: v_dual_mov_b32 v1, s2
	v_mov_b32_e32 v2, s3
	s_add_nc_u64 s[8:9], s[0:1], 0x60
	s_getpc_b64 s[0:1]
	s_sext_i32_i16 s1, s1
	s_add_co_u32 s0, s0, _ZL14no_device_codePKciS0_iS0_@rel32@lo+8
	s_add_co_ci_u32 s1, s1, _ZL14no_device_codePKciS0_iS0_@rel32@hi+16
	s_mov_b32 s32, 0
	s_swappc_b64 s[30:31], s[0:1]
	.section	.rodata,"a",@progbits
	.p2align	6, 0x0
	.amdhsa_kernel _ZL9mul_mat_fI7__half2Li64ELi4ELi4ELb1EEvPKT_PKfPKiPfiiiiiiiiiiiiiiii
		.amdhsa_group_segment_fixed_size 0
		.amdhsa_private_segment_fixed_size 16
		.amdhsa_kernarg_size 352
		.amdhsa_user_sgpr_count 2
		.amdhsa_user_sgpr_dispatch_ptr 0
		.amdhsa_user_sgpr_queue_ptr 0
		.amdhsa_user_sgpr_kernarg_segment_ptr 1
		.amdhsa_user_sgpr_dispatch_id 0
		.amdhsa_user_sgpr_private_segment_size 0
		.amdhsa_wavefront_size32 1
		.amdhsa_uses_dynamic_stack 0
		.amdhsa_enable_private_segment 1
		.amdhsa_system_sgpr_workgroup_id_x 1
		.amdhsa_system_sgpr_workgroup_id_y 0
		.amdhsa_system_sgpr_workgroup_id_z 0
		.amdhsa_system_sgpr_workgroup_info 0
		.amdhsa_system_vgpr_workitem_id 0
		.amdhsa_next_free_vgpr 38
		.amdhsa_next_free_sgpr 34
		.amdhsa_reserve_vcc 1
		.amdhsa_float_round_mode_32 0
		.amdhsa_float_round_mode_16_64 0
		.amdhsa_float_denorm_mode_32 3
		.amdhsa_float_denorm_mode_16_64 3
		.amdhsa_fp16_overflow 0
		.amdhsa_workgroup_processor_mode 1
		.amdhsa_memory_ordered 1
		.amdhsa_forward_progress 1
		.amdhsa_inst_pref_size 1
		.amdhsa_round_robin_scheduling 0
		.amdhsa_exception_fp_ieee_invalid_op 0
		.amdhsa_exception_fp_denorm_src 0
		.amdhsa_exception_fp_ieee_div_zero 0
		.amdhsa_exception_fp_ieee_overflow 0
		.amdhsa_exception_fp_ieee_underflow 0
		.amdhsa_exception_fp_ieee_inexact 0
		.amdhsa_exception_int_div_zero 0
	.end_amdhsa_kernel
	.section	.text._ZL9mul_mat_fI7__half2Li64ELi4ELi4ELb1EEvPKT_PKfPKiPfiiiiiiiiiiiiiiii,"axG",@progbits,_ZL9mul_mat_fI7__half2Li64ELi4ELi4ELb1EEvPKT_PKfPKiPfiiiiiiiiiiiiiiii,comdat
.Lfunc_end109:
	.size	_ZL9mul_mat_fI7__half2Li64ELi4ELi4ELb1EEvPKT_PKfPKiPfiiiiiiiiiiiiiiii, .Lfunc_end109-_ZL9mul_mat_fI7__half2Li64ELi4ELi4ELb1EEvPKT_PKfPKiPfiiiiiiiiiiiiiiii
                                        ; -- End function
	.set _ZL9mul_mat_fI7__half2Li64ELi4ELi4ELb1EEvPKT_PKfPKiPfiiiiiiiiiiiiiiii.num_vgpr, max(3, .L_ZL14no_device_codePKciS0_iS0_.num_vgpr)
	.set _ZL9mul_mat_fI7__half2Li64ELi4ELi4ELb1EEvPKT_PKfPKiPfiiiiiiiiiiiiiiii.num_agpr, max(0, .L_ZL14no_device_codePKciS0_iS0_.num_agpr)
	.set _ZL9mul_mat_fI7__half2Li64ELi4ELi4ELb1EEvPKT_PKfPKiPfiiiiiiiiiiiiiiii.numbered_sgpr, max(33, .L_ZL14no_device_codePKciS0_iS0_.numbered_sgpr)
	.set _ZL9mul_mat_fI7__half2Li64ELi4ELi4ELb1EEvPKT_PKfPKiPfiiiiiiiiiiiiiiii.num_named_barrier, max(0, .L_ZL14no_device_codePKciS0_iS0_.num_named_barrier)
	.set _ZL9mul_mat_fI7__half2Li64ELi4ELi4ELb1EEvPKT_PKfPKiPfiiiiiiiiiiiiiiii.private_seg_size, 0+max(.L_ZL14no_device_codePKciS0_iS0_.private_seg_size)
	.set _ZL9mul_mat_fI7__half2Li64ELi4ELi4ELb1EEvPKT_PKfPKiPfiiiiiiiiiiiiiiii.uses_vcc, or(1, .L_ZL14no_device_codePKciS0_iS0_.uses_vcc)
	.set _ZL9mul_mat_fI7__half2Li64ELi4ELi4ELb1EEvPKT_PKfPKiPfiiiiiiiiiiiiiiii.uses_flat_scratch, or(0, .L_ZL14no_device_codePKciS0_iS0_.uses_flat_scratch)
	.set _ZL9mul_mat_fI7__half2Li64ELi4ELi4ELb1EEvPKT_PKfPKiPfiiiiiiiiiiiiiiii.has_dyn_sized_stack, or(0, .L_ZL14no_device_codePKciS0_iS0_.has_dyn_sized_stack)
	.set _ZL9mul_mat_fI7__half2Li64ELi4ELi4ELb1EEvPKT_PKfPKiPfiiiiiiiiiiiiiiii.has_recursion, or(0, .L_ZL14no_device_codePKciS0_iS0_.has_recursion)
	.set _ZL9mul_mat_fI7__half2Li64ELi4ELi4ELb1EEvPKT_PKfPKiPfiiiiiiiiiiiiiiii.has_indirect_call, or(0, .L_ZL14no_device_codePKciS0_iS0_.has_indirect_call)
	.section	.AMDGPU.csdata,"",@progbits
; Kernel info:
; codeLenInByte = 76
; TotalNumSgprs: 36
; NumVgprs: 38
; ScratchSize: 16
; MemoryBound: 0
; FloatMode: 240
; IeeeMode: 1
; LDSByteSize: 0 bytes/workgroup (compile time only)
; SGPRBlocks: 0
; VGPRBlocks: 4
; NumSGPRsForWavesPerEU: 36
; NumVGPRsForWavesPerEU: 38
; Occupancy: 16
; WaveLimiterHint : 1
; COMPUTE_PGM_RSRC2:SCRATCH_EN: 1
; COMPUTE_PGM_RSRC2:USER_SGPR: 2
; COMPUTE_PGM_RSRC2:TRAP_HANDLER: 0
; COMPUTE_PGM_RSRC2:TGID_X_EN: 1
; COMPUTE_PGM_RSRC2:TGID_Y_EN: 0
; COMPUTE_PGM_RSRC2:TGID_Z_EN: 0
; COMPUTE_PGM_RSRC2:TIDIG_COMP_CNT: 0
	.section	.text._ZL9mul_mat_fI7__half2Li64ELi4ELi4ELb0EEvPKT_PKfPKiPfiiiiiiiiiiiiiiii,"axG",@progbits,_ZL9mul_mat_fI7__half2Li64ELi4ELi4ELb0EEvPKT_PKfPKiPfiiiiiiiiiiiiiiii,comdat
	.globl	_ZL9mul_mat_fI7__half2Li64ELi4ELi4ELb0EEvPKT_PKfPKiPfiiiiiiiiiiiiiiii ; -- Begin function _ZL9mul_mat_fI7__half2Li64ELi4ELi4ELb0EEvPKT_PKfPKiPfiiiiiiiiiiiiiiii
	.p2align	8
	.type	_ZL9mul_mat_fI7__half2Li64ELi4ELi4ELb0EEvPKT_PKfPKiPfiiiiiiiiiiiiiiii,@function
_ZL9mul_mat_fI7__half2Li64ELi4ELi4ELb0EEvPKT_PKfPKiPfiiiiiiiiiiiiiiii: ; @_ZL9mul_mat_fI7__half2Li64ELi4ELi4ELb0EEvPKT_PKfPKiPfiiiiiiiiiiiiiiii
; %bb.0:
	s_getpc_b64 s[2:3]
	s_sext_i32_i16 s3, s3
	s_add_co_u32 s2, s2, __FUNCTION__._ZL9mul_mat_fIfLi32ELi4ELi1ELb1EEvPKT_PKfPKiPfiiiiiiiiiiiiiiii@rel32@lo+8
	s_add_co_ci_u32 s3, s3, __FUNCTION__._ZL9mul_mat_fIfLi32ELi4ELi1ELb1EEvPKT_PKfPKiPfiiiiiiiiiiiiiiii@rel32@hi+16
	v_dual_mov_b32 v0, 59 :: v_dual_mov_b32 v1, s2
	v_mov_b32_e32 v2, s3
	s_add_nc_u64 s[8:9], s[0:1], 0x60
	s_getpc_b64 s[0:1]
	s_sext_i32_i16 s1, s1
	s_add_co_u32 s0, s0, _ZL14no_device_codePKciS0_iS0_@rel32@lo+8
	s_add_co_ci_u32 s1, s1, _ZL14no_device_codePKciS0_iS0_@rel32@hi+16
	s_mov_b32 s32, 0
	s_swappc_b64 s[30:31], s[0:1]
	.section	.rodata,"a",@progbits
	.p2align	6, 0x0
	.amdhsa_kernel _ZL9mul_mat_fI7__half2Li64ELi4ELi4ELb0EEvPKT_PKfPKiPfiiiiiiiiiiiiiiii
		.amdhsa_group_segment_fixed_size 0
		.amdhsa_private_segment_fixed_size 16
		.amdhsa_kernarg_size 352
		.amdhsa_user_sgpr_count 2
		.amdhsa_user_sgpr_dispatch_ptr 0
		.amdhsa_user_sgpr_queue_ptr 0
		.amdhsa_user_sgpr_kernarg_segment_ptr 1
		.amdhsa_user_sgpr_dispatch_id 0
		.amdhsa_user_sgpr_private_segment_size 0
		.amdhsa_wavefront_size32 1
		.amdhsa_uses_dynamic_stack 0
		.amdhsa_enable_private_segment 1
		.amdhsa_system_sgpr_workgroup_id_x 1
		.amdhsa_system_sgpr_workgroup_id_y 0
		.amdhsa_system_sgpr_workgroup_id_z 0
		.amdhsa_system_sgpr_workgroup_info 0
		.amdhsa_system_vgpr_workitem_id 0
		.amdhsa_next_free_vgpr 38
		.amdhsa_next_free_sgpr 34
		.amdhsa_reserve_vcc 1
		.amdhsa_float_round_mode_32 0
		.amdhsa_float_round_mode_16_64 0
		.amdhsa_float_denorm_mode_32 3
		.amdhsa_float_denorm_mode_16_64 3
		.amdhsa_fp16_overflow 0
		.amdhsa_workgroup_processor_mode 1
		.amdhsa_memory_ordered 1
		.amdhsa_forward_progress 1
		.amdhsa_inst_pref_size 1
		.amdhsa_round_robin_scheduling 0
		.amdhsa_exception_fp_ieee_invalid_op 0
		.amdhsa_exception_fp_denorm_src 0
		.amdhsa_exception_fp_ieee_div_zero 0
		.amdhsa_exception_fp_ieee_overflow 0
		.amdhsa_exception_fp_ieee_underflow 0
		.amdhsa_exception_fp_ieee_inexact 0
		.amdhsa_exception_int_div_zero 0
	.end_amdhsa_kernel
	.section	.text._ZL9mul_mat_fI7__half2Li64ELi4ELi4ELb0EEvPKT_PKfPKiPfiiiiiiiiiiiiiiii,"axG",@progbits,_ZL9mul_mat_fI7__half2Li64ELi4ELi4ELb0EEvPKT_PKfPKiPfiiiiiiiiiiiiiiii,comdat
.Lfunc_end110:
	.size	_ZL9mul_mat_fI7__half2Li64ELi4ELi4ELb0EEvPKT_PKfPKiPfiiiiiiiiiiiiiiii, .Lfunc_end110-_ZL9mul_mat_fI7__half2Li64ELi4ELi4ELb0EEvPKT_PKfPKiPfiiiiiiiiiiiiiiii
                                        ; -- End function
	.set _ZL9mul_mat_fI7__half2Li64ELi4ELi4ELb0EEvPKT_PKfPKiPfiiiiiiiiiiiiiiii.num_vgpr, max(3, .L_ZL14no_device_codePKciS0_iS0_.num_vgpr)
	.set _ZL9mul_mat_fI7__half2Li64ELi4ELi4ELb0EEvPKT_PKfPKiPfiiiiiiiiiiiiiiii.num_agpr, max(0, .L_ZL14no_device_codePKciS0_iS0_.num_agpr)
	.set _ZL9mul_mat_fI7__half2Li64ELi4ELi4ELb0EEvPKT_PKfPKiPfiiiiiiiiiiiiiiii.numbered_sgpr, max(33, .L_ZL14no_device_codePKciS0_iS0_.numbered_sgpr)
	.set _ZL9mul_mat_fI7__half2Li64ELi4ELi4ELb0EEvPKT_PKfPKiPfiiiiiiiiiiiiiiii.num_named_barrier, max(0, .L_ZL14no_device_codePKciS0_iS0_.num_named_barrier)
	.set _ZL9mul_mat_fI7__half2Li64ELi4ELi4ELb0EEvPKT_PKfPKiPfiiiiiiiiiiiiiiii.private_seg_size, 0+max(.L_ZL14no_device_codePKciS0_iS0_.private_seg_size)
	.set _ZL9mul_mat_fI7__half2Li64ELi4ELi4ELb0EEvPKT_PKfPKiPfiiiiiiiiiiiiiiii.uses_vcc, or(1, .L_ZL14no_device_codePKciS0_iS0_.uses_vcc)
	.set _ZL9mul_mat_fI7__half2Li64ELi4ELi4ELb0EEvPKT_PKfPKiPfiiiiiiiiiiiiiiii.uses_flat_scratch, or(0, .L_ZL14no_device_codePKciS0_iS0_.uses_flat_scratch)
	.set _ZL9mul_mat_fI7__half2Li64ELi4ELi4ELb0EEvPKT_PKfPKiPfiiiiiiiiiiiiiiii.has_dyn_sized_stack, or(0, .L_ZL14no_device_codePKciS0_iS0_.has_dyn_sized_stack)
	.set _ZL9mul_mat_fI7__half2Li64ELi4ELi4ELb0EEvPKT_PKfPKiPfiiiiiiiiiiiiiiii.has_recursion, or(0, .L_ZL14no_device_codePKciS0_iS0_.has_recursion)
	.set _ZL9mul_mat_fI7__half2Li64ELi4ELi4ELb0EEvPKT_PKfPKiPfiiiiiiiiiiiiiiii.has_indirect_call, or(0, .L_ZL14no_device_codePKciS0_iS0_.has_indirect_call)
	.section	.AMDGPU.csdata,"",@progbits
; Kernel info:
; codeLenInByte = 76
; TotalNumSgprs: 36
; NumVgprs: 38
; ScratchSize: 16
; MemoryBound: 0
; FloatMode: 240
; IeeeMode: 1
; LDSByteSize: 0 bytes/workgroup (compile time only)
; SGPRBlocks: 0
; VGPRBlocks: 4
; NumSGPRsForWavesPerEU: 36
; NumVGPRsForWavesPerEU: 38
; Occupancy: 16
; WaveLimiterHint : 1
; COMPUTE_PGM_RSRC2:SCRATCH_EN: 1
; COMPUTE_PGM_RSRC2:USER_SGPR: 2
; COMPUTE_PGM_RSRC2:TRAP_HANDLER: 0
; COMPUTE_PGM_RSRC2:TGID_X_EN: 1
; COMPUTE_PGM_RSRC2:TGID_Y_EN: 0
; COMPUTE_PGM_RSRC2:TGID_Z_EN: 0
; COMPUTE_PGM_RSRC2:TIDIG_COMP_CNT: 0
	.section	.text._ZL13mul_mat_f_idsI7__half2Li64ELi4ELi5EEvPKT_PKfPKiS7_S7_Pfiiiiiiiiiiiiii15HIP_vector_typeIjLj3EESA_,"axG",@progbits,_ZL13mul_mat_f_idsI7__half2Li64ELi4ELi5EEvPKT_PKfPKiS7_S7_Pfiiiiiiiiiiiiii15HIP_vector_typeIjLj3EESA_,comdat
	.globl	_ZL13mul_mat_f_idsI7__half2Li64ELi4ELi5EEvPKT_PKfPKiS7_S7_Pfiiiiiiiiiiiiii15HIP_vector_typeIjLj3EESA_ ; -- Begin function _ZL13mul_mat_f_idsI7__half2Li64ELi4ELi5EEvPKT_PKfPKiS7_S7_Pfiiiiiiiiiiiiii15HIP_vector_typeIjLj3EESA_
	.p2align	8
	.type	_ZL13mul_mat_f_idsI7__half2Li64ELi4ELi5EEvPKT_PKfPKiS7_S7_Pfiiiiiiiiiiiiii15HIP_vector_typeIjLj3EESA_,@function
_ZL13mul_mat_f_idsI7__half2Li64ELi4ELi5EEvPKT_PKfPKiS7_S7_Pfiiiiiiiiiiiiii15HIP_vector_typeIjLj3EESA_: ; @_ZL13mul_mat_f_idsI7__half2Li64ELi4ELi5EEvPKT_PKfPKiS7_S7_Pfiiiiiiiiiiiiii15HIP_vector_typeIjLj3EESA_
; %bb.0:
	s_getpc_b64 s[2:3]
	s_sext_i32_i16 s3, s3
	s_add_co_u32 s2, s2, __FUNCTION__._ZL13mul_mat_f_idsIfLi32ELi4ELi1EEvPKT_PKfPKiS6_S6_Pfiiiiiiiiiiiiii15HIP_vector_typeIjLj3EES9_@rel32@lo+8
	s_add_co_ci_u32 s3, s3, __FUNCTION__._ZL13mul_mat_f_idsIfLi32ELi4ELi1EEvPKT_PKfPKiS6_S6_Pfiiiiiiiiiiiiii15HIP_vector_typeIjLj3EES9_@rel32@hi+16
	v_dual_mov_b32 v0, 0x136 :: v_dual_mov_b32 v1, s2
	v_mov_b32_e32 v2, s3
	s_add_nc_u64 s[8:9], s[0:1], 0x80
	s_getpc_b64 s[0:1]
	s_sext_i32_i16 s1, s1
	s_add_co_u32 s0, s0, _ZL14no_device_codePKciS0_iS0_@rel32@lo+8
	s_add_co_ci_u32 s1, s1, _ZL14no_device_codePKciS0_iS0_@rel32@hi+16
	s_mov_b32 s32, 0
	s_swappc_b64 s[30:31], s[0:1]
	.section	.rodata,"a",@progbits
	.p2align	6, 0x0
	.amdhsa_kernel _ZL13mul_mat_f_idsI7__half2Li64ELi4ELi5EEvPKT_PKfPKiS7_S7_Pfiiiiiiiiiiiiii15HIP_vector_typeIjLj3EESA_
		.amdhsa_group_segment_fixed_size 0
		.amdhsa_private_segment_fixed_size 16
		.amdhsa_kernarg_size 384
		.amdhsa_user_sgpr_count 2
		.amdhsa_user_sgpr_dispatch_ptr 0
		.amdhsa_user_sgpr_queue_ptr 0
		.amdhsa_user_sgpr_kernarg_segment_ptr 1
		.amdhsa_user_sgpr_dispatch_id 0
		.amdhsa_user_sgpr_private_segment_size 0
		.amdhsa_wavefront_size32 1
		.amdhsa_uses_dynamic_stack 0
		.amdhsa_enable_private_segment 1
		.amdhsa_system_sgpr_workgroup_id_x 1
		.amdhsa_system_sgpr_workgroup_id_y 0
		.amdhsa_system_sgpr_workgroup_id_z 0
		.amdhsa_system_sgpr_workgroup_info 0
		.amdhsa_system_vgpr_workitem_id 0
		.amdhsa_next_free_vgpr 38
		.amdhsa_next_free_sgpr 34
		.amdhsa_reserve_vcc 1
		.amdhsa_float_round_mode_32 0
		.amdhsa_float_round_mode_16_64 0
		.amdhsa_float_denorm_mode_32 3
		.amdhsa_float_denorm_mode_16_64 3
		.amdhsa_fp16_overflow 0
		.amdhsa_workgroup_processor_mode 1
		.amdhsa_memory_ordered 1
		.amdhsa_forward_progress 1
		.amdhsa_inst_pref_size 1
		.amdhsa_round_robin_scheduling 0
		.amdhsa_exception_fp_ieee_invalid_op 0
		.amdhsa_exception_fp_denorm_src 0
		.amdhsa_exception_fp_ieee_div_zero 0
		.amdhsa_exception_fp_ieee_overflow 0
		.amdhsa_exception_fp_ieee_underflow 0
		.amdhsa_exception_fp_ieee_inexact 0
		.amdhsa_exception_int_div_zero 0
	.end_amdhsa_kernel
	.section	.text._ZL13mul_mat_f_idsI7__half2Li64ELi4ELi5EEvPKT_PKfPKiS7_S7_Pfiiiiiiiiiiiiii15HIP_vector_typeIjLj3EESA_,"axG",@progbits,_ZL13mul_mat_f_idsI7__half2Li64ELi4ELi5EEvPKT_PKfPKiS7_S7_Pfiiiiiiiiiiiiii15HIP_vector_typeIjLj3EESA_,comdat
.Lfunc_end111:
	.size	_ZL13mul_mat_f_idsI7__half2Li64ELi4ELi5EEvPKT_PKfPKiS7_S7_Pfiiiiiiiiiiiiii15HIP_vector_typeIjLj3EESA_, .Lfunc_end111-_ZL13mul_mat_f_idsI7__half2Li64ELi4ELi5EEvPKT_PKfPKiS7_S7_Pfiiiiiiiiiiiiii15HIP_vector_typeIjLj3EESA_
                                        ; -- End function
	.set _ZL13mul_mat_f_idsI7__half2Li64ELi4ELi5EEvPKT_PKfPKiS7_S7_Pfiiiiiiiiiiiiii15HIP_vector_typeIjLj3EESA_.num_vgpr, max(3, .L_ZL14no_device_codePKciS0_iS0_.num_vgpr)
	.set _ZL13mul_mat_f_idsI7__half2Li64ELi4ELi5EEvPKT_PKfPKiS7_S7_Pfiiiiiiiiiiiiii15HIP_vector_typeIjLj3EESA_.num_agpr, max(0, .L_ZL14no_device_codePKciS0_iS0_.num_agpr)
	.set _ZL13mul_mat_f_idsI7__half2Li64ELi4ELi5EEvPKT_PKfPKiS7_S7_Pfiiiiiiiiiiiiii15HIP_vector_typeIjLj3EESA_.numbered_sgpr, max(33, .L_ZL14no_device_codePKciS0_iS0_.numbered_sgpr)
	.set _ZL13mul_mat_f_idsI7__half2Li64ELi4ELi5EEvPKT_PKfPKiS7_S7_Pfiiiiiiiiiiiiii15HIP_vector_typeIjLj3EESA_.num_named_barrier, max(0, .L_ZL14no_device_codePKciS0_iS0_.num_named_barrier)
	.set _ZL13mul_mat_f_idsI7__half2Li64ELi4ELi5EEvPKT_PKfPKiS7_S7_Pfiiiiiiiiiiiiii15HIP_vector_typeIjLj3EESA_.private_seg_size, 0+max(.L_ZL14no_device_codePKciS0_iS0_.private_seg_size)
	.set _ZL13mul_mat_f_idsI7__half2Li64ELi4ELi5EEvPKT_PKfPKiS7_S7_Pfiiiiiiiiiiiiii15HIP_vector_typeIjLj3EESA_.uses_vcc, or(1, .L_ZL14no_device_codePKciS0_iS0_.uses_vcc)
	.set _ZL13mul_mat_f_idsI7__half2Li64ELi4ELi5EEvPKT_PKfPKiS7_S7_Pfiiiiiiiiiiiiii15HIP_vector_typeIjLj3EESA_.uses_flat_scratch, or(0, .L_ZL14no_device_codePKciS0_iS0_.uses_flat_scratch)
	.set _ZL13mul_mat_f_idsI7__half2Li64ELi4ELi5EEvPKT_PKfPKiS7_S7_Pfiiiiiiiiiiiiii15HIP_vector_typeIjLj3EESA_.has_dyn_sized_stack, or(0, .L_ZL14no_device_codePKciS0_iS0_.has_dyn_sized_stack)
	.set _ZL13mul_mat_f_idsI7__half2Li64ELi4ELi5EEvPKT_PKfPKiS7_S7_Pfiiiiiiiiiiiiii15HIP_vector_typeIjLj3EESA_.has_recursion, or(0, .L_ZL14no_device_codePKciS0_iS0_.has_recursion)
	.set _ZL13mul_mat_f_idsI7__half2Li64ELi4ELi5EEvPKT_PKfPKiS7_S7_Pfiiiiiiiiiiiiii15HIP_vector_typeIjLj3EESA_.has_indirect_call, or(0, .L_ZL14no_device_codePKciS0_iS0_.has_indirect_call)
	.section	.AMDGPU.csdata,"",@progbits
; Kernel info:
; codeLenInByte = 80
; TotalNumSgprs: 36
; NumVgprs: 38
; ScratchSize: 16
; MemoryBound: 0
; FloatMode: 240
; IeeeMode: 1
; LDSByteSize: 0 bytes/workgroup (compile time only)
; SGPRBlocks: 0
; VGPRBlocks: 4
; NumSGPRsForWavesPerEU: 36
; NumVGPRsForWavesPerEU: 38
; Occupancy: 16
; WaveLimiterHint : 1
; COMPUTE_PGM_RSRC2:SCRATCH_EN: 1
; COMPUTE_PGM_RSRC2:USER_SGPR: 2
; COMPUTE_PGM_RSRC2:TRAP_HANDLER: 0
; COMPUTE_PGM_RSRC2:TGID_X_EN: 1
; COMPUTE_PGM_RSRC2:TGID_Y_EN: 0
; COMPUTE_PGM_RSRC2:TGID_Z_EN: 0
; COMPUTE_PGM_RSRC2:TIDIG_COMP_CNT: 0
	.section	.text._ZL9mul_mat_fI7__half2Li64ELi4ELi5ELb1EEvPKT_PKfPKiPfiiiiiiiiiiiiiiii,"axG",@progbits,_ZL9mul_mat_fI7__half2Li64ELi4ELi5ELb1EEvPKT_PKfPKiPfiiiiiiiiiiiiiiii,comdat
	.globl	_ZL9mul_mat_fI7__half2Li64ELi4ELi5ELb1EEvPKT_PKfPKiPfiiiiiiiiiiiiiiii ; -- Begin function _ZL9mul_mat_fI7__half2Li64ELi4ELi5ELb1EEvPKT_PKfPKiPfiiiiiiiiiiiiiiii
	.p2align	8
	.type	_ZL9mul_mat_fI7__half2Li64ELi4ELi5ELb1EEvPKT_PKfPKiPfiiiiiiiiiiiiiiii,@function
_ZL9mul_mat_fI7__half2Li64ELi4ELi5ELb1EEvPKT_PKfPKiPfiiiiiiiiiiiiiiii: ; @_ZL9mul_mat_fI7__half2Li64ELi4ELi5ELb1EEvPKT_PKfPKiPfiiiiiiiiiiiiiiii
; %bb.0:
	s_getpc_b64 s[2:3]
	s_sext_i32_i16 s3, s3
	s_add_co_u32 s2, s2, __FUNCTION__._ZL9mul_mat_fIfLi32ELi4ELi1ELb1EEvPKT_PKfPKiPfiiiiiiiiiiiiiiii@rel32@lo+8
	s_add_co_ci_u32 s3, s3, __FUNCTION__._ZL9mul_mat_fIfLi32ELi4ELi1ELb1EEvPKT_PKfPKiPfiiiiiiiiiiiiiiii@rel32@hi+16
	v_dual_mov_b32 v0, 59 :: v_dual_mov_b32 v1, s2
	v_mov_b32_e32 v2, s3
	s_add_nc_u64 s[8:9], s[0:1], 0x60
	s_getpc_b64 s[0:1]
	s_sext_i32_i16 s1, s1
	s_add_co_u32 s0, s0, _ZL14no_device_codePKciS0_iS0_@rel32@lo+8
	s_add_co_ci_u32 s1, s1, _ZL14no_device_codePKciS0_iS0_@rel32@hi+16
	s_mov_b32 s32, 0
	s_swappc_b64 s[30:31], s[0:1]
	.section	.rodata,"a",@progbits
	.p2align	6, 0x0
	.amdhsa_kernel _ZL9mul_mat_fI7__half2Li64ELi4ELi5ELb1EEvPKT_PKfPKiPfiiiiiiiiiiiiiiii
		.amdhsa_group_segment_fixed_size 0
		.amdhsa_private_segment_fixed_size 16
		.amdhsa_kernarg_size 352
		.amdhsa_user_sgpr_count 2
		.amdhsa_user_sgpr_dispatch_ptr 0
		.amdhsa_user_sgpr_queue_ptr 0
		.amdhsa_user_sgpr_kernarg_segment_ptr 1
		.amdhsa_user_sgpr_dispatch_id 0
		.amdhsa_user_sgpr_private_segment_size 0
		.amdhsa_wavefront_size32 1
		.amdhsa_uses_dynamic_stack 0
		.amdhsa_enable_private_segment 1
		.amdhsa_system_sgpr_workgroup_id_x 1
		.amdhsa_system_sgpr_workgroup_id_y 0
		.amdhsa_system_sgpr_workgroup_id_z 0
		.amdhsa_system_sgpr_workgroup_info 0
		.amdhsa_system_vgpr_workitem_id 0
		.amdhsa_next_free_vgpr 38
		.amdhsa_next_free_sgpr 34
		.amdhsa_reserve_vcc 1
		.amdhsa_float_round_mode_32 0
		.amdhsa_float_round_mode_16_64 0
		.amdhsa_float_denorm_mode_32 3
		.amdhsa_float_denorm_mode_16_64 3
		.amdhsa_fp16_overflow 0
		.amdhsa_workgroup_processor_mode 1
		.amdhsa_memory_ordered 1
		.amdhsa_forward_progress 1
		.amdhsa_inst_pref_size 1
		.amdhsa_round_robin_scheduling 0
		.amdhsa_exception_fp_ieee_invalid_op 0
		.amdhsa_exception_fp_denorm_src 0
		.amdhsa_exception_fp_ieee_div_zero 0
		.amdhsa_exception_fp_ieee_overflow 0
		.amdhsa_exception_fp_ieee_underflow 0
		.amdhsa_exception_fp_ieee_inexact 0
		.amdhsa_exception_int_div_zero 0
	.end_amdhsa_kernel
	.section	.text._ZL9mul_mat_fI7__half2Li64ELi4ELi5ELb1EEvPKT_PKfPKiPfiiiiiiiiiiiiiiii,"axG",@progbits,_ZL9mul_mat_fI7__half2Li64ELi4ELi5ELb1EEvPKT_PKfPKiPfiiiiiiiiiiiiiiii,comdat
.Lfunc_end112:
	.size	_ZL9mul_mat_fI7__half2Li64ELi4ELi5ELb1EEvPKT_PKfPKiPfiiiiiiiiiiiiiiii, .Lfunc_end112-_ZL9mul_mat_fI7__half2Li64ELi4ELi5ELb1EEvPKT_PKfPKiPfiiiiiiiiiiiiiiii
                                        ; -- End function
	.set _ZL9mul_mat_fI7__half2Li64ELi4ELi5ELb1EEvPKT_PKfPKiPfiiiiiiiiiiiiiiii.num_vgpr, max(3, .L_ZL14no_device_codePKciS0_iS0_.num_vgpr)
	.set _ZL9mul_mat_fI7__half2Li64ELi4ELi5ELb1EEvPKT_PKfPKiPfiiiiiiiiiiiiiiii.num_agpr, max(0, .L_ZL14no_device_codePKciS0_iS0_.num_agpr)
	.set _ZL9mul_mat_fI7__half2Li64ELi4ELi5ELb1EEvPKT_PKfPKiPfiiiiiiiiiiiiiiii.numbered_sgpr, max(33, .L_ZL14no_device_codePKciS0_iS0_.numbered_sgpr)
	.set _ZL9mul_mat_fI7__half2Li64ELi4ELi5ELb1EEvPKT_PKfPKiPfiiiiiiiiiiiiiiii.num_named_barrier, max(0, .L_ZL14no_device_codePKciS0_iS0_.num_named_barrier)
	.set _ZL9mul_mat_fI7__half2Li64ELi4ELi5ELb1EEvPKT_PKfPKiPfiiiiiiiiiiiiiiii.private_seg_size, 0+max(.L_ZL14no_device_codePKciS0_iS0_.private_seg_size)
	.set _ZL9mul_mat_fI7__half2Li64ELi4ELi5ELb1EEvPKT_PKfPKiPfiiiiiiiiiiiiiiii.uses_vcc, or(1, .L_ZL14no_device_codePKciS0_iS0_.uses_vcc)
	.set _ZL9mul_mat_fI7__half2Li64ELi4ELi5ELb1EEvPKT_PKfPKiPfiiiiiiiiiiiiiiii.uses_flat_scratch, or(0, .L_ZL14no_device_codePKciS0_iS0_.uses_flat_scratch)
	.set _ZL9mul_mat_fI7__half2Li64ELi4ELi5ELb1EEvPKT_PKfPKiPfiiiiiiiiiiiiiiii.has_dyn_sized_stack, or(0, .L_ZL14no_device_codePKciS0_iS0_.has_dyn_sized_stack)
	.set _ZL9mul_mat_fI7__half2Li64ELi4ELi5ELb1EEvPKT_PKfPKiPfiiiiiiiiiiiiiiii.has_recursion, or(0, .L_ZL14no_device_codePKciS0_iS0_.has_recursion)
	.set _ZL9mul_mat_fI7__half2Li64ELi4ELi5ELb1EEvPKT_PKfPKiPfiiiiiiiiiiiiiiii.has_indirect_call, or(0, .L_ZL14no_device_codePKciS0_iS0_.has_indirect_call)
	.section	.AMDGPU.csdata,"",@progbits
; Kernel info:
; codeLenInByte = 76
; TotalNumSgprs: 36
; NumVgprs: 38
; ScratchSize: 16
; MemoryBound: 0
; FloatMode: 240
; IeeeMode: 1
; LDSByteSize: 0 bytes/workgroup (compile time only)
; SGPRBlocks: 0
; VGPRBlocks: 4
; NumSGPRsForWavesPerEU: 36
; NumVGPRsForWavesPerEU: 38
; Occupancy: 16
; WaveLimiterHint : 1
; COMPUTE_PGM_RSRC2:SCRATCH_EN: 1
; COMPUTE_PGM_RSRC2:USER_SGPR: 2
; COMPUTE_PGM_RSRC2:TRAP_HANDLER: 0
; COMPUTE_PGM_RSRC2:TGID_X_EN: 1
; COMPUTE_PGM_RSRC2:TGID_Y_EN: 0
; COMPUTE_PGM_RSRC2:TGID_Z_EN: 0
; COMPUTE_PGM_RSRC2:TIDIG_COMP_CNT: 0
	.section	.text._ZL9mul_mat_fI7__half2Li64ELi4ELi5ELb0EEvPKT_PKfPKiPfiiiiiiiiiiiiiiii,"axG",@progbits,_ZL9mul_mat_fI7__half2Li64ELi4ELi5ELb0EEvPKT_PKfPKiPfiiiiiiiiiiiiiiii,comdat
	.globl	_ZL9mul_mat_fI7__half2Li64ELi4ELi5ELb0EEvPKT_PKfPKiPfiiiiiiiiiiiiiiii ; -- Begin function _ZL9mul_mat_fI7__half2Li64ELi4ELi5ELb0EEvPKT_PKfPKiPfiiiiiiiiiiiiiiii
	.p2align	8
	.type	_ZL9mul_mat_fI7__half2Li64ELi4ELi5ELb0EEvPKT_PKfPKiPfiiiiiiiiiiiiiiii,@function
_ZL9mul_mat_fI7__half2Li64ELi4ELi5ELb0EEvPKT_PKfPKiPfiiiiiiiiiiiiiiii: ; @_ZL9mul_mat_fI7__half2Li64ELi4ELi5ELb0EEvPKT_PKfPKiPfiiiiiiiiiiiiiiii
; %bb.0:
	s_getpc_b64 s[2:3]
	s_sext_i32_i16 s3, s3
	s_add_co_u32 s2, s2, __FUNCTION__._ZL9mul_mat_fIfLi32ELi4ELi1ELb1EEvPKT_PKfPKiPfiiiiiiiiiiiiiiii@rel32@lo+8
	s_add_co_ci_u32 s3, s3, __FUNCTION__._ZL9mul_mat_fIfLi32ELi4ELi1ELb1EEvPKT_PKfPKiPfiiiiiiiiiiiiiiii@rel32@hi+16
	v_dual_mov_b32 v0, 59 :: v_dual_mov_b32 v1, s2
	v_mov_b32_e32 v2, s3
	s_add_nc_u64 s[8:9], s[0:1], 0x60
	s_getpc_b64 s[0:1]
	s_sext_i32_i16 s1, s1
	s_add_co_u32 s0, s0, _ZL14no_device_codePKciS0_iS0_@rel32@lo+8
	s_add_co_ci_u32 s1, s1, _ZL14no_device_codePKciS0_iS0_@rel32@hi+16
	s_mov_b32 s32, 0
	s_swappc_b64 s[30:31], s[0:1]
	.section	.rodata,"a",@progbits
	.p2align	6, 0x0
	.amdhsa_kernel _ZL9mul_mat_fI7__half2Li64ELi4ELi5ELb0EEvPKT_PKfPKiPfiiiiiiiiiiiiiiii
		.amdhsa_group_segment_fixed_size 0
		.amdhsa_private_segment_fixed_size 16
		.amdhsa_kernarg_size 352
		.amdhsa_user_sgpr_count 2
		.amdhsa_user_sgpr_dispatch_ptr 0
		.amdhsa_user_sgpr_queue_ptr 0
		.amdhsa_user_sgpr_kernarg_segment_ptr 1
		.amdhsa_user_sgpr_dispatch_id 0
		.amdhsa_user_sgpr_private_segment_size 0
		.amdhsa_wavefront_size32 1
		.amdhsa_uses_dynamic_stack 0
		.amdhsa_enable_private_segment 1
		.amdhsa_system_sgpr_workgroup_id_x 1
		.amdhsa_system_sgpr_workgroup_id_y 0
		.amdhsa_system_sgpr_workgroup_id_z 0
		.amdhsa_system_sgpr_workgroup_info 0
		.amdhsa_system_vgpr_workitem_id 0
		.amdhsa_next_free_vgpr 38
		.amdhsa_next_free_sgpr 34
		.amdhsa_reserve_vcc 1
		.amdhsa_float_round_mode_32 0
		.amdhsa_float_round_mode_16_64 0
		.amdhsa_float_denorm_mode_32 3
		.amdhsa_float_denorm_mode_16_64 3
		.amdhsa_fp16_overflow 0
		.amdhsa_workgroup_processor_mode 1
		.amdhsa_memory_ordered 1
		.amdhsa_forward_progress 1
		.amdhsa_inst_pref_size 1
		.amdhsa_round_robin_scheduling 0
		.amdhsa_exception_fp_ieee_invalid_op 0
		.amdhsa_exception_fp_denorm_src 0
		.amdhsa_exception_fp_ieee_div_zero 0
		.amdhsa_exception_fp_ieee_overflow 0
		.amdhsa_exception_fp_ieee_underflow 0
		.amdhsa_exception_fp_ieee_inexact 0
		.amdhsa_exception_int_div_zero 0
	.end_amdhsa_kernel
	.section	.text._ZL9mul_mat_fI7__half2Li64ELi4ELi5ELb0EEvPKT_PKfPKiPfiiiiiiiiiiiiiiii,"axG",@progbits,_ZL9mul_mat_fI7__half2Li64ELi4ELi5ELb0EEvPKT_PKfPKiPfiiiiiiiiiiiiiiii,comdat
.Lfunc_end113:
	.size	_ZL9mul_mat_fI7__half2Li64ELi4ELi5ELb0EEvPKT_PKfPKiPfiiiiiiiiiiiiiiii, .Lfunc_end113-_ZL9mul_mat_fI7__half2Li64ELi4ELi5ELb0EEvPKT_PKfPKiPfiiiiiiiiiiiiiiii
                                        ; -- End function
	.set _ZL9mul_mat_fI7__half2Li64ELi4ELi5ELb0EEvPKT_PKfPKiPfiiiiiiiiiiiiiiii.num_vgpr, max(3, .L_ZL14no_device_codePKciS0_iS0_.num_vgpr)
	.set _ZL9mul_mat_fI7__half2Li64ELi4ELi5ELb0EEvPKT_PKfPKiPfiiiiiiiiiiiiiiii.num_agpr, max(0, .L_ZL14no_device_codePKciS0_iS0_.num_agpr)
	.set _ZL9mul_mat_fI7__half2Li64ELi4ELi5ELb0EEvPKT_PKfPKiPfiiiiiiiiiiiiiiii.numbered_sgpr, max(33, .L_ZL14no_device_codePKciS0_iS0_.numbered_sgpr)
	.set _ZL9mul_mat_fI7__half2Li64ELi4ELi5ELb0EEvPKT_PKfPKiPfiiiiiiiiiiiiiiii.num_named_barrier, max(0, .L_ZL14no_device_codePKciS0_iS0_.num_named_barrier)
	.set _ZL9mul_mat_fI7__half2Li64ELi4ELi5ELb0EEvPKT_PKfPKiPfiiiiiiiiiiiiiiii.private_seg_size, 0+max(.L_ZL14no_device_codePKciS0_iS0_.private_seg_size)
	.set _ZL9mul_mat_fI7__half2Li64ELi4ELi5ELb0EEvPKT_PKfPKiPfiiiiiiiiiiiiiiii.uses_vcc, or(1, .L_ZL14no_device_codePKciS0_iS0_.uses_vcc)
	.set _ZL9mul_mat_fI7__half2Li64ELi4ELi5ELb0EEvPKT_PKfPKiPfiiiiiiiiiiiiiiii.uses_flat_scratch, or(0, .L_ZL14no_device_codePKciS0_iS0_.uses_flat_scratch)
	.set _ZL9mul_mat_fI7__half2Li64ELi4ELi5ELb0EEvPKT_PKfPKiPfiiiiiiiiiiiiiiii.has_dyn_sized_stack, or(0, .L_ZL14no_device_codePKciS0_iS0_.has_dyn_sized_stack)
	.set _ZL9mul_mat_fI7__half2Li64ELi4ELi5ELb0EEvPKT_PKfPKiPfiiiiiiiiiiiiiiii.has_recursion, or(0, .L_ZL14no_device_codePKciS0_iS0_.has_recursion)
	.set _ZL9mul_mat_fI7__half2Li64ELi4ELi5ELb0EEvPKT_PKfPKiPfiiiiiiiiiiiiiiii.has_indirect_call, or(0, .L_ZL14no_device_codePKciS0_iS0_.has_indirect_call)
	.section	.AMDGPU.csdata,"",@progbits
; Kernel info:
; codeLenInByte = 76
; TotalNumSgprs: 36
; NumVgprs: 38
; ScratchSize: 16
; MemoryBound: 0
; FloatMode: 240
; IeeeMode: 1
; LDSByteSize: 0 bytes/workgroup (compile time only)
; SGPRBlocks: 0
; VGPRBlocks: 4
; NumSGPRsForWavesPerEU: 36
; NumVGPRsForWavesPerEU: 38
; Occupancy: 16
; WaveLimiterHint : 1
; COMPUTE_PGM_RSRC2:SCRATCH_EN: 1
; COMPUTE_PGM_RSRC2:USER_SGPR: 2
; COMPUTE_PGM_RSRC2:TRAP_HANDLER: 0
; COMPUTE_PGM_RSRC2:TGID_X_EN: 1
; COMPUTE_PGM_RSRC2:TGID_Y_EN: 0
; COMPUTE_PGM_RSRC2:TGID_Z_EN: 0
; COMPUTE_PGM_RSRC2:TIDIG_COMP_CNT: 0
	.section	.text._ZL13mul_mat_f_idsI7__half2Li64ELi4ELi6EEvPKT_PKfPKiS7_S7_Pfiiiiiiiiiiiiii15HIP_vector_typeIjLj3EESA_,"axG",@progbits,_ZL13mul_mat_f_idsI7__half2Li64ELi4ELi6EEvPKT_PKfPKiS7_S7_Pfiiiiiiiiiiiiii15HIP_vector_typeIjLj3EESA_,comdat
	.globl	_ZL13mul_mat_f_idsI7__half2Li64ELi4ELi6EEvPKT_PKfPKiS7_S7_Pfiiiiiiiiiiiiii15HIP_vector_typeIjLj3EESA_ ; -- Begin function _ZL13mul_mat_f_idsI7__half2Li64ELi4ELi6EEvPKT_PKfPKiS7_S7_Pfiiiiiiiiiiiiii15HIP_vector_typeIjLj3EESA_
	.p2align	8
	.type	_ZL13mul_mat_f_idsI7__half2Li64ELi4ELi6EEvPKT_PKfPKiS7_S7_Pfiiiiiiiiiiiiii15HIP_vector_typeIjLj3EESA_,@function
_ZL13mul_mat_f_idsI7__half2Li64ELi4ELi6EEvPKT_PKfPKiS7_S7_Pfiiiiiiiiiiiiii15HIP_vector_typeIjLj3EESA_: ; @_ZL13mul_mat_f_idsI7__half2Li64ELi4ELi6EEvPKT_PKfPKiS7_S7_Pfiiiiiiiiiiiiii15HIP_vector_typeIjLj3EESA_
; %bb.0:
	s_getpc_b64 s[2:3]
	s_sext_i32_i16 s3, s3
	s_add_co_u32 s2, s2, __FUNCTION__._ZL13mul_mat_f_idsIfLi32ELi4ELi1EEvPKT_PKfPKiS6_S6_Pfiiiiiiiiiiiiii15HIP_vector_typeIjLj3EES9_@rel32@lo+8
	s_add_co_ci_u32 s3, s3, __FUNCTION__._ZL13mul_mat_f_idsIfLi32ELi4ELi1EEvPKT_PKfPKiS6_S6_Pfiiiiiiiiiiiiii15HIP_vector_typeIjLj3EES9_@rel32@hi+16
	v_dual_mov_b32 v0, 0x136 :: v_dual_mov_b32 v1, s2
	v_mov_b32_e32 v2, s3
	s_add_nc_u64 s[8:9], s[0:1], 0x80
	s_getpc_b64 s[0:1]
	s_sext_i32_i16 s1, s1
	s_add_co_u32 s0, s0, _ZL14no_device_codePKciS0_iS0_@rel32@lo+8
	s_add_co_ci_u32 s1, s1, _ZL14no_device_codePKciS0_iS0_@rel32@hi+16
	s_mov_b32 s32, 0
	s_swappc_b64 s[30:31], s[0:1]
	.section	.rodata,"a",@progbits
	.p2align	6, 0x0
	.amdhsa_kernel _ZL13mul_mat_f_idsI7__half2Li64ELi4ELi6EEvPKT_PKfPKiS7_S7_Pfiiiiiiiiiiiiii15HIP_vector_typeIjLj3EESA_
		.amdhsa_group_segment_fixed_size 0
		.amdhsa_private_segment_fixed_size 16
		.amdhsa_kernarg_size 384
		.amdhsa_user_sgpr_count 2
		.amdhsa_user_sgpr_dispatch_ptr 0
		.amdhsa_user_sgpr_queue_ptr 0
		.amdhsa_user_sgpr_kernarg_segment_ptr 1
		.amdhsa_user_sgpr_dispatch_id 0
		.amdhsa_user_sgpr_private_segment_size 0
		.amdhsa_wavefront_size32 1
		.amdhsa_uses_dynamic_stack 0
		.amdhsa_enable_private_segment 1
		.amdhsa_system_sgpr_workgroup_id_x 1
		.amdhsa_system_sgpr_workgroup_id_y 0
		.amdhsa_system_sgpr_workgroup_id_z 0
		.amdhsa_system_sgpr_workgroup_info 0
		.amdhsa_system_vgpr_workitem_id 0
		.amdhsa_next_free_vgpr 38
		.amdhsa_next_free_sgpr 34
		.amdhsa_reserve_vcc 1
		.amdhsa_float_round_mode_32 0
		.amdhsa_float_round_mode_16_64 0
		.amdhsa_float_denorm_mode_32 3
		.amdhsa_float_denorm_mode_16_64 3
		.amdhsa_fp16_overflow 0
		.amdhsa_workgroup_processor_mode 1
		.amdhsa_memory_ordered 1
		.amdhsa_forward_progress 1
		.amdhsa_inst_pref_size 1
		.amdhsa_round_robin_scheduling 0
		.amdhsa_exception_fp_ieee_invalid_op 0
		.amdhsa_exception_fp_denorm_src 0
		.amdhsa_exception_fp_ieee_div_zero 0
		.amdhsa_exception_fp_ieee_overflow 0
		.amdhsa_exception_fp_ieee_underflow 0
		.amdhsa_exception_fp_ieee_inexact 0
		.amdhsa_exception_int_div_zero 0
	.end_amdhsa_kernel
	.section	.text._ZL13mul_mat_f_idsI7__half2Li64ELi4ELi6EEvPKT_PKfPKiS7_S7_Pfiiiiiiiiiiiiii15HIP_vector_typeIjLj3EESA_,"axG",@progbits,_ZL13mul_mat_f_idsI7__half2Li64ELi4ELi6EEvPKT_PKfPKiS7_S7_Pfiiiiiiiiiiiiii15HIP_vector_typeIjLj3EESA_,comdat
.Lfunc_end114:
	.size	_ZL13mul_mat_f_idsI7__half2Li64ELi4ELi6EEvPKT_PKfPKiS7_S7_Pfiiiiiiiiiiiiii15HIP_vector_typeIjLj3EESA_, .Lfunc_end114-_ZL13mul_mat_f_idsI7__half2Li64ELi4ELi6EEvPKT_PKfPKiS7_S7_Pfiiiiiiiiiiiiii15HIP_vector_typeIjLj3EESA_
                                        ; -- End function
	.set _ZL13mul_mat_f_idsI7__half2Li64ELi4ELi6EEvPKT_PKfPKiS7_S7_Pfiiiiiiiiiiiiii15HIP_vector_typeIjLj3EESA_.num_vgpr, max(3, .L_ZL14no_device_codePKciS0_iS0_.num_vgpr)
	.set _ZL13mul_mat_f_idsI7__half2Li64ELi4ELi6EEvPKT_PKfPKiS7_S7_Pfiiiiiiiiiiiiii15HIP_vector_typeIjLj3EESA_.num_agpr, max(0, .L_ZL14no_device_codePKciS0_iS0_.num_agpr)
	.set _ZL13mul_mat_f_idsI7__half2Li64ELi4ELi6EEvPKT_PKfPKiS7_S7_Pfiiiiiiiiiiiiii15HIP_vector_typeIjLj3EESA_.numbered_sgpr, max(33, .L_ZL14no_device_codePKciS0_iS0_.numbered_sgpr)
	.set _ZL13mul_mat_f_idsI7__half2Li64ELi4ELi6EEvPKT_PKfPKiS7_S7_Pfiiiiiiiiiiiiii15HIP_vector_typeIjLj3EESA_.num_named_barrier, max(0, .L_ZL14no_device_codePKciS0_iS0_.num_named_barrier)
	.set _ZL13mul_mat_f_idsI7__half2Li64ELi4ELi6EEvPKT_PKfPKiS7_S7_Pfiiiiiiiiiiiiii15HIP_vector_typeIjLj3EESA_.private_seg_size, 0+max(.L_ZL14no_device_codePKciS0_iS0_.private_seg_size)
	.set _ZL13mul_mat_f_idsI7__half2Li64ELi4ELi6EEvPKT_PKfPKiS7_S7_Pfiiiiiiiiiiiiii15HIP_vector_typeIjLj3EESA_.uses_vcc, or(1, .L_ZL14no_device_codePKciS0_iS0_.uses_vcc)
	.set _ZL13mul_mat_f_idsI7__half2Li64ELi4ELi6EEvPKT_PKfPKiS7_S7_Pfiiiiiiiiiiiiii15HIP_vector_typeIjLj3EESA_.uses_flat_scratch, or(0, .L_ZL14no_device_codePKciS0_iS0_.uses_flat_scratch)
	.set _ZL13mul_mat_f_idsI7__half2Li64ELi4ELi6EEvPKT_PKfPKiS7_S7_Pfiiiiiiiiiiiiii15HIP_vector_typeIjLj3EESA_.has_dyn_sized_stack, or(0, .L_ZL14no_device_codePKciS0_iS0_.has_dyn_sized_stack)
	.set _ZL13mul_mat_f_idsI7__half2Li64ELi4ELi6EEvPKT_PKfPKiS7_S7_Pfiiiiiiiiiiiiii15HIP_vector_typeIjLj3EESA_.has_recursion, or(0, .L_ZL14no_device_codePKciS0_iS0_.has_recursion)
	.set _ZL13mul_mat_f_idsI7__half2Li64ELi4ELi6EEvPKT_PKfPKiS7_S7_Pfiiiiiiiiiiiiii15HIP_vector_typeIjLj3EESA_.has_indirect_call, or(0, .L_ZL14no_device_codePKciS0_iS0_.has_indirect_call)
	.section	.AMDGPU.csdata,"",@progbits
; Kernel info:
; codeLenInByte = 80
; TotalNumSgprs: 36
; NumVgprs: 38
; ScratchSize: 16
; MemoryBound: 0
; FloatMode: 240
; IeeeMode: 1
; LDSByteSize: 0 bytes/workgroup (compile time only)
; SGPRBlocks: 0
; VGPRBlocks: 4
; NumSGPRsForWavesPerEU: 36
; NumVGPRsForWavesPerEU: 38
; Occupancy: 16
; WaveLimiterHint : 1
; COMPUTE_PGM_RSRC2:SCRATCH_EN: 1
; COMPUTE_PGM_RSRC2:USER_SGPR: 2
; COMPUTE_PGM_RSRC2:TRAP_HANDLER: 0
; COMPUTE_PGM_RSRC2:TGID_X_EN: 1
; COMPUTE_PGM_RSRC2:TGID_Y_EN: 0
; COMPUTE_PGM_RSRC2:TGID_Z_EN: 0
; COMPUTE_PGM_RSRC2:TIDIG_COMP_CNT: 0
	.section	.text._ZL9mul_mat_fI7__half2Li64ELi4ELi6ELb1EEvPKT_PKfPKiPfiiiiiiiiiiiiiiii,"axG",@progbits,_ZL9mul_mat_fI7__half2Li64ELi4ELi6ELb1EEvPKT_PKfPKiPfiiiiiiiiiiiiiiii,comdat
	.globl	_ZL9mul_mat_fI7__half2Li64ELi4ELi6ELb1EEvPKT_PKfPKiPfiiiiiiiiiiiiiiii ; -- Begin function _ZL9mul_mat_fI7__half2Li64ELi4ELi6ELb1EEvPKT_PKfPKiPfiiiiiiiiiiiiiiii
	.p2align	8
	.type	_ZL9mul_mat_fI7__half2Li64ELi4ELi6ELb1EEvPKT_PKfPKiPfiiiiiiiiiiiiiiii,@function
_ZL9mul_mat_fI7__half2Li64ELi4ELi6ELb1EEvPKT_PKfPKiPfiiiiiiiiiiiiiiii: ; @_ZL9mul_mat_fI7__half2Li64ELi4ELi6ELb1EEvPKT_PKfPKiPfiiiiiiiiiiiiiiii
; %bb.0:
	s_getpc_b64 s[2:3]
	s_sext_i32_i16 s3, s3
	s_add_co_u32 s2, s2, __FUNCTION__._ZL9mul_mat_fIfLi32ELi4ELi1ELb1EEvPKT_PKfPKiPfiiiiiiiiiiiiiiii@rel32@lo+8
	s_add_co_ci_u32 s3, s3, __FUNCTION__._ZL9mul_mat_fIfLi32ELi4ELi1ELb1EEvPKT_PKfPKiPfiiiiiiiiiiiiiiii@rel32@hi+16
	v_dual_mov_b32 v0, 59 :: v_dual_mov_b32 v1, s2
	v_mov_b32_e32 v2, s3
	s_add_nc_u64 s[8:9], s[0:1], 0x60
	s_getpc_b64 s[0:1]
	s_sext_i32_i16 s1, s1
	s_add_co_u32 s0, s0, _ZL14no_device_codePKciS0_iS0_@rel32@lo+8
	s_add_co_ci_u32 s1, s1, _ZL14no_device_codePKciS0_iS0_@rel32@hi+16
	s_mov_b32 s32, 0
	s_swappc_b64 s[30:31], s[0:1]
	.section	.rodata,"a",@progbits
	.p2align	6, 0x0
	.amdhsa_kernel _ZL9mul_mat_fI7__half2Li64ELi4ELi6ELb1EEvPKT_PKfPKiPfiiiiiiiiiiiiiiii
		.amdhsa_group_segment_fixed_size 0
		.amdhsa_private_segment_fixed_size 16
		.amdhsa_kernarg_size 352
		.amdhsa_user_sgpr_count 2
		.amdhsa_user_sgpr_dispatch_ptr 0
		.amdhsa_user_sgpr_queue_ptr 0
		.amdhsa_user_sgpr_kernarg_segment_ptr 1
		.amdhsa_user_sgpr_dispatch_id 0
		.amdhsa_user_sgpr_private_segment_size 0
		.amdhsa_wavefront_size32 1
		.amdhsa_uses_dynamic_stack 0
		.amdhsa_enable_private_segment 1
		.amdhsa_system_sgpr_workgroup_id_x 1
		.amdhsa_system_sgpr_workgroup_id_y 0
		.amdhsa_system_sgpr_workgroup_id_z 0
		.amdhsa_system_sgpr_workgroup_info 0
		.amdhsa_system_vgpr_workitem_id 0
		.amdhsa_next_free_vgpr 38
		.amdhsa_next_free_sgpr 34
		.amdhsa_reserve_vcc 1
		.amdhsa_float_round_mode_32 0
		.amdhsa_float_round_mode_16_64 0
		.amdhsa_float_denorm_mode_32 3
		.amdhsa_float_denorm_mode_16_64 3
		.amdhsa_fp16_overflow 0
		.amdhsa_workgroup_processor_mode 1
		.amdhsa_memory_ordered 1
		.amdhsa_forward_progress 1
		.amdhsa_inst_pref_size 1
		.amdhsa_round_robin_scheduling 0
		.amdhsa_exception_fp_ieee_invalid_op 0
		.amdhsa_exception_fp_denorm_src 0
		.amdhsa_exception_fp_ieee_div_zero 0
		.amdhsa_exception_fp_ieee_overflow 0
		.amdhsa_exception_fp_ieee_underflow 0
		.amdhsa_exception_fp_ieee_inexact 0
		.amdhsa_exception_int_div_zero 0
	.end_amdhsa_kernel
	.section	.text._ZL9mul_mat_fI7__half2Li64ELi4ELi6ELb1EEvPKT_PKfPKiPfiiiiiiiiiiiiiiii,"axG",@progbits,_ZL9mul_mat_fI7__half2Li64ELi4ELi6ELb1EEvPKT_PKfPKiPfiiiiiiiiiiiiiiii,comdat
.Lfunc_end115:
	.size	_ZL9mul_mat_fI7__half2Li64ELi4ELi6ELb1EEvPKT_PKfPKiPfiiiiiiiiiiiiiiii, .Lfunc_end115-_ZL9mul_mat_fI7__half2Li64ELi4ELi6ELb1EEvPKT_PKfPKiPfiiiiiiiiiiiiiiii
                                        ; -- End function
	.set _ZL9mul_mat_fI7__half2Li64ELi4ELi6ELb1EEvPKT_PKfPKiPfiiiiiiiiiiiiiiii.num_vgpr, max(3, .L_ZL14no_device_codePKciS0_iS0_.num_vgpr)
	.set _ZL9mul_mat_fI7__half2Li64ELi4ELi6ELb1EEvPKT_PKfPKiPfiiiiiiiiiiiiiiii.num_agpr, max(0, .L_ZL14no_device_codePKciS0_iS0_.num_agpr)
	.set _ZL9mul_mat_fI7__half2Li64ELi4ELi6ELb1EEvPKT_PKfPKiPfiiiiiiiiiiiiiiii.numbered_sgpr, max(33, .L_ZL14no_device_codePKciS0_iS0_.numbered_sgpr)
	.set _ZL9mul_mat_fI7__half2Li64ELi4ELi6ELb1EEvPKT_PKfPKiPfiiiiiiiiiiiiiiii.num_named_barrier, max(0, .L_ZL14no_device_codePKciS0_iS0_.num_named_barrier)
	.set _ZL9mul_mat_fI7__half2Li64ELi4ELi6ELb1EEvPKT_PKfPKiPfiiiiiiiiiiiiiiii.private_seg_size, 0+max(.L_ZL14no_device_codePKciS0_iS0_.private_seg_size)
	.set _ZL9mul_mat_fI7__half2Li64ELi4ELi6ELb1EEvPKT_PKfPKiPfiiiiiiiiiiiiiiii.uses_vcc, or(1, .L_ZL14no_device_codePKciS0_iS0_.uses_vcc)
	.set _ZL9mul_mat_fI7__half2Li64ELi4ELi6ELb1EEvPKT_PKfPKiPfiiiiiiiiiiiiiiii.uses_flat_scratch, or(0, .L_ZL14no_device_codePKciS0_iS0_.uses_flat_scratch)
	.set _ZL9mul_mat_fI7__half2Li64ELi4ELi6ELb1EEvPKT_PKfPKiPfiiiiiiiiiiiiiiii.has_dyn_sized_stack, or(0, .L_ZL14no_device_codePKciS0_iS0_.has_dyn_sized_stack)
	.set _ZL9mul_mat_fI7__half2Li64ELi4ELi6ELb1EEvPKT_PKfPKiPfiiiiiiiiiiiiiiii.has_recursion, or(0, .L_ZL14no_device_codePKciS0_iS0_.has_recursion)
	.set _ZL9mul_mat_fI7__half2Li64ELi4ELi6ELb1EEvPKT_PKfPKiPfiiiiiiiiiiiiiiii.has_indirect_call, or(0, .L_ZL14no_device_codePKciS0_iS0_.has_indirect_call)
	.section	.AMDGPU.csdata,"",@progbits
; Kernel info:
; codeLenInByte = 76
; TotalNumSgprs: 36
; NumVgprs: 38
; ScratchSize: 16
; MemoryBound: 0
; FloatMode: 240
; IeeeMode: 1
; LDSByteSize: 0 bytes/workgroup (compile time only)
; SGPRBlocks: 0
; VGPRBlocks: 4
; NumSGPRsForWavesPerEU: 36
; NumVGPRsForWavesPerEU: 38
; Occupancy: 16
; WaveLimiterHint : 1
; COMPUTE_PGM_RSRC2:SCRATCH_EN: 1
; COMPUTE_PGM_RSRC2:USER_SGPR: 2
; COMPUTE_PGM_RSRC2:TRAP_HANDLER: 0
; COMPUTE_PGM_RSRC2:TGID_X_EN: 1
; COMPUTE_PGM_RSRC2:TGID_Y_EN: 0
; COMPUTE_PGM_RSRC2:TGID_Z_EN: 0
; COMPUTE_PGM_RSRC2:TIDIG_COMP_CNT: 0
	.section	.text._ZL9mul_mat_fI7__half2Li64ELi4ELi6ELb0EEvPKT_PKfPKiPfiiiiiiiiiiiiiiii,"axG",@progbits,_ZL9mul_mat_fI7__half2Li64ELi4ELi6ELb0EEvPKT_PKfPKiPfiiiiiiiiiiiiiiii,comdat
	.globl	_ZL9mul_mat_fI7__half2Li64ELi4ELi6ELb0EEvPKT_PKfPKiPfiiiiiiiiiiiiiiii ; -- Begin function _ZL9mul_mat_fI7__half2Li64ELi4ELi6ELb0EEvPKT_PKfPKiPfiiiiiiiiiiiiiiii
	.p2align	8
	.type	_ZL9mul_mat_fI7__half2Li64ELi4ELi6ELb0EEvPKT_PKfPKiPfiiiiiiiiiiiiiiii,@function
_ZL9mul_mat_fI7__half2Li64ELi4ELi6ELb0EEvPKT_PKfPKiPfiiiiiiiiiiiiiiii: ; @_ZL9mul_mat_fI7__half2Li64ELi4ELi6ELb0EEvPKT_PKfPKiPfiiiiiiiiiiiiiiii
; %bb.0:
	s_getpc_b64 s[2:3]
	s_sext_i32_i16 s3, s3
	s_add_co_u32 s2, s2, __FUNCTION__._ZL9mul_mat_fIfLi32ELi4ELi1ELb1EEvPKT_PKfPKiPfiiiiiiiiiiiiiiii@rel32@lo+8
	s_add_co_ci_u32 s3, s3, __FUNCTION__._ZL9mul_mat_fIfLi32ELi4ELi1ELb1EEvPKT_PKfPKiPfiiiiiiiiiiiiiiii@rel32@hi+16
	v_dual_mov_b32 v0, 59 :: v_dual_mov_b32 v1, s2
	v_mov_b32_e32 v2, s3
	s_add_nc_u64 s[8:9], s[0:1], 0x60
	s_getpc_b64 s[0:1]
	s_sext_i32_i16 s1, s1
	s_add_co_u32 s0, s0, _ZL14no_device_codePKciS0_iS0_@rel32@lo+8
	s_add_co_ci_u32 s1, s1, _ZL14no_device_codePKciS0_iS0_@rel32@hi+16
	s_mov_b32 s32, 0
	s_swappc_b64 s[30:31], s[0:1]
	.section	.rodata,"a",@progbits
	.p2align	6, 0x0
	.amdhsa_kernel _ZL9mul_mat_fI7__half2Li64ELi4ELi6ELb0EEvPKT_PKfPKiPfiiiiiiiiiiiiiiii
		.amdhsa_group_segment_fixed_size 0
		.amdhsa_private_segment_fixed_size 16
		.amdhsa_kernarg_size 352
		.amdhsa_user_sgpr_count 2
		.amdhsa_user_sgpr_dispatch_ptr 0
		.amdhsa_user_sgpr_queue_ptr 0
		.amdhsa_user_sgpr_kernarg_segment_ptr 1
		.amdhsa_user_sgpr_dispatch_id 0
		.amdhsa_user_sgpr_private_segment_size 0
		.amdhsa_wavefront_size32 1
		.amdhsa_uses_dynamic_stack 0
		.amdhsa_enable_private_segment 1
		.amdhsa_system_sgpr_workgroup_id_x 1
		.amdhsa_system_sgpr_workgroup_id_y 0
		.amdhsa_system_sgpr_workgroup_id_z 0
		.amdhsa_system_sgpr_workgroup_info 0
		.amdhsa_system_vgpr_workitem_id 0
		.amdhsa_next_free_vgpr 38
		.amdhsa_next_free_sgpr 34
		.amdhsa_reserve_vcc 1
		.amdhsa_float_round_mode_32 0
		.amdhsa_float_round_mode_16_64 0
		.amdhsa_float_denorm_mode_32 3
		.amdhsa_float_denorm_mode_16_64 3
		.amdhsa_fp16_overflow 0
		.amdhsa_workgroup_processor_mode 1
		.amdhsa_memory_ordered 1
		.amdhsa_forward_progress 1
		.amdhsa_inst_pref_size 1
		.amdhsa_round_robin_scheduling 0
		.amdhsa_exception_fp_ieee_invalid_op 0
		.amdhsa_exception_fp_denorm_src 0
		.amdhsa_exception_fp_ieee_div_zero 0
		.amdhsa_exception_fp_ieee_overflow 0
		.amdhsa_exception_fp_ieee_underflow 0
		.amdhsa_exception_fp_ieee_inexact 0
		.amdhsa_exception_int_div_zero 0
	.end_amdhsa_kernel
	.section	.text._ZL9mul_mat_fI7__half2Li64ELi4ELi6ELb0EEvPKT_PKfPKiPfiiiiiiiiiiiiiiii,"axG",@progbits,_ZL9mul_mat_fI7__half2Li64ELi4ELi6ELb0EEvPKT_PKfPKiPfiiiiiiiiiiiiiiii,comdat
.Lfunc_end116:
	.size	_ZL9mul_mat_fI7__half2Li64ELi4ELi6ELb0EEvPKT_PKfPKiPfiiiiiiiiiiiiiiii, .Lfunc_end116-_ZL9mul_mat_fI7__half2Li64ELi4ELi6ELb0EEvPKT_PKfPKiPfiiiiiiiiiiiiiiii
                                        ; -- End function
	.set _ZL9mul_mat_fI7__half2Li64ELi4ELi6ELb0EEvPKT_PKfPKiPfiiiiiiiiiiiiiiii.num_vgpr, max(3, .L_ZL14no_device_codePKciS0_iS0_.num_vgpr)
	.set _ZL9mul_mat_fI7__half2Li64ELi4ELi6ELb0EEvPKT_PKfPKiPfiiiiiiiiiiiiiiii.num_agpr, max(0, .L_ZL14no_device_codePKciS0_iS0_.num_agpr)
	.set _ZL9mul_mat_fI7__half2Li64ELi4ELi6ELb0EEvPKT_PKfPKiPfiiiiiiiiiiiiiiii.numbered_sgpr, max(33, .L_ZL14no_device_codePKciS0_iS0_.numbered_sgpr)
	.set _ZL9mul_mat_fI7__half2Li64ELi4ELi6ELb0EEvPKT_PKfPKiPfiiiiiiiiiiiiiiii.num_named_barrier, max(0, .L_ZL14no_device_codePKciS0_iS0_.num_named_barrier)
	.set _ZL9mul_mat_fI7__half2Li64ELi4ELi6ELb0EEvPKT_PKfPKiPfiiiiiiiiiiiiiiii.private_seg_size, 0+max(.L_ZL14no_device_codePKciS0_iS0_.private_seg_size)
	.set _ZL9mul_mat_fI7__half2Li64ELi4ELi6ELb0EEvPKT_PKfPKiPfiiiiiiiiiiiiiiii.uses_vcc, or(1, .L_ZL14no_device_codePKciS0_iS0_.uses_vcc)
	.set _ZL9mul_mat_fI7__half2Li64ELi4ELi6ELb0EEvPKT_PKfPKiPfiiiiiiiiiiiiiiii.uses_flat_scratch, or(0, .L_ZL14no_device_codePKciS0_iS0_.uses_flat_scratch)
	.set _ZL9mul_mat_fI7__half2Li64ELi4ELi6ELb0EEvPKT_PKfPKiPfiiiiiiiiiiiiiiii.has_dyn_sized_stack, or(0, .L_ZL14no_device_codePKciS0_iS0_.has_dyn_sized_stack)
	.set _ZL9mul_mat_fI7__half2Li64ELi4ELi6ELb0EEvPKT_PKfPKiPfiiiiiiiiiiiiiiii.has_recursion, or(0, .L_ZL14no_device_codePKciS0_iS0_.has_recursion)
	.set _ZL9mul_mat_fI7__half2Li64ELi4ELi6ELb0EEvPKT_PKfPKiPfiiiiiiiiiiiiiiii.has_indirect_call, or(0, .L_ZL14no_device_codePKciS0_iS0_.has_indirect_call)
	.section	.AMDGPU.csdata,"",@progbits
; Kernel info:
; codeLenInByte = 76
; TotalNumSgprs: 36
; NumVgprs: 38
; ScratchSize: 16
; MemoryBound: 0
; FloatMode: 240
; IeeeMode: 1
; LDSByteSize: 0 bytes/workgroup (compile time only)
; SGPRBlocks: 0
; VGPRBlocks: 4
; NumSGPRsForWavesPerEU: 36
; NumVGPRsForWavesPerEU: 38
; Occupancy: 16
; WaveLimiterHint : 1
; COMPUTE_PGM_RSRC2:SCRATCH_EN: 1
; COMPUTE_PGM_RSRC2:USER_SGPR: 2
; COMPUTE_PGM_RSRC2:TRAP_HANDLER: 0
; COMPUTE_PGM_RSRC2:TGID_X_EN: 1
; COMPUTE_PGM_RSRC2:TGID_Y_EN: 0
; COMPUTE_PGM_RSRC2:TGID_Z_EN: 0
; COMPUTE_PGM_RSRC2:TIDIG_COMP_CNT: 0
	.section	.text._ZL13mul_mat_f_idsI7__half2Li64ELi4ELi7EEvPKT_PKfPKiS7_S7_Pfiiiiiiiiiiiiii15HIP_vector_typeIjLj3EESA_,"axG",@progbits,_ZL13mul_mat_f_idsI7__half2Li64ELi4ELi7EEvPKT_PKfPKiS7_S7_Pfiiiiiiiiiiiiii15HIP_vector_typeIjLj3EESA_,comdat
	.globl	_ZL13mul_mat_f_idsI7__half2Li64ELi4ELi7EEvPKT_PKfPKiS7_S7_Pfiiiiiiiiiiiiii15HIP_vector_typeIjLj3EESA_ ; -- Begin function _ZL13mul_mat_f_idsI7__half2Li64ELi4ELi7EEvPKT_PKfPKiS7_S7_Pfiiiiiiiiiiiiii15HIP_vector_typeIjLj3EESA_
	.p2align	8
	.type	_ZL13mul_mat_f_idsI7__half2Li64ELi4ELi7EEvPKT_PKfPKiS7_S7_Pfiiiiiiiiiiiiii15HIP_vector_typeIjLj3EESA_,@function
_ZL13mul_mat_f_idsI7__half2Li64ELi4ELi7EEvPKT_PKfPKiS7_S7_Pfiiiiiiiiiiiiii15HIP_vector_typeIjLj3EESA_: ; @_ZL13mul_mat_f_idsI7__half2Li64ELi4ELi7EEvPKT_PKfPKiS7_S7_Pfiiiiiiiiiiiiii15HIP_vector_typeIjLj3EESA_
; %bb.0:
	s_getpc_b64 s[2:3]
	s_sext_i32_i16 s3, s3
	s_add_co_u32 s2, s2, __FUNCTION__._ZL13mul_mat_f_idsIfLi32ELi4ELi1EEvPKT_PKfPKiS6_S6_Pfiiiiiiiiiiiiii15HIP_vector_typeIjLj3EES9_@rel32@lo+8
	s_add_co_ci_u32 s3, s3, __FUNCTION__._ZL13mul_mat_f_idsIfLi32ELi4ELi1EEvPKT_PKfPKiS6_S6_Pfiiiiiiiiiiiiii15HIP_vector_typeIjLj3EES9_@rel32@hi+16
	v_dual_mov_b32 v0, 0x136 :: v_dual_mov_b32 v1, s2
	v_mov_b32_e32 v2, s3
	s_add_nc_u64 s[8:9], s[0:1], 0x80
	s_getpc_b64 s[0:1]
	s_sext_i32_i16 s1, s1
	s_add_co_u32 s0, s0, _ZL14no_device_codePKciS0_iS0_@rel32@lo+8
	s_add_co_ci_u32 s1, s1, _ZL14no_device_codePKciS0_iS0_@rel32@hi+16
	s_mov_b32 s32, 0
	s_swappc_b64 s[30:31], s[0:1]
	.section	.rodata,"a",@progbits
	.p2align	6, 0x0
	.amdhsa_kernel _ZL13mul_mat_f_idsI7__half2Li64ELi4ELi7EEvPKT_PKfPKiS7_S7_Pfiiiiiiiiiiiiii15HIP_vector_typeIjLj3EESA_
		.amdhsa_group_segment_fixed_size 0
		.amdhsa_private_segment_fixed_size 16
		.amdhsa_kernarg_size 384
		.amdhsa_user_sgpr_count 2
		.amdhsa_user_sgpr_dispatch_ptr 0
		.amdhsa_user_sgpr_queue_ptr 0
		.amdhsa_user_sgpr_kernarg_segment_ptr 1
		.amdhsa_user_sgpr_dispatch_id 0
		.amdhsa_user_sgpr_private_segment_size 0
		.amdhsa_wavefront_size32 1
		.amdhsa_uses_dynamic_stack 0
		.amdhsa_enable_private_segment 1
		.amdhsa_system_sgpr_workgroup_id_x 1
		.amdhsa_system_sgpr_workgroup_id_y 0
		.amdhsa_system_sgpr_workgroup_id_z 0
		.amdhsa_system_sgpr_workgroup_info 0
		.amdhsa_system_vgpr_workitem_id 0
		.amdhsa_next_free_vgpr 38
		.amdhsa_next_free_sgpr 34
		.amdhsa_reserve_vcc 1
		.amdhsa_float_round_mode_32 0
		.amdhsa_float_round_mode_16_64 0
		.amdhsa_float_denorm_mode_32 3
		.amdhsa_float_denorm_mode_16_64 3
		.amdhsa_fp16_overflow 0
		.amdhsa_workgroup_processor_mode 1
		.amdhsa_memory_ordered 1
		.amdhsa_forward_progress 1
		.amdhsa_inst_pref_size 1
		.amdhsa_round_robin_scheduling 0
		.amdhsa_exception_fp_ieee_invalid_op 0
		.amdhsa_exception_fp_denorm_src 0
		.amdhsa_exception_fp_ieee_div_zero 0
		.amdhsa_exception_fp_ieee_overflow 0
		.amdhsa_exception_fp_ieee_underflow 0
		.amdhsa_exception_fp_ieee_inexact 0
		.amdhsa_exception_int_div_zero 0
	.end_amdhsa_kernel
	.section	.text._ZL13mul_mat_f_idsI7__half2Li64ELi4ELi7EEvPKT_PKfPKiS7_S7_Pfiiiiiiiiiiiiii15HIP_vector_typeIjLj3EESA_,"axG",@progbits,_ZL13mul_mat_f_idsI7__half2Li64ELi4ELi7EEvPKT_PKfPKiS7_S7_Pfiiiiiiiiiiiiii15HIP_vector_typeIjLj3EESA_,comdat
.Lfunc_end117:
	.size	_ZL13mul_mat_f_idsI7__half2Li64ELi4ELi7EEvPKT_PKfPKiS7_S7_Pfiiiiiiiiiiiiii15HIP_vector_typeIjLj3EESA_, .Lfunc_end117-_ZL13mul_mat_f_idsI7__half2Li64ELi4ELi7EEvPKT_PKfPKiS7_S7_Pfiiiiiiiiiiiiii15HIP_vector_typeIjLj3EESA_
                                        ; -- End function
	.set _ZL13mul_mat_f_idsI7__half2Li64ELi4ELi7EEvPKT_PKfPKiS7_S7_Pfiiiiiiiiiiiiii15HIP_vector_typeIjLj3EESA_.num_vgpr, max(3, .L_ZL14no_device_codePKciS0_iS0_.num_vgpr)
	.set _ZL13mul_mat_f_idsI7__half2Li64ELi4ELi7EEvPKT_PKfPKiS7_S7_Pfiiiiiiiiiiiiii15HIP_vector_typeIjLj3EESA_.num_agpr, max(0, .L_ZL14no_device_codePKciS0_iS0_.num_agpr)
	.set _ZL13mul_mat_f_idsI7__half2Li64ELi4ELi7EEvPKT_PKfPKiS7_S7_Pfiiiiiiiiiiiiii15HIP_vector_typeIjLj3EESA_.numbered_sgpr, max(33, .L_ZL14no_device_codePKciS0_iS0_.numbered_sgpr)
	.set _ZL13mul_mat_f_idsI7__half2Li64ELi4ELi7EEvPKT_PKfPKiS7_S7_Pfiiiiiiiiiiiiii15HIP_vector_typeIjLj3EESA_.num_named_barrier, max(0, .L_ZL14no_device_codePKciS0_iS0_.num_named_barrier)
	.set _ZL13mul_mat_f_idsI7__half2Li64ELi4ELi7EEvPKT_PKfPKiS7_S7_Pfiiiiiiiiiiiiii15HIP_vector_typeIjLj3EESA_.private_seg_size, 0+max(.L_ZL14no_device_codePKciS0_iS0_.private_seg_size)
	.set _ZL13mul_mat_f_idsI7__half2Li64ELi4ELi7EEvPKT_PKfPKiS7_S7_Pfiiiiiiiiiiiiii15HIP_vector_typeIjLj3EESA_.uses_vcc, or(1, .L_ZL14no_device_codePKciS0_iS0_.uses_vcc)
	.set _ZL13mul_mat_f_idsI7__half2Li64ELi4ELi7EEvPKT_PKfPKiS7_S7_Pfiiiiiiiiiiiiii15HIP_vector_typeIjLj3EESA_.uses_flat_scratch, or(0, .L_ZL14no_device_codePKciS0_iS0_.uses_flat_scratch)
	.set _ZL13mul_mat_f_idsI7__half2Li64ELi4ELi7EEvPKT_PKfPKiS7_S7_Pfiiiiiiiiiiiiii15HIP_vector_typeIjLj3EESA_.has_dyn_sized_stack, or(0, .L_ZL14no_device_codePKciS0_iS0_.has_dyn_sized_stack)
	.set _ZL13mul_mat_f_idsI7__half2Li64ELi4ELi7EEvPKT_PKfPKiS7_S7_Pfiiiiiiiiiiiiii15HIP_vector_typeIjLj3EESA_.has_recursion, or(0, .L_ZL14no_device_codePKciS0_iS0_.has_recursion)
	.set _ZL13mul_mat_f_idsI7__half2Li64ELi4ELi7EEvPKT_PKfPKiS7_S7_Pfiiiiiiiiiiiiii15HIP_vector_typeIjLj3EESA_.has_indirect_call, or(0, .L_ZL14no_device_codePKciS0_iS0_.has_indirect_call)
	.section	.AMDGPU.csdata,"",@progbits
; Kernel info:
; codeLenInByte = 80
; TotalNumSgprs: 36
; NumVgprs: 38
; ScratchSize: 16
; MemoryBound: 0
; FloatMode: 240
; IeeeMode: 1
; LDSByteSize: 0 bytes/workgroup (compile time only)
; SGPRBlocks: 0
; VGPRBlocks: 4
; NumSGPRsForWavesPerEU: 36
; NumVGPRsForWavesPerEU: 38
; Occupancy: 16
; WaveLimiterHint : 1
; COMPUTE_PGM_RSRC2:SCRATCH_EN: 1
; COMPUTE_PGM_RSRC2:USER_SGPR: 2
; COMPUTE_PGM_RSRC2:TRAP_HANDLER: 0
; COMPUTE_PGM_RSRC2:TGID_X_EN: 1
; COMPUTE_PGM_RSRC2:TGID_Y_EN: 0
; COMPUTE_PGM_RSRC2:TGID_Z_EN: 0
; COMPUTE_PGM_RSRC2:TIDIG_COMP_CNT: 0
	.section	.text._ZL9mul_mat_fI7__half2Li64ELi4ELi7ELb1EEvPKT_PKfPKiPfiiiiiiiiiiiiiiii,"axG",@progbits,_ZL9mul_mat_fI7__half2Li64ELi4ELi7ELb1EEvPKT_PKfPKiPfiiiiiiiiiiiiiiii,comdat
	.globl	_ZL9mul_mat_fI7__half2Li64ELi4ELi7ELb1EEvPKT_PKfPKiPfiiiiiiiiiiiiiiii ; -- Begin function _ZL9mul_mat_fI7__half2Li64ELi4ELi7ELb1EEvPKT_PKfPKiPfiiiiiiiiiiiiiiii
	.p2align	8
	.type	_ZL9mul_mat_fI7__half2Li64ELi4ELi7ELb1EEvPKT_PKfPKiPfiiiiiiiiiiiiiiii,@function
_ZL9mul_mat_fI7__half2Li64ELi4ELi7ELb1EEvPKT_PKfPKiPfiiiiiiiiiiiiiiii: ; @_ZL9mul_mat_fI7__half2Li64ELi4ELi7ELb1EEvPKT_PKfPKiPfiiiiiiiiiiiiiiii
; %bb.0:
	s_getpc_b64 s[2:3]
	s_sext_i32_i16 s3, s3
	s_add_co_u32 s2, s2, __FUNCTION__._ZL9mul_mat_fIfLi32ELi4ELi1ELb1EEvPKT_PKfPKiPfiiiiiiiiiiiiiiii@rel32@lo+8
	s_add_co_ci_u32 s3, s3, __FUNCTION__._ZL9mul_mat_fIfLi32ELi4ELi1ELb1EEvPKT_PKfPKiPfiiiiiiiiiiiiiiii@rel32@hi+16
	v_dual_mov_b32 v0, 59 :: v_dual_mov_b32 v1, s2
	v_mov_b32_e32 v2, s3
	s_add_nc_u64 s[8:9], s[0:1], 0x60
	s_getpc_b64 s[0:1]
	s_sext_i32_i16 s1, s1
	s_add_co_u32 s0, s0, _ZL14no_device_codePKciS0_iS0_@rel32@lo+8
	s_add_co_ci_u32 s1, s1, _ZL14no_device_codePKciS0_iS0_@rel32@hi+16
	s_mov_b32 s32, 0
	s_swappc_b64 s[30:31], s[0:1]
	.section	.rodata,"a",@progbits
	.p2align	6, 0x0
	.amdhsa_kernel _ZL9mul_mat_fI7__half2Li64ELi4ELi7ELb1EEvPKT_PKfPKiPfiiiiiiiiiiiiiiii
		.amdhsa_group_segment_fixed_size 0
		.amdhsa_private_segment_fixed_size 16
		.amdhsa_kernarg_size 352
		.amdhsa_user_sgpr_count 2
		.amdhsa_user_sgpr_dispatch_ptr 0
		.amdhsa_user_sgpr_queue_ptr 0
		.amdhsa_user_sgpr_kernarg_segment_ptr 1
		.amdhsa_user_sgpr_dispatch_id 0
		.amdhsa_user_sgpr_private_segment_size 0
		.amdhsa_wavefront_size32 1
		.amdhsa_uses_dynamic_stack 0
		.amdhsa_enable_private_segment 1
		.amdhsa_system_sgpr_workgroup_id_x 1
		.amdhsa_system_sgpr_workgroup_id_y 0
		.amdhsa_system_sgpr_workgroup_id_z 0
		.amdhsa_system_sgpr_workgroup_info 0
		.amdhsa_system_vgpr_workitem_id 0
		.amdhsa_next_free_vgpr 38
		.amdhsa_next_free_sgpr 34
		.amdhsa_reserve_vcc 1
		.amdhsa_float_round_mode_32 0
		.amdhsa_float_round_mode_16_64 0
		.amdhsa_float_denorm_mode_32 3
		.amdhsa_float_denorm_mode_16_64 3
		.amdhsa_fp16_overflow 0
		.amdhsa_workgroup_processor_mode 1
		.amdhsa_memory_ordered 1
		.amdhsa_forward_progress 1
		.amdhsa_inst_pref_size 1
		.amdhsa_round_robin_scheduling 0
		.amdhsa_exception_fp_ieee_invalid_op 0
		.amdhsa_exception_fp_denorm_src 0
		.amdhsa_exception_fp_ieee_div_zero 0
		.amdhsa_exception_fp_ieee_overflow 0
		.amdhsa_exception_fp_ieee_underflow 0
		.amdhsa_exception_fp_ieee_inexact 0
		.amdhsa_exception_int_div_zero 0
	.end_amdhsa_kernel
	.section	.text._ZL9mul_mat_fI7__half2Li64ELi4ELi7ELb1EEvPKT_PKfPKiPfiiiiiiiiiiiiiiii,"axG",@progbits,_ZL9mul_mat_fI7__half2Li64ELi4ELi7ELb1EEvPKT_PKfPKiPfiiiiiiiiiiiiiiii,comdat
.Lfunc_end118:
	.size	_ZL9mul_mat_fI7__half2Li64ELi4ELi7ELb1EEvPKT_PKfPKiPfiiiiiiiiiiiiiiii, .Lfunc_end118-_ZL9mul_mat_fI7__half2Li64ELi4ELi7ELb1EEvPKT_PKfPKiPfiiiiiiiiiiiiiiii
                                        ; -- End function
	.set _ZL9mul_mat_fI7__half2Li64ELi4ELi7ELb1EEvPKT_PKfPKiPfiiiiiiiiiiiiiiii.num_vgpr, max(3, .L_ZL14no_device_codePKciS0_iS0_.num_vgpr)
	.set _ZL9mul_mat_fI7__half2Li64ELi4ELi7ELb1EEvPKT_PKfPKiPfiiiiiiiiiiiiiiii.num_agpr, max(0, .L_ZL14no_device_codePKciS0_iS0_.num_agpr)
	.set _ZL9mul_mat_fI7__half2Li64ELi4ELi7ELb1EEvPKT_PKfPKiPfiiiiiiiiiiiiiiii.numbered_sgpr, max(33, .L_ZL14no_device_codePKciS0_iS0_.numbered_sgpr)
	.set _ZL9mul_mat_fI7__half2Li64ELi4ELi7ELb1EEvPKT_PKfPKiPfiiiiiiiiiiiiiiii.num_named_barrier, max(0, .L_ZL14no_device_codePKciS0_iS0_.num_named_barrier)
	.set _ZL9mul_mat_fI7__half2Li64ELi4ELi7ELb1EEvPKT_PKfPKiPfiiiiiiiiiiiiiiii.private_seg_size, 0+max(.L_ZL14no_device_codePKciS0_iS0_.private_seg_size)
	.set _ZL9mul_mat_fI7__half2Li64ELi4ELi7ELb1EEvPKT_PKfPKiPfiiiiiiiiiiiiiiii.uses_vcc, or(1, .L_ZL14no_device_codePKciS0_iS0_.uses_vcc)
	.set _ZL9mul_mat_fI7__half2Li64ELi4ELi7ELb1EEvPKT_PKfPKiPfiiiiiiiiiiiiiiii.uses_flat_scratch, or(0, .L_ZL14no_device_codePKciS0_iS0_.uses_flat_scratch)
	.set _ZL9mul_mat_fI7__half2Li64ELi4ELi7ELb1EEvPKT_PKfPKiPfiiiiiiiiiiiiiiii.has_dyn_sized_stack, or(0, .L_ZL14no_device_codePKciS0_iS0_.has_dyn_sized_stack)
	.set _ZL9mul_mat_fI7__half2Li64ELi4ELi7ELb1EEvPKT_PKfPKiPfiiiiiiiiiiiiiiii.has_recursion, or(0, .L_ZL14no_device_codePKciS0_iS0_.has_recursion)
	.set _ZL9mul_mat_fI7__half2Li64ELi4ELi7ELb1EEvPKT_PKfPKiPfiiiiiiiiiiiiiiii.has_indirect_call, or(0, .L_ZL14no_device_codePKciS0_iS0_.has_indirect_call)
	.section	.AMDGPU.csdata,"",@progbits
; Kernel info:
; codeLenInByte = 76
; TotalNumSgprs: 36
; NumVgprs: 38
; ScratchSize: 16
; MemoryBound: 0
; FloatMode: 240
; IeeeMode: 1
; LDSByteSize: 0 bytes/workgroup (compile time only)
; SGPRBlocks: 0
; VGPRBlocks: 4
; NumSGPRsForWavesPerEU: 36
; NumVGPRsForWavesPerEU: 38
; Occupancy: 16
; WaveLimiterHint : 1
; COMPUTE_PGM_RSRC2:SCRATCH_EN: 1
; COMPUTE_PGM_RSRC2:USER_SGPR: 2
; COMPUTE_PGM_RSRC2:TRAP_HANDLER: 0
; COMPUTE_PGM_RSRC2:TGID_X_EN: 1
; COMPUTE_PGM_RSRC2:TGID_Y_EN: 0
; COMPUTE_PGM_RSRC2:TGID_Z_EN: 0
; COMPUTE_PGM_RSRC2:TIDIG_COMP_CNT: 0
	.section	.text._ZL9mul_mat_fI7__half2Li64ELi4ELi7ELb0EEvPKT_PKfPKiPfiiiiiiiiiiiiiiii,"axG",@progbits,_ZL9mul_mat_fI7__half2Li64ELi4ELi7ELb0EEvPKT_PKfPKiPfiiiiiiiiiiiiiiii,comdat
	.globl	_ZL9mul_mat_fI7__half2Li64ELi4ELi7ELb0EEvPKT_PKfPKiPfiiiiiiiiiiiiiiii ; -- Begin function _ZL9mul_mat_fI7__half2Li64ELi4ELi7ELb0EEvPKT_PKfPKiPfiiiiiiiiiiiiiiii
	.p2align	8
	.type	_ZL9mul_mat_fI7__half2Li64ELi4ELi7ELb0EEvPKT_PKfPKiPfiiiiiiiiiiiiiiii,@function
_ZL9mul_mat_fI7__half2Li64ELi4ELi7ELb0EEvPKT_PKfPKiPfiiiiiiiiiiiiiiii: ; @_ZL9mul_mat_fI7__half2Li64ELi4ELi7ELb0EEvPKT_PKfPKiPfiiiiiiiiiiiiiiii
; %bb.0:
	s_getpc_b64 s[2:3]
	s_sext_i32_i16 s3, s3
	s_add_co_u32 s2, s2, __FUNCTION__._ZL9mul_mat_fIfLi32ELi4ELi1ELb1EEvPKT_PKfPKiPfiiiiiiiiiiiiiiii@rel32@lo+8
	s_add_co_ci_u32 s3, s3, __FUNCTION__._ZL9mul_mat_fIfLi32ELi4ELi1ELb1EEvPKT_PKfPKiPfiiiiiiiiiiiiiiii@rel32@hi+16
	v_dual_mov_b32 v0, 59 :: v_dual_mov_b32 v1, s2
	v_mov_b32_e32 v2, s3
	s_add_nc_u64 s[8:9], s[0:1], 0x60
	s_getpc_b64 s[0:1]
	s_sext_i32_i16 s1, s1
	s_add_co_u32 s0, s0, _ZL14no_device_codePKciS0_iS0_@rel32@lo+8
	s_add_co_ci_u32 s1, s1, _ZL14no_device_codePKciS0_iS0_@rel32@hi+16
	s_mov_b32 s32, 0
	s_swappc_b64 s[30:31], s[0:1]
	.section	.rodata,"a",@progbits
	.p2align	6, 0x0
	.amdhsa_kernel _ZL9mul_mat_fI7__half2Li64ELi4ELi7ELb0EEvPKT_PKfPKiPfiiiiiiiiiiiiiiii
		.amdhsa_group_segment_fixed_size 0
		.amdhsa_private_segment_fixed_size 16
		.amdhsa_kernarg_size 352
		.amdhsa_user_sgpr_count 2
		.amdhsa_user_sgpr_dispatch_ptr 0
		.amdhsa_user_sgpr_queue_ptr 0
		.amdhsa_user_sgpr_kernarg_segment_ptr 1
		.amdhsa_user_sgpr_dispatch_id 0
		.amdhsa_user_sgpr_private_segment_size 0
		.amdhsa_wavefront_size32 1
		.amdhsa_uses_dynamic_stack 0
		.amdhsa_enable_private_segment 1
		.amdhsa_system_sgpr_workgroup_id_x 1
		.amdhsa_system_sgpr_workgroup_id_y 0
		.amdhsa_system_sgpr_workgroup_id_z 0
		.amdhsa_system_sgpr_workgroup_info 0
		.amdhsa_system_vgpr_workitem_id 0
		.amdhsa_next_free_vgpr 38
		.amdhsa_next_free_sgpr 34
		.amdhsa_reserve_vcc 1
		.amdhsa_float_round_mode_32 0
		.amdhsa_float_round_mode_16_64 0
		.amdhsa_float_denorm_mode_32 3
		.amdhsa_float_denorm_mode_16_64 3
		.amdhsa_fp16_overflow 0
		.amdhsa_workgroup_processor_mode 1
		.amdhsa_memory_ordered 1
		.amdhsa_forward_progress 1
		.amdhsa_inst_pref_size 1
		.amdhsa_round_robin_scheduling 0
		.amdhsa_exception_fp_ieee_invalid_op 0
		.amdhsa_exception_fp_denorm_src 0
		.amdhsa_exception_fp_ieee_div_zero 0
		.amdhsa_exception_fp_ieee_overflow 0
		.amdhsa_exception_fp_ieee_underflow 0
		.amdhsa_exception_fp_ieee_inexact 0
		.amdhsa_exception_int_div_zero 0
	.end_amdhsa_kernel
	.section	.text._ZL9mul_mat_fI7__half2Li64ELi4ELi7ELb0EEvPKT_PKfPKiPfiiiiiiiiiiiiiiii,"axG",@progbits,_ZL9mul_mat_fI7__half2Li64ELi4ELi7ELb0EEvPKT_PKfPKiPfiiiiiiiiiiiiiiii,comdat
.Lfunc_end119:
	.size	_ZL9mul_mat_fI7__half2Li64ELi4ELi7ELb0EEvPKT_PKfPKiPfiiiiiiiiiiiiiiii, .Lfunc_end119-_ZL9mul_mat_fI7__half2Li64ELi4ELi7ELb0EEvPKT_PKfPKiPfiiiiiiiiiiiiiiii
                                        ; -- End function
	.set _ZL9mul_mat_fI7__half2Li64ELi4ELi7ELb0EEvPKT_PKfPKiPfiiiiiiiiiiiiiiii.num_vgpr, max(3, .L_ZL14no_device_codePKciS0_iS0_.num_vgpr)
	.set _ZL9mul_mat_fI7__half2Li64ELi4ELi7ELb0EEvPKT_PKfPKiPfiiiiiiiiiiiiiiii.num_agpr, max(0, .L_ZL14no_device_codePKciS0_iS0_.num_agpr)
	.set _ZL9mul_mat_fI7__half2Li64ELi4ELi7ELb0EEvPKT_PKfPKiPfiiiiiiiiiiiiiiii.numbered_sgpr, max(33, .L_ZL14no_device_codePKciS0_iS0_.numbered_sgpr)
	.set _ZL9mul_mat_fI7__half2Li64ELi4ELi7ELb0EEvPKT_PKfPKiPfiiiiiiiiiiiiiiii.num_named_barrier, max(0, .L_ZL14no_device_codePKciS0_iS0_.num_named_barrier)
	.set _ZL9mul_mat_fI7__half2Li64ELi4ELi7ELb0EEvPKT_PKfPKiPfiiiiiiiiiiiiiiii.private_seg_size, 0+max(.L_ZL14no_device_codePKciS0_iS0_.private_seg_size)
	.set _ZL9mul_mat_fI7__half2Li64ELi4ELi7ELb0EEvPKT_PKfPKiPfiiiiiiiiiiiiiiii.uses_vcc, or(1, .L_ZL14no_device_codePKciS0_iS0_.uses_vcc)
	.set _ZL9mul_mat_fI7__half2Li64ELi4ELi7ELb0EEvPKT_PKfPKiPfiiiiiiiiiiiiiiii.uses_flat_scratch, or(0, .L_ZL14no_device_codePKciS0_iS0_.uses_flat_scratch)
	.set _ZL9mul_mat_fI7__half2Li64ELi4ELi7ELb0EEvPKT_PKfPKiPfiiiiiiiiiiiiiiii.has_dyn_sized_stack, or(0, .L_ZL14no_device_codePKciS0_iS0_.has_dyn_sized_stack)
	.set _ZL9mul_mat_fI7__half2Li64ELi4ELi7ELb0EEvPKT_PKfPKiPfiiiiiiiiiiiiiiii.has_recursion, or(0, .L_ZL14no_device_codePKciS0_iS0_.has_recursion)
	.set _ZL9mul_mat_fI7__half2Li64ELi4ELi7ELb0EEvPKT_PKfPKiPfiiiiiiiiiiiiiiii.has_indirect_call, or(0, .L_ZL14no_device_codePKciS0_iS0_.has_indirect_call)
	.section	.AMDGPU.csdata,"",@progbits
; Kernel info:
; codeLenInByte = 76
; TotalNumSgprs: 36
; NumVgprs: 38
; ScratchSize: 16
; MemoryBound: 0
; FloatMode: 240
; IeeeMode: 1
; LDSByteSize: 0 bytes/workgroup (compile time only)
; SGPRBlocks: 0
; VGPRBlocks: 4
; NumSGPRsForWavesPerEU: 36
; NumVGPRsForWavesPerEU: 38
; Occupancy: 16
; WaveLimiterHint : 1
; COMPUTE_PGM_RSRC2:SCRATCH_EN: 1
; COMPUTE_PGM_RSRC2:USER_SGPR: 2
; COMPUTE_PGM_RSRC2:TRAP_HANDLER: 0
; COMPUTE_PGM_RSRC2:TGID_X_EN: 1
; COMPUTE_PGM_RSRC2:TGID_Y_EN: 0
; COMPUTE_PGM_RSRC2:TGID_Z_EN: 0
; COMPUTE_PGM_RSRC2:TIDIG_COMP_CNT: 0
	.section	.text._ZL13mul_mat_f_idsI7__half2Li64ELi4ELi8EEvPKT_PKfPKiS7_S7_Pfiiiiiiiiiiiiii15HIP_vector_typeIjLj3EESA_,"axG",@progbits,_ZL13mul_mat_f_idsI7__half2Li64ELi4ELi8EEvPKT_PKfPKiS7_S7_Pfiiiiiiiiiiiiii15HIP_vector_typeIjLj3EESA_,comdat
	.globl	_ZL13mul_mat_f_idsI7__half2Li64ELi4ELi8EEvPKT_PKfPKiS7_S7_Pfiiiiiiiiiiiiii15HIP_vector_typeIjLj3EESA_ ; -- Begin function _ZL13mul_mat_f_idsI7__half2Li64ELi4ELi8EEvPKT_PKfPKiS7_S7_Pfiiiiiiiiiiiiii15HIP_vector_typeIjLj3EESA_
	.p2align	8
	.type	_ZL13mul_mat_f_idsI7__half2Li64ELi4ELi8EEvPKT_PKfPKiS7_S7_Pfiiiiiiiiiiiiii15HIP_vector_typeIjLj3EESA_,@function
_ZL13mul_mat_f_idsI7__half2Li64ELi4ELi8EEvPKT_PKfPKiS7_S7_Pfiiiiiiiiiiiiii15HIP_vector_typeIjLj3EESA_: ; @_ZL13mul_mat_f_idsI7__half2Li64ELi4ELi8EEvPKT_PKfPKiS7_S7_Pfiiiiiiiiiiiiii15HIP_vector_typeIjLj3EESA_
; %bb.0:
	s_getpc_b64 s[2:3]
	s_sext_i32_i16 s3, s3
	s_add_co_u32 s2, s2, __FUNCTION__._ZL13mul_mat_f_idsIfLi32ELi4ELi1EEvPKT_PKfPKiS6_S6_Pfiiiiiiiiiiiiii15HIP_vector_typeIjLj3EES9_@rel32@lo+8
	s_add_co_ci_u32 s3, s3, __FUNCTION__._ZL13mul_mat_f_idsIfLi32ELi4ELi1EEvPKT_PKfPKiS6_S6_Pfiiiiiiiiiiiiii15HIP_vector_typeIjLj3EES9_@rel32@hi+16
	v_dual_mov_b32 v0, 0x136 :: v_dual_mov_b32 v1, s2
	v_mov_b32_e32 v2, s3
	s_add_nc_u64 s[8:9], s[0:1], 0x80
	s_getpc_b64 s[0:1]
	s_sext_i32_i16 s1, s1
	s_add_co_u32 s0, s0, _ZL14no_device_codePKciS0_iS0_@rel32@lo+8
	s_add_co_ci_u32 s1, s1, _ZL14no_device_codePKciS0_iS0_@rel32@hi+16
	s_mov_b32 s32, 0
	s_swappc_b64 s[30:31], s[0:1]
	.section	.rodata,"a",@progbits
	.p2align	6, 0x0
	.amdhsa_kernel _ZL13mul_mat_f_idsI7__half2Li64ELi4ELi8EEvPKT_PKfPKiS7_S7_Pfiiiiiiiiiiiiii15HIP_vector_typeIjLj3EESA_
		.amdhsa_group_segment_fixed_size 0
		.amdhsa_private_segment_fixed_size 16
		.amdhsa_kernarg_size 384
		.amdhsa_user_sgpr_count 2
		.amdhsa_user_sgpr_dispatch_ptr 0
		.amdhsa_user_sgpr_queue_ptr 0
		.amdhsa_user_sgpr_kernarg_segment_ptr 1
		.amdhsa_user_sgpr_dispatch_id 0
		.amdhsa_user_sgpr_private_segment_size 0
		.amdhsa_wavefront_size32 1
		.amdhsa_uses_dynamic_stack 0
		.amdhsa_enable_private_segment 1
		.amdhsa_system_sgpr_workgroup_id_x 1
		.amdhsa_system_sgpr_workgroup_id_y 0
		.amdhsa_system_sgpr_workgroup_id_z 0
		.amdhsa_system_sgpr_workgroup_info 0
		.amdhsa_system_vgpr_workitem_id 0
		.amdhsa_next_free_vgpr 38
		.amdhsa_next_free_sgpr 34
		.amdhsa_reserve_vcc 1
		.amdhsa_float_round_mode_32 0
		.amdhsa_float_round_mode_16_64 0
		.amdhsa_float_denorm_mode_32 3
		.amdhsa_float_denorm_mode_16_64 3
		.amdhsa_fp16_overflow 0
		.amdhsa_workgroup_processor_mode 1
		.amdhsa_memory_ordered 1
		.amdhsa_forward_progress 1
		.amdhsa_inst_pref_size 1
		.amdhsa_round_robin_scheduling 0
		.amdhsa_exception_fp_ieee_invalid_op 0
		.amdhsa_exception_fp_denorm_src 0
		.amdhsa_exception_fp_ieee_div_zero 0
		.amdhsa_exception_fp_ieee_overflow 0
		.amdhsa_exception_fp_ieee_underflow 0
		.amdhsa_exception_fp_ieee_inexact 0
		.amdhsa_exception_int_div_zero 0
	.end_amdhsa_kernel
	.section	.text._ZL13mul_mat_f_idsI7__half2Li64ELi4ELi8EEvPKT_PKfPKiS7_S7_Pfiiiiiiiiiiiiii15HIP_vector_typeIjLj3EESA_,"axG",@progbits,_ZL13mul_mat_f_idsI7__half2Li64ELi4ELi8EEvPKT_PKfPKiS7_S7_Pfiiiiiiiiiiiiii15HIP_vector_typeIjLj3EESA_,comdat
.Lfunc_end120:
	.size	_ZL13mul_mat_f_idsI7__half2Li64ELi4ELi8EEvPKT_PKfPKiS7_S7_Pfiiiiiiiiiiiiii15HIP_vector_typeIjLj3EESA_, .Lfunc_end120-_ZL13mul_mat_f_idsI7__half2Li64ELi4ELi8EEvPKT_PKfPKiS7_S7_Pfiiiiiiiiiiiiii15HIP_vector_typeIjLj3EESA_
                                        ; -- End function
	.set _ZL13mul_mat_f_idsI7__half2Li64ELi4ELi8EEvPKT_PKfPKiS7_S7_Pfiiiiiiiiiiiiii15HIP_vector_typeIjLj3EESA_.num_vgpr, max(3, .L_ZL14no_device_codePKciS0_iS0_.num_vgpr)
	.set _ZL13mul_mat_f_idsI7__half2Li64ELi4ELi8EEvPKT_PKfPKiS7_S7_Pfiiiiiiiiiiiiii15HIP_vector_typeIjLj3EESA_.num_agpr, max(0, .L_ZL14no_device_codePKciS0_iS0_.num_agpr)
	.set _ZL13mul_mat_f_idsI7__half2Li64ELi4ELi8EEvPKT_PKfPKiS7_S7_Pfiiiiiiiiiiiiii15HIP_vector_typeIjLj3EESA_.numbered_sgpr, max(33, .L_ZL14no_device_codePKciS0_iS0_.numbered_sgpr)
	.set _ZL13mul_mat_f_idsI7__half2Li64ELi4ELi8EEvPKT_PKfPKiS7_S7_Pfiiiiiiiiiiiiii15HIP_vector_typeIjLj3EESA_.num_named_barrier, max(0, .L_ZL14no_device_codePKciS0_iS0_.num_named_barrier)
	.set _ZL13mul_mat_f_idsI7__half2Li64ELi4ELi8EEvPKT_PKfPKiS7_S7_Pfiiiiiiiiiiiiii15HIP_vector_typeIjLj3EESA_.private_seg_size, 0+max(.L_ZL14no_device_codePKciS0_iS0_.private_seg_size)
	.set _ZL13mul_mat_f_idsI7__half2Li64ELi4ELi8EEvPKT_PKfPKiS7_S7_Pfiiiiiiiiiiiiii15HIP_vector_typeIjLj3EESA_.uses_vcc, or(1, .L_ZL14no_device_codePKciS0_iS0_.uses_vcc)
	.set _ZL13mul_mat_f_idsI7__half2Li64ELi4ELi8EEvPKT_PKfPKiS7_S7_Pfiiiiiiiiiiiiii15HIP_vector_typeIjLj3EESA_.uses_flat_scratch, or(0, .L_ZL14no_device_codePKciS0_iS0_.uses_flat_scratch)
	.set _ZL13mul_mat_f_idsI7__half2Li64ELi4ELi8EEvPKT_PKfPKiS7_S7_Pfiiiiiiiiiiiiii15HIP_vector_typeIjLj3EESA_.has_dyn_sized_stack, or(0, .L_ZL14no_device_codePKciS0_iS0_.has_dyn_sized_stack)
	.set _ZL13mul_mat_f_idsI7__half2Li64ELi4ELi8EEvPKT_PKfPKiS7_S7_Pfiiiiiiiiiiiiii15HIP_vector_typeIjLj3EESA_.has_recursion, or(0, .L_ZL14no_device_codePKciS0_iS0_.has_recursion)
	.set _ZL13mul_mat_f_idsI7__half2Li64ELi4ELi8EEvPKT_PKfPKiS7_S7_Pfiiiiiiiiiiiiii15HIP_vector_typeIjLj3EESA_.has_indirect_call, or(0, .L_ZL14no_device_codePKciS0_iS0_.has_indirect_call)
	.section	.AMDGPU.csdata,"",@progbits
; Kernel info:
; codeLenInByte = 80
; TotalNumSgprs: 36
; NumVgprs: 38
; ScratchSize: 16
; MemoryBound: 0
; FloatMode: 240
; IeeeMode: 1
; LDSByteSize: 0 bytes/workgroup (compile time only)
; SGPRBlocks: 0
; VGPRBlocks: 4
; NumSGPRsForWavesPerEU: 36
; NumVGPRsForWavesPerEU: 38
; Occupancy: 16
; WaveLimiterHint : 1
; COMPUTE_PGM_RSRC2:SCRATCH_EN: 1
; COMPUTE_PGM_RSRC2:USER_SGPR: 2
; COMPUTE_PGM_RSRC2:TRAP_HANDLER: 0
; COMPUTE_PGM_RSRC2:TGID_X_EN: 1
; COMPUTE_PGM_RSRC2:TGID_Y_EN: 0
; COMPUTE_PGM_RSRC2:TGID_Z_EN: 0
; COMPUTE_PGM_RSRC2:TIDIG_COMP_CNT: 0
	.section	.text._ZL9mul_mat_fI7__half2Li64ELi4ELi8ELb1EEvPKT_PKfPKiPfiiiiiiiiiiiiiiii,"axG",@progbits,_ZL9mul_mat_fI7__half2Li64ELi4ELi8ELb1EEvPKT_PKfPKiPfiiiiiiiiiiiiiiii,comdat
	.globl	_ZL9mul_mat_fI7__half2Li64ELi4ELi8ELb1EEvPKT_PKfPKiPfiiiiiiiiiiiiiiii ; -- Begin function _ZL9mul_mat_fI7__half2Li64ELi4ELi8ELb1EEvPKT_PKfPKiPfiiiiiiiiiiiiiiii
	.p2align	8
	.type	_ZL9mul_mat_fI7__half2Li64ELi4ELi8ELb1EEvPKT_PKfPKiPfiiiiiiiiiiiiiiii,@function
_ZL9mul_mat_fI7__half2Li64ELi4ELi8ELb1EEvPKT_PKfPKiPfiiiiiiiiiiiiiiii: ; @_ZL9mul_mat_fI7__half2Li64ELi4ELi8ELb1EEvPKT_PKfPKiPfiiiiiiiiiiiiiiii
; %bb.0:
	s_getpc_b64 s[2:3]
	s_sext_i32_i16 s3, s3
	s_add_co_u32 s2, s2, __FUNCTION__._ZL9mul_mat_fIfLi32ELi4ELi1ELb1EEvPKT_PKfPKiPfiiiiiiiiiiiiiiii@rel32@lo+8
	s_add_co_ci_u32 s3, s3, __FUNCTION__._ZL9mul_mat_fIfLi32ELi4ELi1ELb1EEvPKT_PKfPKiPfiiiiiiiiiiiiiiii@rel32@hi+16
	v_dual_mov_b32 v0, 59 :: v_dual_mov_b32 v1, s2
	v_mov_b32_e32 v2, s3
	s_add_nc_u64 s[8:9], s[0:1], 0x60
	s_getpc_b64 s[0:1]
	s_sext_i32_i16 s1, s1
	s_add_co_u32 s0, s0, _ZL14no_device_codePKciS0_iS0_@rel32@lo+8
	s_add_co_ci_u32 s1, s1, _ZL14no_device_codePKciS0_iS0_@rel32@hi+16
	s_mov_b32 s32, 0
	s_swappc_b64 s[30:31], s[0:1]
	.section	.rodata,"a",@progbits
	.p2align	6, 0x0
	.amdhsa_kernel _ZL9mul_mat_fI7__half2Li64ELi4ELi8ELb1EEvPKT_PKfPKiPfiiiiiiiiiiiiiiii
		.amdhsa_group_segment_fixed_size 0
		.amdhsa_private_segment_fixed_size 16
		.amdhsa_kernarg_size 352
		.amdhsa_user_sgpr_count 2
		.amdhsa_user_sgpr_dispatch_ptr 0
		.amdhsa_user_sgpr_queue_ptr 0
		.amdhsa_user_sgpr_kernarg_segment_ptr 1
		.amdhsa_user_sgpr_dispatch_id 0
		.amdhsa_user_sgpr_private_segment_size 0
		.amdhsa_wavefront_size32 1
		.amdhsa_uses_dynamic_stack 0
		.amdhsa_enable_private_segment 1
		.amdhsa_system_sgpr_workgroup_id_x 1
		.amdhsa_system_sgpr_workgroup_id_y 0
		.amdhsa_system_sgpr_workgroup_id_z 0
		.amdhsa_system_sgpr_workgroup_info 0
		.amdhsa_system_vgpr_workitem_id 0
		.amdhsa_next_free_vgpr 38
		.amdhsa_next_free_sgpr 34
		.amdhsa_reserve_vcc 1
		.amdhsa_float_round_mode_32 0
		.amdhsa_float_round_mode_16_64 0
		.amdhsa_float_denorm_mode_32 3
		.amdhsa_float_denorm_mode_16_64 3
		.amdhsa_fp16_overflow 0
		.amdhsa_workgroup_processor_mode 1
		.amdhsa_memory_ordered 1
		.amdhsa_forward_progress 1
		.amdhsa_inst_pref_size 1
		.amdhsa_round_robin_scheduling 0
		.amdhsa_exception_fp_ieee_invalid_op 0
		.amdhsa_exception_fp_denorm_src 0
		.amdhsa_exception_fp_ieee_div_zero 0
		.amdhsa_exception_fp_ieee_overflow 0
		.amdhsa_exception_fp_ieee_underflow 0
		.amdhsa_exception_fp_ieee_inexact 0
		.amdhsa_exception_int_div_zero 0
	.end_amdhsa_kernel
	.section	.text._ZL9mul_mat_fI7__half2Li64ELi4ELi8ELb1EEvPKT_PKfPKiPfiiiiiiiiiiiiiiii,"axG",@progbits,_ZL9mul_mat_fI7__half2Li64ELi4ELi8ELb1EEvPKT_PKfPKiPfiiiiiiiiiiiiiiii,comdat
.Lfunc_end121:
	.size	_ZL9mul_mat_fI7__half2Li64ELi4ELi8ELb1EEvPKT_PKfPKiPfiiiiiiiiiiiiiiii, .Lfunc_end121-_ZL9mul_mat_fI7__half2Li64ELi4ELi8ELb1EEvPKT_PKfPKiPfiiiiiiiiiiiiiiii
                                        ; -- End function
	.set _ZL9mul_mat_fI7__half2Li64ELi4ELi8ELb1EEvPKT_PKfPKiPfiiiiiiiiiiiiiiii.num_vgpr, max(3, .L_ZL14no_device_codePKciS0_iS0_.num_vgpr)
	.set _ZL9mul_mat_fI7__half2Li64ELi4ELi8ELb1EEvPKT_PKfPKiPfiiiiiiiiiiiiiiii.num_agpr, max(0, .L_ZL14no_device_codePKciS0_iS0_.num_agpr)
	.set _ZL9mul_mat_fI7__half2Li64ELi4ELi8ELb1EEvPKT_PKfPKiPfiiiiiiiiiiiiiiii.numbered_sgpr, max(33, .L_ZL14no_device_codePKciS0_iS0_.numbered_sgpr)
	.set _ZL9mul_mat_fI7__half2Li64ELi4ELi8ELb1EEvPKT_PKfPKiPfiiiiiiiiiiiiiiii.num_named_barrier, max(0, .L_ZL14no_device_codePKciS0_iS0_.num_named_barrier)
	.set _ZL9mul_mat_fI7__half2Li64ELi4ELi8ELb1EEvPKT_PKfPKiPfiiiiiiiiiiiiiiii.private_seg_size, 0+max(.L_ZL14no_device_codePKciS0_iS0_.private_seg_size)
	.set _ZL9mul_mat_fI7__half2Li64ELi4ELi8ELb1EEvPKT_PKfPKiPfiiiiiiiiiiiiiiii.uses_vcc, or(1, .L_ZL14no_device_codePKciS0_iS0_.uses_vcc)
	.set _ZL9mul_mat_fI7__half2Li64ELi4ELi8ELb1EEvPKT_PKfPKiPfiiiiiiiiiiiiiiii.uses_flat_scratch, or(0, .L_ZL14no_device_codePKciS0_iS0_.uses_flat_scratch)
	.set _ZL9mul_mat_fI7__half2Li64ELi4ELi8ELb1EEvPKT_PKfPKiPfiiiiiiiiiiiiiiii.has_dyn_sized_stack, or(0, .L_ZL14no_device_codePKciS0_iS0_.has_dyn_sized_stack)
	.set _ZL9mul_mat_fI7__half2Li64ELi4ELi8ELb1EEvPKT_PKfPKiPfiiiiiiiiiiiiiiii.has_recursion, or(0, .L_ZL14no_device_codePKciS0_iS0_.has_recursion)
	.set _ZL9mul_mat_fI7__half2Li64ELi4ELi8ELb1EEvPKT_PKfPKiPfiiiiiiiiiiiiiiii.has_indirect_call, or(0, .L_ZL14no_device_codePKciS0_iS0_.has_indirect_call)
	.section	.AMDGPU.csdata,"",@progbits
; Kernel info:
; codeLenInByte = 76
; TotalNumSgprs: 36
; NumVgprs: 38
; ScratchSize: 16
; MemoryBound: 0
; FloatMode: 240
; IeeeMode: 1
; LDSByteSize: 0 bytes/workgroup (compile time only)
; SGPRBlocks: 0
; VGPRBlocks: 4
; NumSGPRsForWavesPerEU: 36
; NumVGPRsForWavesPerEU: 38
; Occupancy: 16
; WaveLimiterHint : 1
; COMPUTE_PGM_RSRC2:SCRATCH_EN: 1
; COMPUTE_PGM_RSRC2:USER_SGPR: 2
; COMPUTE_PGM_RSRC2:TRAP_HANDLER: 0
; COMPUTE_PGM_RSRC2:TGID_X_EN: 1
; COMPUTE_PGM_RSRC2:TGID_Y_EN: 0
; COMPUTE_PGM_RSRC2:TGID_Z_EN: 0
; COMPUTE_PGM_RSRC2:TIDIG_COMP_CNT: 0
	.section	.text._ZL9mul_mat_fI7__half2Li64ELi4ELi8ELb0EEvPKT_PKfPKiPfiiiiiiiiiiiiiiii,"axG",@progbits,_ZL9mul_mat_fI7__half2Li64ELi4ELi8ELb0EEvPKT_PKfPKiPfiiiiiiiiiiiiiiii,comdat
	.globl	_ZL9mul_mat_fI7__half2Li64ELi4ELi8ELb0EEvPKT_PKfPKiPfiiiiiiiiiiiiiiii ; -- Begin function _ZL9mul_mat_fI7__half2Li64ELi4ELi8ELb0EEvPKT_PKfPKiPfiiiiiiiiiiiiiiii
	.p2align	8
	.type	_ZL9mul_mat_fI7__half2Li64ELi4ELi8ELb0EEvPKT_PKfPKiPfiiiiiiiiiiiiiiii,@function
_ZL9mul_mat_fI7__half2Li64ELi4ELi8ELb0EEvPKT_PKfPKiPfiiiiiiiiiiiiiiii: ; @_ZL9mul_mat_fI7__half2Li64ELi4ELi8ELb0EEvPKT_PKfPKiPfiiiiiiiiiiiiiiii
; %bb.0:
	s_getpc_b64 s[2:3]
	s_sext_i32_i16 s3, s3
	s_add_co_u32 s2, s2, __FUNCTION__._ZL9mul_mat_fIfLi32ELi4ELi1ELb1EEvPKT_PKfPKiPfiiiiiiiiiiiiiiii@rel32@lo+8
	s_add_co_ci_u32 s3, s3, __FUNCTION__._ZL9mul_mat_fIfLi32ELi4ELi1ELb1EEvPKT_PKfPKiPfiiiiiiiiiiiiiiii@rel32@hi+16
	v_dual_mov_b32 v0, 59 :: v_dual_mov_b32 v1, s2
	v_mov_b32_e32 v2, s3
	s_add_nc_u64 s[8:9], s[0:1], 0x60
	s_getpc_b64 s[0:1]
	s_sext_i32_i16 s1, s1
	s_add_co_u32 s0, s0, _ZL14no_device_codePKciS0_iS0_@rel32@lo+8
	s_add_co_ci_u32 s1, s1, _ZL14no_device_codePKciS0_iS0_@rel32@hi+16
	s_mov_b32 s32, 0
	s_swappc_b64 s[30:31], s[0:1]
	.section	.rodata,"a",@progbits
	.p2align	6, 0x0
	.amdhsa_kernel _ZL9mul_mat_fI7__half2Li64ELi4ELi8ELb0EEvPKT_PKfPKiPfiiiiiiiiiiiiiiii
		.amdhsa_group_segment_fixed_size 0
		.amdhsa_private_segment_fixed_size 16
		.amdhsa_kernarg_size 352
		.amdhsa_user_sgpr_count 2
		.amdhsa_user_sgpr_dispatch_ptr 0
		.amdhsa_user_sgpr_queue_ptr 0
		.amdhsa_user_sgpr_kernarg_segment_ptr 1
		.amdhsa_user_sgpr_dispatch_id 0
		.amdhsa_user_sgpr_private_segment_size 0
		.amdhsa_wavefront_size32 1
		.amdhsa_uses_dynamic_stack 0
		.amdhsa_enable_private_segment 1
		.amdhsa_system_sgpr_workgroup_id_x 1
		.amdhsa_system_sgpr_workgroup_id_y 0
		.amdhsa_system_sgpr_workgroup_id_z 0
		.amdhsa_system_sgpr_workgroup_info 0
		.amdhsa_system_vgpr_workitem_id 0
		.amdhsa_next_free_vgpr 38
		.amdhsa_next_free_sgpr 34
		.amdhsa_reserve_vcc 1
		.amdhsa_float_round_mode_32 0
		.amdhsa_float_round_mode_16_64 0
		.amdhsa_float_denorm_mode_32 3
		.amdhsa_float_denorm_mode_16_64 3
		.amdhsa_fp16_overflow 0
		.amdhsa_workgroup_processor_mode 1
		.amdhsa_memory_ordered 1
		.amdhsa_forward_progress 1
		.amdhsa_inst_pref_size 1
		.amdhsa_round_robin_scheduling 0
		.amdhsa_exception_fp_ieee_invalid_op 0
		.amdhsa_exception_fp_denorm_src 0
		.amdhsa_exception_fp_ieee_div_zero 0
		.amdhsa_exception_fp_ieee_overflow 0
		.amdhsa_exception_fp_ieee_underflow 0
		.amdhsa_exception_fp_ieee_inexact 0
		.amdhsa_exception_int_div_zero 0
	.end_amdhsa_kernel
	.section	.text._ZL9mul_mat_fI7__half2Li64ELi4ELi8ELb0EEvPKT_PKfPKiPfiiiiiiiiiiiiiiii,"axG",@progbits,_ZL9mul_mat_fI7__half2Li64ELi4ELi8ELb0EEvPKT_PKfPKiPfiiiiiiiiiiiiiiii,comdat
.Lfunc_end122:
	.size	_ZL9mul_mat_fI7__half2Li64ELi4ELi8ELb0EEvPKT_PKfPKiPfiiiiiiiiiiiiiiii, .Lfunc_end122-_ZL9mul_mat_fI7__half2Li64ELi4ELi8ELb0EEvPKT_PKfPKiPfiiiiiiiiiiiiiiii
                                        ; -- End function
	.set _ZL9mul_mat_fI7__half2Li64ELi4ELi8ELb0EEvPKT_PKfPKiPfiiiiiiiiiiiiiiii.num_vgpr, max(3, .L_ZL14no_device_codePKciS0_iS0_.num_vgpr)
	.set _ZL9mul_mat_fI7__half2Li64ELi4ELi8ELb0EEvPKT_PKfPKiPfiiiiiiiiiiiiiiii.num_agpr, max(0, .L_ZL14no_device_codePKciS0_iS0_.num_agpr)
	.set _ZL9mul_mat_fI7__half2Li64ELi4ELi8ELb0EEvPKT_PKfPKiPfiiiiiiiiiiiiiiii.numbered_sgpr, max(33, .L_ZL14no_device_codePKciS0_iS0_.numbered_sgpr)
	.set _ZL9mul_mat_fI7__half2Li64ELi4ELi8ELb0EEvPKT_PKfPKiPfiiiiiiiiiiiiiiii.num_named_barrier, max(0, .L_ZL14no_device_codePKciS0_iS0_.num_named_barrier)
	.set _ZL9mul_mat_fI7__half2Li64ELi4ELi8ELb0EEvPKT_PKfPKiPfiiiiiiiiiiiiiiii.private_seg_size, 0+max(.L_ZL14no_device_codePKciS0_iS0_.private_seg_size)
	.set _ZL9mul_mat_fI7__half2Li64ELi4ELi8ELb0EEvPKT_PKfPKiPfiiiiiiiiiiiiiiii.uses_vcc, or(1, .L_ZL14no_device_codePKciS0_iS0_.uses_vcc)
	.set _ZL9mul_mat_fI7__half2Li64ELi4ELi8ELb0EEvPKT_PKfPKiPfiiiiiiiiiiiiiiii.uses_flat_scratch, or(0, .L_ZL14no_device_codePKciS0_iS0_.uses_flat_scratch)
	.set _ZL9mul_mat_fI7__half2Li64ELi4ELi8ELb0EEvPKT_PKfPKiPfiiiiiiiiiiiiiiii.has_dyn_sized_stack, or(0, .L_ZL14no_device_codePKciS0_iS0_.has_dyn_sized_stack)
	.set _ZL9mul_mat_fI7__half2Li64ELi4ELi8ELb0EEvPKT_PKfPKiPfiiiiiiiiiiiiiiii.has_recursion, or(0, .L_ZL14no_device_codePKciS0_iS0_.has_recursion)
	.set _ZL9mul_mat_fI7__half2Li64ELi4ELi8ELb0EEvPKT_PKfPKiPfiiiiiiiiiiiiiiii.has_indirect_call, or(0, .L_ZL14no_device_codePKciS0_iS0_.has_indirect_call)
	.section	.AMDGPU.csdata,"",@progbits
; Kernel info:
; codeLenInByte = 76
; TotalNumSgprs: 36
; NumVgprs: 38
; ScratchSize: 16
; MemoryBound: 0
; FloatMode: 240
; IeeeMode: 1
; LDSByteSize: 0 bytes/workgroup (compile time only)
; SGPRBlocks: 0
; VGPRBlocks: 4
; NumSGPRsForWavesPerEU: 36
; NumVGPRsForWavesPerEU: 38
; Occupancy: 16
; WaveLimiterHint : 1
; COMPUTE_PGM_RSRC2:SCRATCH_EN: 1
; COMPUTE_PGM_RSRC2:USER_SGPR: 2
; COMPUTE_PGM_RSRC2:TRAP_HANDLER: 0
; COMPUTE_PGM_RSRC2:TGID_X_EN: 1
; COMPUTE_PGM_RSRC2:TGID_Y_EN: 0
; COMPUTE_PGM_RSRC2:TGID_Z_EN: 0
; COMPUTE_PGM_RSRC2:TIDIG_COMP_CNT: 0
	.section	.text._ZL13mul_mat_f_idsI15__hip_bfloat162Li64ELi4ELi1EEvPKT_PKfPKiS7_S7_Pfiiiiiiiiiiiiii15HIP_vector_typeIjLj3EESA_,"axG",@progbits,_ZL13mul_mat_f_idsI15__hip_bfloat162Li64ELi4ELi1EEvPKT_PKfPKiS7_S7_Pfiiiiiiiiiiiiii15HIP_vector_typeIjLj3EESA_,comdat
	.globl	_ZL13mul_mat_f_idsI15__hip_bfloat162Li64ELi4ELi1EEvPKT_PKfPKiS7_S7_Pfiiiiiiiiiiiiii15HIP_vector_typeIjLj3EESA_ ; -- Begin function _ZL13mul_mat_f_idsI15__hip_bfloat162Li64ELi4ELi1EEvPKT_PKfPKiS7_S7_Pfiiiiiiiiiiiiii15HIP_vector_typeIjLj3EESA_
	.p2align	8
	.type	_ZL13mul_mat_f_idsI15__hip_bfloat162Li64ELi4ELi1EEvPKT_PKfPKiS7_S7_Pfiiiiiiiiiiiiii15HIP_vector_typeIjLj3EESA_,@function
_ZL13mul_mat_f_idsI15__hip_bfloat162Li64ELi4ELi1EEvPKT_PKfPKiS7_S7_Pfiiiiiiiiiiiiii15HIP_vector_typeIjLj3EESA_: ; @_ZL13mul_mat_f_idsI15__hip_bfloat162Li64ELi4ELi1EEvPKT_PKfPKiS7_S7_Pfiiiiiiiiiiiiii15HIP_vector_typeIjLj3EESA_
; %bb.0:
	s_getpc_b64 s[2:3]
	s_sext_i32_i16 s3, s3
	s_add_co_u32 s2, s2, __FUNCTION__._ZL13mul_mat_f_idsIfLi32ELi4ELi1EEvPKT_PKfPKiS6_S6_Pfiiiiiiiiiiiiii15HIP_vector_typeIjLj3EES9_@rel32@lo+8
	s_add_co_ci_u32 s3, s3, __FUNCTION__._ZL13mul_mat_f_idsIfLi32ELi4ELi1EEvPKT_PKfPKiS6_S6_Pfiiiiiiiiiiiiii15HIP_vector_typeIjLj3EES9_@rel32@hi+16
	v_dual_mov_b32 v0, 0x136 :: v_dual_mov_b32 v1, s2
	v_mov_b32_e32 v2, s3
	s_add_nc_u64 s[8:9], s[0:1], 0x80
	s_getpc_b64 s[0:1]
	s_sext_i32_i16 s1, s1
	s_add_co_u32 s0, s0, _ZL14no_device_codePKciS0_iS0_@rel32@lo+8
	s_add_co_ci_u32 s1, s1, _ZL14no_device_codePKciS0_iS0_@rel32@hi+16
	s_mov_b32 s32, 0
	s_swappc_b64 s[30:31], s[0:1]
	.section	.rodata,"a",@progbits
	.p2align	6, 0x0
	.amdhsa_kernel _ZL13mul_mat_f_idsI15__hip_bfloat162Li64ELi4ELi1EEvPKT_PKfPKiS7_S7_Pfiiiiiiiiiiiiii15HIP_vector_typeIjLj3EESA_
		.amdhsa_group_segment_fixed_size 0
		.amdhsa_private_segment_fixed_size 16
		.amdhsa_kernarg_size 384
		.amdhsa_user_sgpr_count 2
		.amdhsa_user_sgpr_dispatch_ptr 0
		.amdhsa_user_sgpr_queue_ptr 0
		.amdhsa_user_sgpr_kernarg_segment_ptr 1
		.amdhsa_user_sgpr_dispatch_id 0
		.amdhsa_user_sgpr_private_segment_size 0
		.amdhsa_wavefront_size32 1
		.amdhsa_uses_dynamic_stack 0
		.amdhsa_enable_private_segment 1
		.amdhsa_system_sgpr_workgroup_id_x 1
		.amdhsa_system_sgpr_workgroup_id_y 0
		.amdhsa_system_sgpr_workgroup_id_z 0
		.amdhsa_system_sgpr_workgroup_info 0
		.amdhsa_system_vgpr_workitem_id 0
		.amdhsa_next_free_vgpr 38
		.amdhsa_next_free_sgpr 34
		.amdhsa_reserve_vcc 1
		.amdhsa_float_round_mode_32 0
		.amdhsa_float_round_mode_16_64 0
		.amdhsa_float_denorm_mode_32 3
		.amdhsa_float_denorm_mode_16_64 3
		.amdhsa_fp16_overflow 0
		.amdhsa_workgroup_processor_mode 1
		.amdhsa_memory_ordered 1
		.amdhsa_forward_progress 1
		.amdhsa_inst_pref_size 1
		.amdhsa_round_robin_scheduling 0
		.amdhsa_exception_fp_ieee_invalid_op 0
		.amdhsa_exception_fp_denorm_src 0
		.amdhsa_exception_fp_ieee_div_zero 0
		.amdhsa_exception_fp_ieee_overflow 0
		.amdhsa_exception_fp_ieee_underflow 0
		.amdhsa_exception_fp_ieee_inexact 0
		.amdhsa_exception_int_div_zero 0
	.end_amdhsa_kernel
	.section	.text._ZL13mul_mat_f_idsI15__hip_bfloat162Li64ELi4ELi1EEvPKT_PKfPKiS7_S7_Pfiiiiiiiiiiiiii15HIP_vector_typeIjLj3EESA_,"axG",@progbits,_ZL13mul_mat_f_idsI15__hip_bfloat162Li64ELi4ELi1EEvPKT_PKfPKiS7_S7_Pfiiiiiiiiiiiiii15HIP_vector_typeIjLj3EESA_,comdat
.Lfunc_end123:
	.size	_ZL13mul_mat_f_idsI15__hip_bfloat162Li64ELi4ELi1EEvPKT_PKfPKiS7_S7_Pfiiiiiiiiiiiiii15HIP_vector_typeIjLj3EESA_, .Lfunc_end123-_ZL13mul_mat_f_idsI15__hip_bfloat162Li64ELi4ELi1EEvPKT_PKfPKiS7_S7_Pfiiiiiiiiiiiiii15HIP_vector_typeIjLj3EESA_
                                        ; -- End function
	.set _ZL13mul_mat_f_idsI15__hip_bfloat162Li64ELi4ELi1EEvPKT_PKfPKiS7_S7_Pfiiiiiiiiiiiiii15HIP_vector_typeIjLj3EESA_.num_vgpr, max(3, .L_ZL14no_device_codePKciS0_iS0_.num_vgpr)
	.set _ZL13mul_mat_f_idsI15__hip_bfloat162Li64ELi4ELi1EEvPKT_PKfPKiS7_S7_Pfiiiiiiiiiiiiii15HIP_vector_typeIjLj3EESA_.num_agpr, max(0, .L_ZL14no_device_codePKciS0_iS0_.num_agpr)
	.set _ZL13mul_mat_f_idsI15__hip_bfloat162Li64ELi4ELi1EEvPKT_PKfPKiS7_S7_Pfiiiiiiiiiiiiii15HIP_vector_typeIjLj3EESA_.numbered_sgpr, max(33, .L_ZL14no_device_codePKciS0_iS0_.numbered_sgpr)
	.set _ZL13mul_mat_f_idsI15__hip_bfloat162Li64ELi4ELi1EEvPKT_PKfPKiS7_S7_Pfiiiiiiiiiiiiii15HIP_vector_typeIjLj3EESA_.num_named_barrier, max(0, .L_ZL14no_device_codePKciS0_iS0_.num_named_barrier)
	.set _ZL13mul_mat_f_idsI15__hip_bfloat162Li64ELi4ELi1EEvPKT_PKfPKiS7_S7_Pfiiiiiiiiiiiiii15HIP_vector_typeIjLj3EESA_.private_seg_size, 0+max(.L_ZL14no_device_codePKciS0_iS0_.private_seg_size)
	.set _ZL13mul_mat_f_idsI15__hip_bfloat162Li64ELi4ELi1EEvPKT_PKfPKiS7_S7_Pfiiiiiiiiiiiiii15HIP_vector_typeIjLj3EESA_.uses_vcc, or(1, .L_ZL14no_device_codePKciS0_iS0_.uses_vcc)
	.set _ZL13mul_mat_f_idsI15__hip_bfloat162Li64ELi4ELi1EEvPKT_PKfPKiS7_S7_Pfiiiiiiiiiiiiii15HIP_vector_typeIjLj3EESA_.uses_flat_scratch, or(0, .L_ZL14no_device_codePKciS0_iS0_.uses_flat_scratch)
	.set _ZL13mul_mat_f_idsI15__hip_bfloat162Li64ELi4ELi1EEvPKT_PKfPKiS7_S7_Pfiiiiiiiiiiiiii15HIP_vector_typeIjLj3EESA_.has_dyn_sized_stack, or(0, .L_ZL14no_device_codePKciS0_iS0_.has_dyn_sized_stack)
	.set _ZL13mul_mat_f_idsI15__hip_bfloat162Li64ELi4ELi1EEvPKT_PKfPKiS7_S7_Pfiiiiiiiiiiiiii15HIP_vector_typeIjLj3EESA_.has_recursion, or(0, .L_ZL14no_device_codePKciS0_iS0_.has_recursion)
	.set _ZL13mul_mat_f_idsI15__hip_bfloat162Li64ELi4ELi1EEvPKT_PKfPKiS7_S7_Pfiiiiiiiiiiiiii15HIP_vector_typeIjLj3EESA_.has_indirect_call, or(0, .L_ZL14no_device_codePKciS0_iS0_.has_indirect_call)
	.section	.AMDGPU.csdata,"",@progbits
; Kernel info:
; codeLenInByte = 80
; TotalNumSgprs: 36
; NumVgprs: 38
; ScratchSize: 16
; MemoryBound: 0
; FloatMode: 240
; IeeeMode: 1
; LDSByteSize: 0 bytes/workgroup (compile time only)
; SGPRBlocks: 0
; VGPRBlocks: 4
; NumSGPRsForWavesPerEU: 36
; NumVGPRsForWavesPerEU: 38
; Occupancy: 16
; WaveLimiterHint : 1
; COMPUTE_PGM_RSRC2:SCRATCH_EN: 1
; COMPUTE_PGM_RSRC2:USER_SGPR: 2
; COMPUTE_PGM_RSRC2:TRAP_HANDLER: 0
; COMPUTE_PGM_RSRC2:TGID_X_EN: 1
; COMPUTE_PGM_RSRC2:TGID_Y_EN: 0
; COMPUTE_PGM_RSRC2:TGID_Z_EN: 0
; COMPUTE_PGM_RSRC2:TIDIG_COMP_CNT: 0
	.section	.text._ZL9mul_mat_fI15__hip_bfloat162Li64ELi4ELi1ELb1EEvPKT_PKfPKiPfiiiiiiiiiiiiiiii,"axG",@progbits,_ZL9mul_mat_fI15__hip_bfloat162Li64ELi4ELi1ELb1EEvPKT_PKfPKiPfiiiiiiiiiiiiiiii,comdat
	.globl	_ZL9mul_mat_fI15__hip_bfloat162Li64ELi4ELi1ELb1EEvPKT_PKfPKiPfiiiiiiiiiiiiiiii ; -- Begin function _ZL9mul_mat_fI15__hip_bfloat162Li64ELi4ELi1ELb1EEvPKT_PKfPKiPfiiiiiiiiiiiiiiii
	.p2align	8
	.type	_ZL9mul_mat_fI15__hip_bfloat162Li64ELi4ELi1ELb1EEvPKT_PKfPKiPfiiiiiiiiiiiiiiii,@function
_ZL9mul_mat_fI15__hip_bfloat162Li64ELi4ELi1ELb1EEvPKT_PKfPKiPfiiiiiiiiiiiiiiii: ; @_ZL9mul_mat_fI15__hip_bfloat162Li64ELi4ELi1ELb1EEvPKT_PKfPKiPfiiiiiiiiiiiiiiii
; %bb.0:
	s_getpc_b64 s[2:3]
	s_sext_i32_i16 s3, s3
	s_add_co_u32 s2, s2, __FUNCTION__._ZL9mul_mat_fIfLi32ELi4ELi1ELb1EEvPKT_PKfPKiPfiiiiiiiiiiiiiiii@rel32@lo+8
	s_add_co_ci_u32 s3, s3, __FUNCTION__._ZL9mul_mat_fIfLi32ELi4ELi1ELb1EEvPKT_PKfPKiPfiiiiiiiiiiiiiiii@rel32@hi+16
	v_dual_mov_b32 v0, 59 :: v_dual_mov_b32 v1, s2
	v_mov_b32_e32 v2, s3
	s_add_nc_u64 s[8:9], s[0:1], 0x60
	s_getpc_b64 s[0:1]
	s_sext_i32_i16 s1, s1
	s_add_co_u32 s0, s0, _ZL14no_device_codePKciS0_iS0_@rel32@lo+8
	s_add_co_ci_u32 s1, s1, _ZL14no_device_codePKciS0_iS0_@rel32@hi+16
	s_mov_b32 s32, 0
	s_swappc_b64 s[30:31], s[0:1]
	.section	.rodata,"a",@progbits
	.p2align	6, 0x0
	.amdhsa_kernel _ZL9mul_mat_fI15__hip_bfloat162Li64ELi4ELi1ELb1EEvPKT_PKfPKiPfiiiiiiiiiiiiiiii
		.amdhsa_group_segment_fixed_size 0
		.amdhsa_private_segment_fixed_size 16
		.amdhsa_kernarg_size 352
		.amdhsa_user_sgpr_count 2
		.amdhsa_user_sgpr_dispatch_ptr 0
		.amdhsa_user_sgpr_queue_ptr 0
		.amdhsa_user_sgpr_kernarg_segment_ptr 1
		.amdhsa_user_sgpr_dispatch_id 0
		.amdhsa_user_sgpr_private_segment_size 0
		.amdhsa_wavefront_size32 1
		.amdhsa_uses_dynamic_stack 0
		.amdhsa_enable_private_segment 1
		.amdhsa_system_sgpr_workgroup_id_x 1
		.amdhsa_system_sgpr_workgroup_id_y 0
		.amdhsa_system_sgpr_workgroup_id_z 0
		.amdhsa_system_sgpr_workgroup_info 0
		.amdhsa_system_vgpr_workitem_id 0
		.amdhsa_next_free_vgpr 38
		.amdhsa_next_free_sgpr 34
		.amdhsa_reserve_vcc 1
		.amdhsa_float_round_mode_32 0
		.amdhsa_float_round_mode_16_64 0
		.amdhsa_float_denorm_mode_32 3
		.amdhsa_float_denorm_mode_16_64 3
		.amdhsa_fp16_overflow 0
		.amdhsa_workgroup_processor_mode 1
		.amdhsa_memory_ordered 1
		.amdhsa_forward_progress 1
		.amdhsa_inst_pref_size 1
		.amdhsa_round_robin_scheduling 0
		.amdhsa_exception_fp_ieee_invalid_op 0
		.amdhsa_exception_fp_denorm_src 0
		.amdhsa_exception_fp_ieee_div_zero 0
		.amdhsa_exception_fp_ieee_overflow 0
		.amdhsa_exception_fp_ieee_underflow 0
		.amdhsa_exception_fp_ieee_inexact 0
		.amdhsa_exception_int_div_zero 0
	.end_amdhsa_kernel
	.section	.text._ZL9mul_mat_fI15__hip_bfloat162Li64ELi4ELi1ELb1EEvPKT_PKfPKiPfiiiiiiiiiiiiiiii,"axG",@progbits,_ZL9mul_mat_fI15__hip_bfloat162Li64ELi4ELi1ELb1EEvPKT_PKfPKiPfiiiiiiiiiiiiiiii,comdat
.Lfunc_end124:
	.size	_ZL9mul_mat_fI15__hip_bfloat162Li64ELi4ELi1ELb1EEvPKT_PKfPKiPfiiiiiiiiiiiiiiii, .Lfunc_end124-_ZL9mul_mat_fI15__hip_bfloat162Li64ELi4ELi1ELb1EEvPKT_PKfPKiPfiiiiiiiiiiiiiiii
                                        ; -- End function
	.set _ZL9mul_mat_fI15__hip_bfloat162Li64ELi4ELi1ELb1EEvPKT_PKfPKiPfiiiiiiiiiiiiiiii.num_vgpr, max(3, .L_ZL14no_device_codePKciS0_iS0_.num_vgpr)
	.set _ZL9mul_mat_fI15__hip_bfloat162Li64ELi4ELi1ELb1EEvPKT_PKfPKiPfiiiiiiiiiiiiiiii.num_agpr, max(0, .L_ZL14no_device_codePKciS0_iS0_.num_agpr)
	.set _ZL9mul_mat_fI15__hip_bfloat162Li64ELi4ELi1ELb1EEvPKT_PKfPKiPfiiiiiiiiiiiiiiii.numbered_sgpr, max(33, .L_ZL14no_device_codePKciS0_iS0_.numbered_sgpr)
	.set _ZL9mul_mat_fI15__hip_bfloat162Li64ELi4ELi1ELb1EEvPKT_PKfPKiPfiiiiiiiiiiiiiiii.num_named_barrier, max(0, .L_ZL14no_device_codePKciS0_iS0_.num_named_barrier)
	.set _ZL9mul_mat_fI15__hip_bfloat162Li64ELi4ELi1ELb1EEvPKT_PKfPKiPfiiiiiiiiiiiiiiii.private_seg_size, 0+max(.L_ZL14no_device_codePKciS0_iS0_.private_seg_size)
	.set _ZL9mul_mat_fI15__hip_bfloat162Li64ELi4ELi1ELb1EEvPKT_PKfPKiPfiiiiiiiiiiiiiiii.uses_vcc, or(1, .L_ZL14no_device_codePKciS0_iS0_.uses_vcc)
	.set _ZL9mul_mat_fI15__hip_bfloat162Li64ELi4ELi1ELb1EEvPKT_PKfPKiPfiiiiiiiiiiiiiiii.uses_flat_scratch, or(0, .L_ZL14no_device_codePKciS0_iS0_.uses_flat_scratch)
	.set _ZL9mul_mat_fI15__hip_bfloat162Li64ELi4ELi1ELb1EEvPKT_PKfPKiPfiiiiiiiiiiiiiiii.has_dyn_sized_stack, or(0, .L_ZL14no_device_codePKciS0_iS0_.has_dyn_sized_stack)
	.set _ZL9mul_mat_fI15__hip_bfloat162Li64ELi4ELi1ELb1EEvPKT_PKfPKiPfiiiiiiiiiiiiiiii.has_recursion, or(0, .L_ZL14no_device_codePKciS0_iS0_.has_recursion)
	.set _ZL9mul_mat_fI15__hip_bfloat162Li64ELi4ELi1ELb1EEvPKT_PKfPKiPfiiiiiiiiiiiiiiii.has_indirect_call, or(0, .L_ZL14no_device_codePKciS0_iS0_.has_indirect_call)
	.section	.AMDGPU.csdata,"",@progbits
; Kernel info:
; codeLenInByte = 76
; TotalNumSgprs: 36
; NumVgprs: 38
; ScratchSize: 16
; MemoryBound: 0
; FloatMode: 240
; IeeeMode: 1
; LDSByteSize: 0 bytes/workgroup (compile time only)
; SGPRBlocks: 0
; VGPRBlocks: 4
; NumSGPRsForWavesPerEU: 36
; NumVGPRsForWavesPerEU: 38
; Occupancy: 16
; WaveLimiterHint : 1
; COMPUTE_PGM_RSRC2:SCRATCH_EN: 1
; COMPUTE_PGM_RSRC2:USER_SGPR: 2
; COMPUTE_PGM_RSRC2:TRAP_HANDLER: 0
; COMPUTE_PGM_RSRC2:TGID_X_EN: 1
; COMPUTE_PGM_RSRC2:TGID_Y_EN: 0
; COMPUTE_PGM_RSRC2:TGID_Z_EN: 0
; COMPUTE_PGM_RSRC2:TIDIG_COMP_CNT: 0
	.section	.text._ZL9mul_mat_fI15__hip_bfloat162Li64ELi4ELi1ELb0EEvPKT_PKfPKiPfiiiiiiiiiiiiiiii,"axG",@progbits,_ZL9mul_mat_fI15__hip_bfloat162Li64ELi4ELi1ELb0EEvPKT_PKfPKiPfiiiiiiiiiiiiiiii,comdat
	.globl	_ZL9mul_mat_fI15__hip_bfloat162Li64ELi4ELi1ELb0EEvPKT_PKfPKiPfiiiiiiiiiiiiiiii ; -- Begin function _ZL9mul_mat_fI15__hip_bfloat162Li64ELi4ELi1ELb0EEvPKT_PKfPKiPfiiiiiiiiiiiiiiii
	.p2align	8
	.type	_ZL9mul_mat_fI15__hip_bfloat162Li64ELi4ELi1ELb0EEvPKT_PKfPKiPfiiiiiiiiiiiiiiii,@function
_ZL9mul_mat_fI15__hip_bfloat162Li64ELi4ELi1ELb0EEvPKT_PKfPKiPfiiiiiiiiiiiiiiii: ; @_ZL9mul_mat_fI15__hip_bfloat162Li64ELi4ELi1ELb0EEvPKT_PKfPKiPfiiiiiiiiiiiiiiii
; %bb.0:
	s_getpc_b64 s[2:3]
	s_sext_i32_i16 s3, s3
	s_add_co_u32 s2, s2, __FUNCTION__._ZL9mul_mat_fIfLi32ELi4ELi1ELb1EEvPKT_PKfPKiPfiiiiiiiiiiiiiiii@rel32@lo+8
	s_add_co_ci_u32 s3, s3, __FUNCTION__._ZL9mul_mat_fIfLi32ELi4ELi1ELb1EEvPKT_PKfPKiPfiiiiiiiiiiiiiiii@rel32@hi+16
	v_dual_mov_b32 v0, 59 :: v_dual_mov_b32 v1, s2
	v_mov_b32_e32 v2, s3
	s_add_nc_u64 s[8:9], s[0:1], 0x60
	s_getpc_b64 s[0:1]
	s_sext_i32_i16 s1, s1
	s_add_co_u32 s0, s0, _ZL14no_device_codePKciS0_iS0_@rel32@lo+8
	s_add_co_ci_u32 s1, s1, _ZL14no_device_codePKciS0_iS0_@rel32@hi+16
	s_mov_b32 s32, 0
	s_swappc_b64 s[30:31], s[0:1]
	.section	.rodata,"a",@progbits
	.p2align	6, 0x0
	.amdhsa_kernel _ZL9mul_mat_fI15__hip_bfloat162Li64ELi4ELi1ELb0EEvPKT_PKfPKiPfiiiiiiiiiiiiiiii
		.amdhsa_group_segment_fixed_size 0
		.amdhsa_private_segment_fixed_size 16
		.amdhsa_kernarg_size 352
		.amdhsa_user_sgpr_count 2
		.amdhsa_user_sgpr_dispatch_ptr 0
		.amdhsa_user_sgpr_queue_ptr 0
		.amdhsa_user_sgpr_kernarg_segment_ptr 1
		.amdhsa_user_sgpr_dispatch_id 0
		.amdhsa_user_sgpr_private_segment_size 0
		.amdhsa_wavefront_size32 1
		.amdhsa_uses_dynamic_stack 0
		.amdhsa_enable_private_segment 1
		.amdhsa_system_sgpr_workgroup_id_x 1
		.amdhsa_system_sgpr_workgroup_id_y 0
		.amdhsa_system_sgpr_workgroup_id_z 0
		.amdhsa_system_sgpr_workgroup_info 0
		.amdhsa_system_vgpr_workitem_id 0
		.amdhsa_next_free_vgpr 38
		.amdhsa_next_free_sgpr 34
		.amdhsa_reserve_vcc 1
		.amdhsa_float_round_mode_32 0
		.amdhsa_float_round_mode_16_64 0
		.amdhsa_float_denorm_mode_32 3
		.amdhsa_float_denorm_mode_16_64 3
		.amdhsa_fp16_overflow 0
		.amdhsa_workgroup_processor_mode 1
		.amdhsa_memory_ordered 1
		.amdhsa_forward_progress 1
		.amdhsa_inst_pref_size 1
		.amdhsa_round_robin_scheduling 0
		.amdhsa_exception_fp_ieee_invalid_op 0
		.amdhsa_exception_fp_denorm_src 0
		.amdhsa_exception_fp_ieee_div_zero 0
		.amdhsa_exception_fp_ieee_overflow 0
		.amdhsa_exception_fp_ieee_underflow 0
		.amdhsa_exception_fp_ieee_inexact 0
		.amdhsa_exception_int_div_zero 0
	.end_amdhsa_kernel
	.section	.text._ZL9mul_mat_fI15__hip_bfloat162Li64ELi4ELi1ELb0EEvPKT_PKfPKiPfiiiiiiiiiiiiiiii,"axG",@progbits,_ZL9mul_mat_fI15__hip_bfloat162Li64ELi4ELi1ELb0EEvPKT_PKfPKiPfiiiiiiiiiiiiiiii,comdat
.Lfunc_end125:
	.size	_ZL9mul_mat_fI15__hip_bfloat162Li64ELi4ELi1ELb0EEvPKT_PKfPKiPfiiiiiiiiiiiiiiii, .Lfunc_end125-_ZL9mul_mat_fI15__hip_bfloat162Li64ELi4ELi1ELb0EEvPKT_PKfPKiPfiiiiiiiiiiiiiiii
                                        ; -- End function
	.set _ZL9mul_mat_fI15__hip_bfloat162Li64ELi4ELi1ELb0EEvPKT_PKfPKiPfiiiiiiiiiiiiiiii.num_vgpr, max(3, .L_ZL14no_device_codePKciS0_iS0_.num_vgpr)
	.set _ZL9mul_mat_fI15__hip_bfloat162Li64ELi4ELi1ELb0EEvPKT_PKfPKiPfiiiiiiiiiiiiiiii.num_agpr, max(0, .L_ZL14no_device_codePKciS0_iS0_.num_agpr)
	.set _ZL9mul_mat_fI15__hip_bfloat162Li64ELi4ELi1ELb0EEvPKT_PKfPKiPfiiiiiiiiiiiiiiii.numbered_sgpr, max(33, .L_ZL14no_device_codePKciS0_iS0_.numbered_sgpr)
	.set _ZL9mul_mat_fI15__hip_bfloat162Li64ELi4ELi1ELb0EEvPKT_PKfPKiPfiiiiiiiiiiiiiiii.num_named_barrier, max(0, .L_ZL14no_device_codePKciS0_iS0_.num_named_barrier)
	.set _ZL9mul_mat_fI15__hip_bfloat162Li64ELi4ELi1ELb0EEvPKT_PKfPKiPfiiiiiiiiiiiiiiii.private_seg_size, 0+max(.L_ZL14no_device_codePKciS0_iS0_.private_seg_size)
	.set _ZL9mul_mat_fI15__hip_bfloat162Li64ELi4ELi1ELb0EEvPKT_PKfPKiPfiiiiiiiiiiiiiiii.uses_vcc, or(1, .L_ZL14no_device_codePKciS0_iS0_.uses_vcc)
	.set _ZL9mul_mat_fI15__hip_bfloat162Li64ELi4ELi1ELb0EEvPKT_PKfPKiPfiiiiiiiiiiiiiiii.uses_flat_scratch, or(0, .L_ZL14no_device_codePKciS0_iS0_.uses_flat_scratch)
	.set _ZL9mul_mat_fI15__hip_bfloat162Li64ELi4ELi1ELb0EEvPKT_PKfPKiPfiiiiiiiiiiiiiiii.has_dyn_sized_stack, or(0, .L_ZL14no_device_codePKciS0_iS0_.has_dyn_sized_stack)
	.set _ZL9mul_mat_fI15__hip_bfloat162Li64ELi4ELi1ELb0EEvPKT_PKfPKiPfiiiiiiiiiiiiiiii.has_recursion, or(0, .L_ZL14no_device_codePKciS0_iS0_.has_recursion)
	.set _ZL9mul_mat_fI15__hip_bfloat162Li64ELi4ELi1ELb0EEvPKT_PKfPKiPfiiiiiiiiiiiiiiii.has_indirect_call, or(0, .L_ZL14no_device_codePKciS0_iS0_.has_indirect_call)
	.section	.AMDGPU.csdata,"",@progbits
; Kernel info:
; codeLenInByte = 76
; TotalNumSgprs: 36
; NumVgprs: 38
; ScratchSize: 16
; MemoryBound: 0
; FloatMode: 240
; IeeeMode: 1
; LDSByteSize: 0 bytes/workgroup (compile time only)
; SGPRBlocks: 0
; VGPRBlocks: 4
; NumSGPRsForWavesPerEU: 36
; NumVGPRsForWavesPerEU: 38
; Occupancy: 16
; WaveLimiterHint : 1
; COMPUTE_PGM_RSRC2:SCRATCH_EN: 1
; COMPUTE_PGM_RSRC2:USER_SGPR: 2
; COMPUTE_PGM_RSRC2:TRAP_HANDLER: 0
; COMPUTE_PGM_RSRC2:TGID_X_EN: 1
; COMPUTE_PGM_RSRC2:TGID_Y_EN: 0
; COMPUTE_PGM_RSRC2:TGID_Z_EN: 0
; COMPUTE_PGM_RSRC2:TIDIG_COMP_CNT: 0
	.section	.text._ZL13mul_mat_f_idsI15__hip_bfloat162Li64ELi4ELi2EEvPKT_PKfPKiS7_S7_Pfiiiiiiiiiiiiii15HIP_vector_typeIjLj3EESA_,"axG",@progbits,_ZL13mul_mat_f_idsI15__hip_bfloat162Li64ELi4ELi2EEvPKT_PKfPKiS7_S7_Pfiiiiiiiiiiiiii15HIP_vector_typeIjLj3EESA_,comdat
	.globl	_ZL13mul_mat_f_idsI15__hip_bfloat162Li64ELi4ELi2EEvPKT_PKfPKiS7_S7_Pfiiiiiiiiiiiiii15HIP_vector_typeIjLj3EESA_ ; -- Begin function _ZL13mul_mat_f_idsI15__hip_bfloat162Li64ELi4ELi2EEvPKT_PKfPKiS7_S7_Pfiiiiiiiiiiiiii15HIP_vector_typeIjLj3EESA_
	.p2align	8
	.type	_ZL13mul_mat_f_idsI15__hip_bfloat162Li64ELi4ELi2EEvPKT_PKfPKiS7_S7_Pfiiiiiiiiiiiiii15HIP_vector_typeIjLj3EESA_,@function
_ZL13mul_mat_f_idsI15__hip_bfloat162Li64ELi4ELi2EEvPKT_PKfPKiS7_S7_Pfiiiiiiiiiiiiii15HIP_vector_typeIjLj3EESA_: ; @_ZL13mul_mat_f_idsI15__hip_bfloat162Li64ELi4ELi2EEvPKT_PKfPKiS7_S7_Pfiiiiiiiiiiiiii15HIP_vector_typeIjLj3EESA_
; %bb.0:
	s_getpc_b64 s[2:3]
	s_sext_i32_i16 s3, s3
	s_add_co_u32 s2, s2, __FUNCTION__._ZL13mul_mat_f_idsIfLi32ELi4ELi1EEvPKT_PKfPKiS6_S6_Pfiiiiiiiiiiiiii15HIP_vector_typeIjLj3EES9_@rel32@lo+8
	s_add_co_ci_u32 s3, s3, __FUNCTION__._ZL13mul_mat_f_idsIfLi32ELi4ELi1EEvPKT_PKfPKiS6_S6_Pfiiiiiiiiiiiiii15HIP_vector_typeIjLj3EES9_@rel32@hi+16
	v_dual_mov_b32 v0, 0x136 :: v_dual_mov_b32 v1, s2
	v_mov_b32_e32 v2, s3
	s_add_nc_u64 s[8:9], s[0:1], 0x80
	s_getpc_b64 s[0:1]
	s_sext_i32_i16 s1, s1
	s_add_co_u32 s0, s0, _ZL14no_device_codePKciS0_iS0_@rel32@lo+8
	s_add_co_ci_u32 s1, s1, _ZL14no_device_codePKciS0_iS0_@rel32@hi+16
	s_mov_b32 s32, 0
	s_swappc_b64 s[30:31], s[0:1]
	.section	.rodata,"a",@progbits
	.p2align	6, 0x0
	.amdhsa_kernel _ZL13mul_mat_f_idsI15__hip_bfloat162Li64ELi4ELi2EEvPKT_PKfPKiS7_S7_Pfiiiiiiiiiiiiii15HIP_vector_typeIjLj3EESA_
		.amdhsa_group_segment_fixed_size 0
		.amdhsa_private_segment_fixed_size 16
		.amdhsa_kernarg_size 384
		.amdhsa_user_sgpr_count 2
		.amdhsa_user_sgpr_dispatch_ptr 0
		.amdhsa_user_sgpr_queue_ptr 0
		.amdhsa_user_sgpr_kernarg_segment_ptr 1
		.amdhsa_user_sgpr_dispatch_id 0
		.amdhsa_user_sgpr_private_segment_size 0
		.amdhsa_wavefront_size32 1
		.amdhsa_uses_dynamic_stack 0
		.amdhsa_enable_private_segment 1
		.amdhsa_system_sgpr_workgroup_id_x 1
		.amdhsa_system_sgpr_workgroup_id_y 0
		.amdhsa_system_sgpr_workgroup_id_z 0
		.amdhsa_system_sgpr_workgroup_info 0
		.amdhsa_system_vgpr_workitem_id 0
		.amdhsa_next_free_vgpr 38
		.amdhsa_next_free_sgpr 34
		.amdhsa_reserve_vcc 1
		.amdhsa_float_round_mode_32 0
		.amdhsa_float_round_mode_16_64 0
		.amdhsa_float_denorm_mode_32 3
		.amdhsa_float_denorm_mode_16_64 3
		.amdhsa_fp16_overflow 0
		.amdhsa_workgroup_processor_mode 1
		.amdhsa_memory_ordered 1
		.amdhsa_forward_progress 1
		.amdhsa_inst_pref_size 1
		.amdhsa_round_robin_scheduling 0
		.amdhsa_exception_fp_ieee_invalid_op 0
		.amdhsa_exception_fp_denorm_src 0
		.amdhsa_exception_fp_ieee_div_zero 0
		.amdhsa_exception_fp_ieee_overflow 0
		.amdhsa_exception_fp_ieee_underflow 0
		.amdhsa_exception_fp_ieee_inexact 0
		.amdhsa_exception_int_div_zero 0
	.end_amdhsa_kernel
	.section	.text._ZL13mul_mat_f_idsI15__hip_bfloat162Li64ELi4ELi2EEvPKT_PKfPKiS7_S7_Pfiiiiiiiiiiiiii15HIP_vector_typeIjLj3EESA_,"axG",@progbits,_ZL13mul_mat_f_idsI15__hip_bfloat162Li64ELi4ELi2EEvPKT_PKfPKiS7_S7_Pfiiiiiiiiiiiiii15HIP_vector_typeIjLj3EESA_,comdat
.Lfunc_end126:
	.size	_ZL13mul_mat_f_idsI15__hip_bfloat162Li64ELi4ELi2EEvPKT_PKfPKiS7_S7_Pfiiiiiiiiiiiiii15HIP_vector_typeIjLj3EESA_, .Lfunc_end126-_ZL13mul_mat_f_idsI15__hip_bfloat162Li64ELi4ELi2EEvPKT_PKfPKiS7_S7_Pfiiiiiiiiiiiiii15HIP_vector_typeIjLj3EESA_
                                        ; -- End function
	.set _ZL13mul_mat_f_idsI15__hip_bfloat162Li64ELi4ELi2EEvPKT_PKfPKiS7_S7_Pfiiiiiiiiiiiiii15HIP_vector_typeIjLj3EESA_.num_vgpr, max(3, .L_ZL14no_device_codePKciS0_iS0_.num_vgpr)
	.set _ZL13mul_mat_f_idsI15__hip_bfloat162Li64ELi4ELi2EEvPKT_PKfPKiS7_S7_Pfiiiiiiiiiiiiii15HIP_vector_typeIjLj3EESA_.num_agpr, max(0, .L_ZL14no_device_codePKciS0_iS0_.num_agpr)
	.set _ZL13mul_mat_f_idsI15__hip_bfloat162Li64ELi4ELi2EEvPKT_PKfPKiS7_S7_Pfiiiiiiiiiiiiii15HIP_vector_typeIjLj3EESA_.numbered_sgpr, max(33, .L_ZL14no_device_codePKciS0_iS0_.numbered_sgpr)
	.set _ZL13mul_mat_f_idsI15__hip_bfloat162Li64ELi4ELi2EEvPKT_PKfPKiS7_S7_Pfiiiiiiiiiiiiii15HIP_vector_typeIjLj3EESA_.num_named_barrier, max(0, .L_ZL14no_device_codePKciS0_iS0_.num_named_barrier)
	.set _ZL13mul_mat_f_idsI15__hip_bfloat162Li64ELi4ELi2EEvPKT_PKfPKiS7_S7_Pfiiiiiiiiiiiiii15HIP_vector_typeIjLj3EESA_.private_seg_size, 0+max(.L_ZL14no_device_codePKciS0_iS0_.private_seg_size)
	.set _ZL13mul_mat_f_idsI15__hip_bfloat162Li64ELi4ELi2EEvPKT_PKfPKiS7_S7_Pfiiiiiiiiiiiiii15HIP_vector_typeIjLj3EESA_.uses_vcc, or(1, .L_ZL14no_device_codePKciS0_iS0_.uses_vcc)
	.set _ZL13mul_mat_f_idsI15__hip_bfloat162Li64ELi4ELi2EEvPKT_PKfPKiS7_S7_Pfiiiiiiiiiiiiii15HIP_vector_typeIjLj3EESA_.uses_flat_scratch, or(0, .L_ZL14no_device_codePKciS0_iS0_.uses_flat_scratch)
	.set _ZL13mul_mat_f_idsI15__hip_bfloat162Li64ELi4ELi2EEvPKT_PKfPKiS7_S7_Pfiiiiiiiiiiiiii15HIP_vector_typeIjLj3EESA_.has_dyn_sized_stack, or(0, .L_ZL14no_device_codePKciS0_iS0_.has_dyn_sized_stack)
	.set _ZL13mul_mat_f_idsI15__hip_bfloat162Li64ELi4ELi2EEvPKT_PKfPKiS7_S7_Pfiiiiiiiiiiiiii15HIP_vector_typeIjLj3EESA_.has_recursion, or(0, .L_ZL14no_device_codePKciS0_iS0_.has_recursion)
	.set _ZL13mul_mat_f_idsI15__hip_bfloat162Li64ELi4ELi2EEvPKT_PKfPKiS7_S7_Pfiiiiiiiiiiiiii15HIP_vector_typeIjLj3EESA_.has_indirect_call, or(0, .L_ZL14no_device_codePKciS0_iS0_.has_indirect_call)
	.section	.AMDGPU.csdata,"",@progbits
; Kernel info:
; codeLenInByte = 80
; TotalNumSgprs: 36
; NumVgprs: 38
; ScratchSize: 16
; MemoryBound: 0
; FloatMode: 240
; IeeeMode: 1
; LDSByteSize: 0 bytes/workgroup (compile time only)
; SGPRBlocks: 0
; VGPRBlocks: 4
; NumSGPRsForWavesPerEU: 36
; NumVGPRsForWavesPerEU: 38
; Occupancy: 16
; WaveLimiterHint : 1
; COMPUTE_PGM_RSRC2:SCRATCH_EN: 1
; COMPUTE_PGM_RSRC2:USER_SGPR: 2
; COMPUTE_PGM_RSRC2:TRAP_HANDLER: 0
; COMPUTE_PGM_RSRC2:TGID_X_EN: 1
; COMPUTE_PGM_RSRC2:TGID_Y_EN: 0
; COMPUTE_PGM_RSRC2:TGID_Z_EN: 0
; COMPUTE_PGM_RSRC2:TIDIG_COMP_CNT: 0
	.section	.text._ZL9mul_mat_fI15__hip_bfloat162Li64ELi4ELi2ELb1EEvPKT_PKfPKiPfiiiiiiiiiiiiiiii,"axG",@progbits,_ZL9mul_mat_fI15__hip_bfloat162Li64ELi4ELi2ELb1EEvPKT_PKfPKiPfiiiiiiiiiiiiiiii,comdat
	.globl	_ZL9mul_mat_fI15__hip_bfloat162Li64ELi4ELi2ELb1EEvPKT_PKfPKiPfiiiiiiiiiiiiiiii ; -- Begin function _ZL9mul_mat_fI15__hip_bfloat162Li64ELi4ELi2ELb1EEvPKT_PKfPKiPfiiiiiiiiiiiiiiii
	.p2align	8
	.type	_ZL9mul_mat_fI15__hip_bfloat162Li64ELi4ELi2ELb1EEvPKT_PKfPKiPfiiiiiiiiiiiiiiii,@function
_ZL9mul_mat_fI15__hip_bfloat162Li64ELi4ELi2ELb1EEvPKT_PKfPKiPfiiiiiiiiiiiiiiii: ; @_ZL9mul_mat_fI15__hip_bfloat162Li64ELi4ELi2ELb1EEvPKT_PKfPKiPfiiiiiiiiiiiiiiii
; %bb.0:
	s_getpc_b64 s[2:3]
	s_sext_i32_i16 s3, s3
	s_add_co_u32 s2, s2, __FUNCTION__._ZL9mul_mat_fIfLi32ELi4ELi1ELb1EEvPKT_PKfPKiPfiiiiiiiiiiiiiiii@rel32@lo+8
	s_add_co_ci_u32 s3, s3, __FUNCTION__._ZL9mul_mat_fIfLi32ELi4ELi1ELb1EEvPKT_PKfPKiPfiiiiiiiiiiiiiiii@rel32@hi+16
	v_dual_mov_b32 v0, 59 :: v_dual_mov_b32 v1, s2
	v_mov_b32_e32 v2, s3
	s_add_nc_u64 s[8:9], s[0:1], 0x60
	s_getpc_b64 s[0:1]
	s_sext_i32_i16 s1, s1
	s_add_co_u32 s0, s0, _ZL14no_device_codePKciS0_iS0_@rel32@lo+8
	s_add_co_ci_u32 s1, s1, _ZL14no_device_codePKciS0_iS0_@rel32@hi+16
	s_mov_b32 s32, 0
	s_swappc_b64 s[30:31], s[0:1]
	.section	.rodata,"a",@progbits
	.p2align	6, 0x0
	.amdhsa_kernel _ZL9mul_mat_fI15__hip_bfloat162Li64ELi4ELi2ELb1EEvPKT_PKfPKiPfiiiiiiiiiiiiiiii
		.amdhsa_group_segment_fixed_size 0
		.amdhsa_private_segment_fixed_size 16
		.amdhsa_kernarg_size 352
		.amdhsa_user_sgpr_count 2
		.amdhsa_user_sgpr_dispatch_ptr 0
		.amdhsa_user_sgpr_queue_ptr 0
		.amdhsa_user_sgpr_kernarg_segment_ptr 1
		.amdhsa_user_sgpr_dispatch_id 0
		.amdhsa_user_sgpr_private_segment_size 0
		.amdhsa_wavefront_size32 1
		.amdhsa_uses_dynamic_stack 0
		.amdhsa_enable_private_segment 1
		.amdhsa_system_sgpr_workgroup_id_x 1
		.amdhsa_system_sgpr_workgroup_id_y 0
		.amdhsa_system_sgpr_workgroup_id_z 0
		.amdhsa_system_sgpr_workgroup_info 0
		.amdhsa_system_vgpr_workitem_id 0
		.amdhsa_next_free_vgpr 38
		.amdhsa_next_free_sgpr 34
		.amdhsa_reserve_vcc 1
		.amdhsa_float_round_mode_32 0
		.amdhsa_float_round_mode_16_64 0
		.amdhsa_float_denorm_mode_32 3
		.amdhsa_float_denorm_mode_16_64 3
		.amdhsa_fp16_overflow 0
		.amdhsa_workgroup_processor_mode 1
		.amdhsa_memory_ordered 1
		.amdhsa_forward_progress 1
		.amdhsa_inst_pref_size 1
		.amdhsa_round_robin_scheduling 0
		.amdhsa_exception_fp_ieee_invalid_op 0
		.amdhsa_exception_fp_denorm_src 0
		.amdhsa_exception_fp_ieee_div_zero 0
		.amdhsa_exception_fp_ieee_overflow 0
		.amdhsa_exception_fp_ieee_underflow 0
		.amdhsa_exception_fp_ieee_inexact 0
		.amdhsa_exception_int_div_zero 0
	.end_amdhsa_kernel
	.section	.text._ZL9mul_mat_fI15__hip_bfloat162Li64ELi4ELi2ELb1EEvPKT_PKfPKiPfiiiiiiiiiiiiiiii,"axG",@progbits,_ZL9mul_mat_fI15__hip_bfloat162Li64ELi4ELi2ELb1EEvPKT_PKfPKiPfiiiiiiiiiiiiiiii,comdat
.Lfunc_end127:
	.size	_ZL9mul_mat_fI15__hip_bfloat162Li64ELi4ELi2ELb1EEvPKT_PKfPKiPfiiiiiiiiiiiiiiii, .Lfunc_end127-_ZL9mul_mat_fI15__hip_bfloat162Li64ELi4ELi2ELb1EEvPKT_PKfPKiPfiiiiiiiiiiiiiiii
                                        ; -- End function
	.set _ZL9mul_mat_fI15__hip_bfloat162Li64ELi4ELi2ELb1EEvPKT_PKfPKiPfiiiiiiiiiiiiiiii.num_vgpr, max(3, .L_ZL14no_device_codePKciS0_iS0_.num_vgpr)
	.set _ZL9mul_mat_fI15__hip_bfloat162Li64ELi4ELi2ELb1EEvPKT_PKfPKiPfiiiiiiiiiiiiiiii.num_agpr, max(0, .L_ZL14no_device_codePKciS0_iS0_.num_agpr)
	.set _ZL9mul_mat_fI15__hip_bfloat162Li64ELi4ELi2ELb1EEvPKT_PKfPKiPfiiiiiiiiiiiiiiii.numbered_sgpr, max(33, .L_ZL14no_device_codePKciS0_iS0_.numbered_sgpr)
	.set _ZL9mul_mat_fI15__hip_bfloat162Li64ELi4ELi2ELb1EEvPKT_PKfPKiPfiiiiiiiiiiiiiiii.num_named_barrier, max(0, .L_ZL14no_device_codePKciS0_iS0_.num_named_barrier)
	.set _ZL9mul_mat_fI15__hip_bfloat162Li64ELi4ELi2ELb1EEvPKT_PKfPKiPfiiiiiiiiiiiiiiii.private_seg_size, 0+max(.L_ZL14no_device_codePKciS0_iS0_.private_seg_size)
	.set _ZL9mul_mat_fI15__hip_bfloat162Li64ELi4ELi2ELb1EEvPKT_PKfPKiPfiiiiiiiiiiiiiiii.uses_vcc, or(1, .L_ZL14no_device_codePKciS0_iS0_.uses_vcc)
	.set _ZL9mul_mat_fI15__hip_bfloat162Li64ELi4ELi2ELb1EEvPKT_PKfPKiPfiiiiiiiiiiiiiiii.uses_flat_scratch, or(0, .L_ZL14no_device_codePKciS0_iS0_.uses_flat_scratch)
	.set _ZL9mul_mat_fI15__hip_bfloat162Li64ELi4ELi2ELb1EEvPKT_PKfPKiPfiiiiiiiiiiiiiiii.has_dyn_sized_stack, or(0, .L_ZL14no_device_codePKciS0_iS0_.has_dyn_sized_stack)
	.set _ZL9mul_mat_fI15__hip_bfloat162Li64ELi4ELi2ELb1EEvPKT_PKfPKiPfiiiiiiiiiiiiiiii.has_recursion, or(0, .L_ZL14no_device_codePKciS0_iS0_.has_recursion)
	.set _ZL9mul_mat_fI15__hip_bfloat162Li64ELi4ELi2ELb1EEvPKT_PKfPKiPfiiiiiiiiiiiiiiii.has_indirect_call, or(0, .L_ZL14no_device_codePKciS0_iS0_.has_indirect_call)
	.section	.AMDGPU.csdata,"",@progbits
; Kernel info:
; codeLenInByte = 76
; TotalNumSgprs: 36
; NumVgprs: 38
; ScratchSize: 16
; MemoryBound: 0
; FloatMode: 240
; IeeeMode: 1
; LDSByteSize: 0 bytes/workgroup (compile time only)
; SGPRBlocks: 0
; VGPRBlocks: 4
; NumSGPRsForWavesPerEU: 36
; NumVGPRsForWavesPerEU: 38
; Occupancy: 16
; WaveLimiterHint : 1
; COMPUTE_PGM_RSRC2:SCRATCH_EN: 1
; COMPUTE_PGM_RSRC2:USER_SGPR: 2
; COMPUTE_PGM_RSRC2:TRAP_HANDLER: 0
; COMPUTE_PGM_RSRC2:TGID_X_EN: 1
; COMPUTE_PGM_RSRC2:TGID_Y_EN: 0
; COMPUTE_PGM_RSRC2:TGID_Z_EN: 0
; COMPUTE_PGM_RSRC2:TIDIG_COMP_CNT: 0
	.section	.text._ZL9mul_mat_fI15__hip_bfloat162Li64ELi4ELi2ELb0EEvPKT_PKfPKiPfiiiiiiiiiiiiiiii,"axG",@progbits,_ZL9mul_mat_fI15__hip_bfloat162Li64ELi4ELi2ELb0EEvPKT_PKfPKiPfiiiiiiiiiiiiiiii,comdat
	.globl	_ZL9mul_mat_fI15__hip_bfloat162Li64ELi4ELi2ELb0EEvPKT_PKfPKiPfiiiiiiiiiiiiiiii ; -- Begin function _ZL9mul_mat_fI15__hip_bfloat162Li64ELi4ELi2ELb0EEvPKT_PKfPKiPfiiiiiiiiiiiiiiii
	.p2align	8
	.type	_ZL9mul_mat_fI15__hip_bfloat162Li64ELi4ELi2ELb0EEvPKT_PKfPKiPfiiiiiiiiiiiiiiii,@function
_ZL9mul_mat_fI15__hip_bfloat162Li64ELi4ELi2ELb0EEvPKT_PKfPKiPfiiiiiiiiiiiiiiii: ; @_ZL9mul_mat_fI15__hip_bfloat162Li64ELi4ELi2ELb0EEvPKT_PKfPKiPfiiiiiiiiiiiiiiii
; %bb.0:
	s_getpc_b64 s[2:3]
	s_sext_i32_i16 s3, s3
	s_add_co_u32 s2, s2, __FUNCTION__._ZL9mul_mat_fIfLi32ELi4ELi1ELb1EEvPKT_PKfPKiPfiiiiiiiiiiiiiiii@rel32@lo+8
	s_add_co_ci_u32 s3, s3, __FUNCTION__._ZL9mul_mat_fIfLi32ELi4ELi1ELb1EEvPKT_PKfPKiPfiiiiiiiiiiiiiiii@rel32@hi+16
	v_dual_mov_b32 v0, 59 :: v_dual_mov_b32 v1, s2
	v_mov_b32_e32 v2, s3
	s_add_nc_u64 s[8:9], s[0:1], 0x60
	s_getpc_b64 s[0:1]
	s_sext_i32_i16 s1, s1
	s_add_co_u32 s0, s0, _ZL14no_device_codePKciS0_iS0_@rel32@lo+8
	s_add_co_ci_u32 s1, s1, _ZL14no_device_codePKciS0_iS0_@rel32@hi+16
	s_mov_b32 s32, 0
	s_swappc_b64 s[30:31], s[0:1]
	.section	.rodata,"a",@progbits
	.p2align	6, 0x0
	.amdhsa_kernel _ZL9mul_mat_fI15__hip_bfloat162Li64ELi4ELi2ELb0EEvPKT_PKfPKiPfiiiiiiiiiiiiiiii
		.amdhsa_group_segment_fixed_size 0
		.amdhsa_private_segment_fixed_size 16
		.amdhsa_kernarg_size 352
		.amdhsa_user_sgpr_count 2
		.amdhsa_user_sgpr_dispatch_ptr 0
		.amdhsa_user_sgpr_queue_ptr 0
		.amdhsa_user_sgpr_kernarg_segment_ptr 1
		.amdhsa_user_sgpr_dispatch_id 0
		.amdhsa_user_sgpr_private_segment_size 0
		.amdhsa_wavefront_size32 1
		.amdhsa_uses_dynamic_stack 0
		.amdhsa_enable_private_segment 1
		.amdhsa_system_sgpr_workgroup_id_x 1
		.amdhsa_system_sgpr_workgroup_id_y 0
		.amdhsa_system_sgpr_workgroup_id_z 0
		.amdhsa_system_sgpr_workgroup_info 0
		.amdhsa_system_vgpr_workitem_id 0
		.amdhsa_next_free_vgpr 38
		.amdhsa_next_free_sgpr 34
		.amdhsa_reserve_vcc 1
		.amdhsa_float_round_mode_32 0
		.amdhsa_float_round_mode_16_64 0
		.amdhsa_float_denorm_mode_32 3
		.amdhsa_float_denorm_mode_16_64 3
		.amdhsa_fp16_overflow 0
		.amdhsa_workgroup_processor_mode 1
		.amdhsa_memory_ordered 1
		.amdhsa_forward_progress 1
		.amdhsa_inst_pref_size 1
		.amdhsa_round_robin_scheduling 0
		.amdhsa_exception_fp_ieee_invalid_op 0
		.amdhsa_exception_fp_denorm_src 0
		.amdhsa_exception_fp_ieee_div_zero 0
		.amdhsa_exception_fp_ieee_overflow 0
		.amdhsa_exception_fp_ieee_underflow 0
		.amdhsa_exception_fp_ieee_inexact 0
		.amdhsa_exception_int_div_zero 0
	.end_amdhsa_kernel
	.section	.text._ZL9mul_mat_fI15__hip_bfloat162Li64ELi4ELi2ELb0EEvPKT_PKfPKiPfiiiiiiiiiiiiiiii,"axG",@progbits,_ZL9mul_mat_fI15__hip_bfloat162Li64ELi4ELi2ELb0EEvPKT_PKfPKiPfiiiiiiiiiiiiiiii,comdat
.Lfunc_end128:
	.size	_ZL9mul_mat_fI15__hip_bfloat162Li64ELi4ELi2ELb0EEvPKT_PKfPKiPfiiiiiiiiiiiiiiii, .Lfunc_end128-_ZL9mul_mat_fI15__hip_bfloat162Li64ELi4ELi2ELb0EEvPKT_PKfPKiPfiiiiiiiiiiiiiiii
                                        ; -- End function
	.set _ZL9mul_mat_fI15__hip_bfloat162Li64ELi4ELi2ELb0EEvPKT_PKfPKiPfiiiiiiiiiiiiiiii.num_vgpr, max(3, .L_ZL14no_device_codePKciS0_iS0_.num_vgpr)
	.set _ZL9mul_mat_fI15__hip_bfloat162Li64ELi4ELi2ELb0EEvPKT_PKfPKiPfiiiiiiiiiiiiiiii.num_agpr, max(0, .L_ZL14no_device_codePKciS0_iS0_.num_agpr)
	.set _ZL9mul_mat_fI15__hip_bfloat162Li64ELi4ELi2ELb0EEvPKT_PKfPKiPfiiiiiiiiiiiiiiii.numbered_sgpr, max(33, .L_ZL14no_device_codePKciS0_iS0_.numbered_sgpr)
	.set _ZL9mul_mat_fI15__hip_bfloat162Li64ELi4ELi2ELb0EEvPKT_PKfPKiPfiiiiiiiiiiiiiiii.num_named_barrier, max(0, .L_ZL14no_device_codePKciS0_iS0_.num_named_barrier)
	.set _ZL9mul_mat_fI15__hip_bfloat162Li64ELi4ELi2ELb0EEvPKT_PKfPKiPfiiiiiiiiiiiiiiii.private_seg_size, 0+max(.L_ZL14no_device_codePKciS0_iS0_.private_seg_size)
	.set _ZL9mul_mat_fI15__hip_bfloat162Li64ELi4ELi2ELb0EEvPKT_PKfPKiPfiiiiiiiiiiiiiiii.uses_vcc, or(1, .L_ZL14no_device_codePKciS0_iS0_.uses_vcc)
	.set _ZL9mul_mat_fI15__hip_bfloat162Li64ELi4ELi2ELb0EEvPKT_PKfPKiPfiiiiiiiiiiiiiiii.uses_flat_scratch, or(0, .L_ZL14no_device_codePKciS0_iS0_.uses_flat_scratch)
	.set _ZL9mul_mat_fI15__hip_bfloat162Li64ELi4ELi2ELb0EEvPKT_PKfPKiPfiiiiiiiiiiiiiiii.has_dyn_sized_stack, or(0, .L_ZL14no_device_codePKciS0_iS0_.has_dyn_sized_stack)
	.set _ZL9mul_mat_fI15__hip_bfloat162Li64ELi4ELi2ELb0EEvPKT_PKfPKiPfiiiiiiiiiiiiiiii.has_recursion, or(0, .L_ZL14no_device_codePKciS0_iS0_.has_recursion)
	.set _ZL9mul_mat_fI15__hip_bfloat162Li64ELi4ELi2ELb0EEvPKT_PKfPKiPfiiiiiiiiiiiiiiii.has_indirect_call, or(0, .L_ZL14no_device_codePKciS0_iS0_.has_indirect_call)
	.section	.AMDGPU.csdata,"",@progbits
; Kernel info:
; codeLenInByte = 76
; TotalNumSgprs: 36
; NumVgprs: 38
; ScratchSize: 16
; MemoryBound: 0
; FloatMode: 240
; IeeeMode: 1
; LDSByteSize: 0 bytes/workgroup (compile time only)
; SGPRBlocks: 0
; VGPRBlocks: 4
; NumSGPRsForWavesPerEU: 36
; NumVGPRsForWavesPerEU: 38
; Occupancy: 16
; WaveLimiterHint : 1
; COMPUTE_PGM_RSRC2:SCRATCH_EN: 1
; COMPUTE_PGM_RSRC2:USER_SGPR: 2
; COMPUTE_PGM_RSRC2:TRAP_HANDLER: 0
; COMPUTE_PGM_RSRC2:TGID_X_EN: 1
; COMPUTE_PGM_RSRC2:TGID_Y_EN: 0
; COMPUTE_PGM_RSRC2:TGID_Z_EN: 0
; COMPUTE_PGM_RSRC2:TIDIG_COMP_CNT: 0
	.section	.text._ZL13mul_mat_f_idsI15__hip_bfloat162Li64ELi4ELi3EEvPKT_PKfPKiS7_S7_Pfiiiiiiiiiiiiii15HIP_vector_typeIjLj3EESA_,"axG",@progbits,_ZL13mul_mat_f_idsI15__hip_bfloat162Li64ELi4ELi3EEvPKT_PKfPKiS7_S7_Pfiiiiiiiiiiiiii15HIP_vector_typeIjLj3EESA_,comdat
	.globl	_ZL13mul_mat_f_idsI15__hip_bfloat162Li64ELi4ELi3EEvPKT_PKfPKiS7_S7_Pfiiiiiiiiiiiiii15HIP_vector_typeIjLj3EESA_ ; -- Begin function _ZL13mul_mat_f_idsI15__hip_bfloat162Li64ELi4ELi3EEvPKT_PKfPKiS7_S7_Pfiiiiiiiiiiiiii15HIP_vector_typeIjLj3EESA_
	.p2align	8
	.type	_ZL13mul_mat_f_idsI15__hip_bfloat162Li64ELi4ELi3EEvPKT_PKfPKiS7_S7_Pfiiiiiiiiiiiiii15HIP_vector_typeIjLj3EESA_,@function
_ZL13mul_mat_f_idsI15__hip_bfloat162Li64ELi4ELi3EEvPKT_PKfPKiS7_S7_Pfiiiiiiiiiiiiii15HIP_vector_typeIjLj3EESA_: ; @_ZL13mul_mat_f_idsI15__hip_bfloat162Li64ELi4ELi3EEvPKT_PKfPKiS7_S7_Pfiiiiiiiiiiiiii15HIP_vector_typeIjLj3EESA_
; %bb.0:
	s_getpc_b64 s[2:3]
	s_sext_i32_i16 s3, s3
	s_add_co_u32 s2, s2, __FUNCTION__._ZL13mul_mat_f_idsIfLi32ELi4ELi1EEvPKT_PKfPKiS6_S6_Pfiiiiiiiiiiiiii15HIP_vector_typeIjLj3EES9_@rel32@lo+8
	s_add_co_ci_u32 s3, s3, __FUNCTION__._ZL13mul_mat_f_idsIfLi32ELi4ELi1EEvPKT_PKfPKiS6_S6_Pfiiiiiiiiiiiiii15HIP_vector_typeIjLj3EES9_@rel32@hi+16
	v_dual_mov_b32 v0, 0x136 :: v_dual_mov_b32 v1, s2
	v_mov_b32_e32 v2, s3
	s_add_nc_u64 s[8:9], s[0:1], 0x80
	s_getpc_b64 s[0:1]
	s_sext_i32_i16 s1, s1
	s_add_co_u32 s0, s0, _ZL14no_device_codePKciS0_iS0_@rel32@lo+8
	s_add_co_ci_u32 s1, s1, _ZL14no_device_codePKciS0_iS0_@rel32@hi+16
	s_mov_b32 s32, 0
	s_swappc_b64 s[30:31], s[0:1]
	.section	.rodata,"a",@progbits
	.p2align	6, 0x0
	.amdhsa_kernel _ZL13mul_mat_f_idsI15__hip_bfloat162Li64ELi4ELi3EEvPKT_PKfPKiS7_S7_Pfiiiiiiiiiiiiii15HIP_vector_typeIjLj3EESA_
		.amdhsa_group_segment_fixed_size 0
		.amdhsa_private_segment_fixed_size 16
		.amdhsa_kernarg_size 384
		.amdhsa_user_sgpr_count 2
		.amdhsa_user_sgpr_dispatch_ptr 0
		.amdhsa_user_sgpr_queue_ptr 0
		.amdhsa_user_sgpr_kernarg_segment_ptr 1
		.amdhsa_user_sgpr_dispatch_id 0
		.amdhsa_user_sgpr_private_segment_size 0
		.amdhsa_wavefront_size32 1
		.amdhsa_uses_dynamic_stack 0
		.amdhsa_enable_private_segment 1
		.amdhsa_system_sgpr_workgroup_id_x 1
		.amdhsa_system_sgpr_workgroup_id_y 0
		.amdhsa_system_sgpr_workgroup_id_z 0
		.amdhsa_system_sgpr_workgroup_info 0
		.amdhsa_system_vgpr_workitem_id 0
		.amdhsa_next_free_vgpr 38
		.amdhsa_next_free_sgpr 34
		.amdhsa_reserve_vcc 1
		.amdhsa_float_round_mode_32 0
		.amdhsa_float_round_mode_16_64 0
		.amdhsa_float_denorm_mode_32 3
		.amdhsa_float_denorm_mode_16_64 3
		.amdhsa_fp16_overflow 0
		.amdhsa_workgroup_processor_mode 1
		.amdhsa_memory_ordered 1
		.amdhsa_forward_progress 1
		.amdhsa_inst_pref_size 1
		.amdhsa_round_robin_scheduling 0
		.amdhsa_exception_fp_ieee_invalid_op 0
		.amdhsa_exception_fp_denorm_src 0
		.amdhsa_exception_fp_ieee_div_zero 0
		.amdhsa_exception_fp_ieee_overflow 0
		.amdhsa_exception_fp_ieee_underflow 0
		.amdhsa_exception_fp_ieee_inexact 0
		.amdhsa_exception_int_div_zero 0
	.end_amdhsa_kernel
	.section	.text._ZL13mul_mat_f_idsI15__hip_bfloat162Li64ELi4ELi3EEvPKT_PKfPKiS7_S7_Pfiiiiiiiiiiiiii15HIP_vector_typeIjLj3EESA_,"axG",@progbits,_ZL13mul_mat_f_idsI15__hip_bfloat162Li64ELi4ELi3EEvPKT_PKfPKiS7_S7_Pfiiiiiiiiiiiiii15HIP_vector_typeIjLj3EESA_,comdat
.Lfunc_end129:
	.size	_ZL13mul_mat_f_idsI15__hip_bfloat162Li64ELi4ELi3EEvPKT_PKfPKiS7_S7_Pfiiiiiiiiiiiiii15HIP_vector_typeIjLj3EESA_, .Lfunc_end129-_ZL13mul_mat_f_idsI15__hip_bfloat162Li64ELi4ELi3EEvPKT_PKfPKiS7_S7_Pfiiiiiiiiiiiiii15HIP_vector_typeIjLj3EESA_
                                        ; -- End function
	.set _ZL13mul_mat_f_idsI15__hip_bfloat162Li64ELi4ELi3EEvPKT_PKfPKiS7_S7_Pfiiiiiiiiiiiiii15HIP_vector_typeIjLj3EESA_.num_vgpr, max(3, .L_ZL14no_device_codePKciS0_iS0_.num_vgpr)
	.set _ZL13mul_mat_f_idsI15__hip_bfloat162Li64ELi4ELi3EEvPKT_PKfPKiS7_S7_Pfiiiiiiiiiiiiii15HIP_vector_typeIjLj3EESA_.num_agpr, max(0, .L_ZL14no_device_codePKciS0_iS0_.num_agpr)
	.set _ZL13mul_mat_f_idsI15__hip_bfloat162Li64ELi4ELi3EEvPKT_PKfPKiS7_S7_Pfiiiiiiiiiiiiii15HIP_vector_typeIjLj3EESA_.numbered_sgpr, max(33, .L_ZL14no_device_codePKciS0_iS0_.numbered_sgpr)
	.set _ZL13mul_mat_f_idsI15__hip_bfloat162Li64ELi4ELi3EEvPKT_PKfPKiS7_S7_Pfiiiiiiiiiiiiii15HIP_vector_typeIjLj3EESA_.num_named_barrier, max(0, .L_ZL14no_device_codePKciS0_iS0_.num_named_barrier)
	.set _ZL13mul_mat_f_idsI15__hip_bfloat162Li64ELi4ELi3EEvPKT_PKfPKiS7_S7_Pfiiiiiiiiiiiiii15HIP_vector_typeIjLj3EESA_.private_seg_size, 0+max(.L_ZL14no_device_codePKciS0_iS0_.private_seg_size)
	.set _ZL13mul_mat_f_idsI15__hip_bfloat162Li64ELi4ELi3EEvPKT_PKfPKiS7_S7_Pfiiiiiiiiiiiiii15HIP_vector_typeIjLj3EESA_.uses_vcc, or(1, .L_ZL14no_device_codePKciS0_iS0_.uses_vcc)
	.set _ZL13mul_mat_f_idsI15__hip_bfloat162Li64ELi4ELi3EEvPKT_PKfPKiS7_S7_Pfiiiiiiiiiiiiii15HIP_vector_typeIjLj3EESA_.uses_flat_scratch, or(0, .L_ZL14no_device_codePKciS0_iS0_.uses_flat_scratch)
	.set _ZL13mul_mat_f_idsI15__hip_bfloat162Li64ELi4ELi3EEvPKT_PKfPKiS7_S7_Pfiiiiiiiiiiiiii15HIP_vector_typeIjLj3EESA_.has_dyn_sized_stack, or(0, .L_ZL14no_device_codePKciS0_iS0_.has_dyn_sized_stack)
	.set _ZL13mul_mat_f_idsI15__hip_bfloat162Li64ELi4ELi3EEvPKT_PKfPKiS7_S7_Pfiiiiiiiiiiiiii15HIP_vector_typeIjLj3EESA_.has_recursion, or(0, .L_ZL14no_device_codePKciS0_iS0_.has_recursion)
	.set _ZL13mul_mat_f_idsI15__hip_bfloat162Li64ELi4ELi3EEvPKT_PKfPKiS7_S7_Pfiiiiiiiiiiiiii15HIP_vector_typeIjLj3EESA_.has_indirect_call, or(0, .L_ZL14no_device_codePKciS0_iS0_.has_indirect_call)
	.section	.AMDGPU.csdata,"",@progbits
; Kernel info:
; codeLenInByte = 80
; TotalNumSgprs: 36
; NumVgprs: 38
; ScratchSize: 16
; MemoryBound: 0
; FloatMode: 240
; IeeeMode: 1
; LDSByteSize: 0 bytes/workgroup (compile time only)
; SGPRBlocks: 0
; VGPRBlocks: 4
; NumSGPRsForWavesPerEU: 36
; NumVGPRsForWavesPerEU: 38
; Occupancy: 16
; WaveLimiterHint : 1
; COMPUTE_PGM_RSRC2:SCRATCH_EN: 1
; COMPUTE_PGM_RSRC2:USER_SGPR: 2
; COMPUTE_PGM_RSRC2:TRAP_HANDLER: 0
; COMPUTE_PGM_RSRC2:TGID_X_EN: 1
; COMPUTE_PGM_RSRC2:TGID_Y_EN: 0
; COMPUTE_PGM_RSRC2:TGID_Z_EN: 0
; COMPUTE_PGM_RSRC2:TIDIG_COMP_CNT: 0
	.section	.text._ZL9mul_mat_fI15__hip_bfloat162Li64ELi4ELi3ELb1EEvPKT_PKfPKiPfiiiiiiiiiiiiiiii,"axG",@progbits,_ZL9mul_mat_fI15__hip_bfloat162Li64ELi4ELi3ELb1EEvPKT_PKfPKiPfiiiiiiiiiiiiiiii,comdat
	.globl	_ZL9mul_mat_fI15__hip_bfloat162Li64ELi4ELi3ELb1EEvPKT_PKfPKiPfiiiiiiiiiiiiiiii ; -- Begin function _ZL9mul_mat_fI15__hip_bfloat162Li64ELi4ELi3ELb1EEvPKT_PKfPKiPfiiiiiiiiiiiiiiii
	.p2align	8
	.type	_ZL9mul_mat_fI15__hip_bfloat162Li64ELi4ELi3ELb1EEvPKT_PKfPKiPfiiiiiiiiiiiiiiii,@function
_ZL9mul_mat_fI15__hip_bfloat162Li64ELi4ELi3ELb1EEvPKT_PKfPKiPfiiiiiiiiiiiiiiii: ; @_ZL9mul_mat_fI15__hip_bfloat162Li64ELi4ELi3ELb1EEvPKT_PKfPKiPfiiiiiiiiiiiiiiii
; %bb.0:
	s_getpc_b64 s[2:3]
	s_sext_i32_i16 s3, s3
	s_add_co_u32 s2, s2, __FUNCTION__._ZL9mul_mat_fIfLi32ELi4ELi1ELb1EEvPKT_PKfPKiPfiiiiiiiiiiiiiiii@rel32@lo+8
	s_add_co_ci_u32 s3, s3, __FUNCTION__._ZL9mul_mat_fIfLi32ELi4ELi1ELb1EEvPKT_PKfPKiPfiiiiiiiiiiiiiiii@rel32@hi+16
	v_dual_mov_b32 v0, 59 :: v_dual_mov_b32 v1, s2
	v_mov_b32_e32 v2, s3
	s_add_nc_u64 s[8:9], s[0:1], 0x60
	s_getpc_b64 s[0:1]
	s_sext_i32_i16 s1, s1
	s_add_co_u32 s0, s0, _ZL14no_device_codePKciS0_iS0_@rel32@lo+8
	s_add_co_ci_u32 s1, s1, _ZL14no_device_codePKciS0_iS0_@rel32@hi+16
	s_mov_b32 s32, 0
	s_swappc_b64 s[30:31], s[0:1]
	.section	.rodata,"a",@progbits
	.p2align	6, 0x0
	.amdhsa_kernel _ZL9mul_mat_fI15__hip_bfloat162Li64ELi4ELi3ELb1EEvPKT_PKfPKiPfiiiiiiiiiiiiiiii
		.amdhsa_group_segment_fixed_size 0
		.amdhsa_private_segment_fixed_size 16
		.amdhsa_kernarg_size 352
		.amdhsa_user_sgpr_count 2
		.amdhsa_user_sgpr_dispatch_ptr 0
		.amdhsa_user_sgpr_queue_ptr 0
		.amdhsa_user_sgpr_kernarg_segment_ptr 1
		.amdhsa_user_sgpr_dispatch_id 0
		.amdhsa_user_sgpr_private_segment_size 0
		.amdhsa_wavefront_size32 1
		.amdhsa_uses_dynamic_stack 0
		.amdhsa_enable_private_segment 1
		.amdhsa_system_sgpr_workgroup_id_x 1
		.amdhsa_system_sgpr_workgroup_id_y 0
		.amdhsa_system_sgpr_workgroup_id_z 0
		.amdhsa_system_sgpr_workgroup_info 0
		.amdhsa_system_vgpr_workitem_id 0
		.amdhsa_next_free_vgpr 38
		.amdhsa_next_free_sgpr 34
		.amdhsa_reserve_vcc 1
		.amdhsa_float_round_mode_32 0
		.amdhsa_float_round_mode_16_64 0
		.amdhsa_float_denorm_mode_32 3
		.amdhsa_float_denorm_mode_16_64 3
		.amdhsa_fp16_overflow 0
		.amdhsa_workgroup_processor_mode 1
		.amdhsa_memory_ordered 1
		.amdhsa_forward_progress 1
		.amdhsa_inst_pref_size 1
		.amdhsa_round_robin_scheduling 0
		.amdhsa_exception_fp_ieee_invalid_op 0
		.amdhsa_exception_fp_denorm_src 0
		.amdhsa_exception_fp_ieee_div_zero 0
		.amdhsa_exception_fp_ieee_overflow 0
		.amdhsa_exception_fp_ieee_underflow 0
		.amdhsa_exception_fp_ieee_inexact 0
		.amdhsa_exception_int_div_zero 0
	.end_amdhsa_kernel
	.section	.text._ZL9mul_mat_fI15__hip_bfloat162Li64ELi4ELi3ELb1EEvPKT_PKfPKiPfiiiiiiiiiiiiiiii,"axG",@progbits,_ZL9mul_mat_fI15__hip_bfloat162Li64ELi4ELi3ELb1EEvPKT_PKfPKiPfiiiiiiiiiiiiiiii,comdat
.Lfunc_end130:
	.size	_ZL9mul_mat_fI15__hip_bfloat162Li64ELi4ELi3ELb1EEvPKT_PKfPKiPfiiiiiiiiiiiiiiii, .Lfunc_end130-_ZL9mul_mat_fI15__hip_bfloat162Li64ELi4ELi3ELb1EEvPKT_PKfPKiPfiiiiiiiiiiiiiiii
                                        ; -- End function
	.set _ZL9mul_mat_fI15__hip_bfloat162Li64ELi4ELi3ELb1EEvPKT_PKfPKiPfiiiiiiiiiiiiiiii.num_vgpr, max(3, .L_ZL14no_device_codePKciS0_iS0_.num_vgpr)
	.set _ZL9mul_mat_fI15__hip_bfloat162Li64ELi4ELi3ELb1EEvPKT_PKfPKiPfiiiiiiiiiiiiiiii.num_agpr, max(0, .L_ZL14no_device_codePKciS0_iS0_.num_agpr)
	.set _ZL9mul_mat_fI15__hip_bfloat162Li64ELi4ELi3ELb1EEvPKT_PKfPKiPfiiiiiiiiiiiiiiii.numbered_sgpr, max(33, .L_ZL14no_device_codePKciS0_iS0_.numbered_sgpr)
	.set _ZL9mul_mat_fI15__hip_bfloat162Li64ELi4ELi3ELb1EEvPKT_PKfPKiPfiiiiiiiiiiiiiiii.num_named_barrier, max(0, .L_ZL14no_device_codePKciS0_iS0_.num_named_barrier)
	.set _ZL9mul_mat_fI15__hip_bfloat162Li64ELi4ELi3ELb1EEvPKT_PKfPKiPfiiiiiiiiiiiiiiii.private_seg_size, 0+max(.L_ZL14no_device_codePKciS0_iS0_.private_seg_size)
	.set _ZL9mul_mat_fI15__hip_bfloat162Li64ELi4ELi3ELb1EEvPKT_PKfPKiPfiiiiiiiiiiiiiiii.uses_vcc, or(1, .L_ZL14no_device_codePKciS0_iS0_.uses_vcc)
	.set _ZL9mul_mat_fI15__hip_bfloat162Li64ELi4ELi3ELb1EEvPKT_PKfPKiPfiiiiiiiiiiiiiiii.uses_flat_scratch, or(0, .L_ZL14no_device_codePKciS0_iS0_.uses_flat_scratch)
	.set _ZL9mul_mat_fI15__hip_bfloat162Li64ELi4ELi3ELb1EEvPKT_PKfPKiPfiiiiiiiiiiiiiiii.has_dyn_sized_stack, or(0, .L_ZL14no_device_codePKciS0_iS0_.has_dyn_sized_stack)
	.set _ZL9mul_mat_fI15__hip_bfloat162Li64ELi4ELi3ELb1EEvPKT_PKfPKiPfiiiiiiiiiiiiiiii.has_recursion, or(0, .L_ZL14no_device_codePKciS0_iS0_.has_recursion)
	.set _ZL9mul_mat_fI15__hip_bfloat162Li64ELi4ELi3ELb1EEvPKT_PKfPKiPfiiiiiiiiiiiiiiii.has_indirect_call, or(0, .L_ZL14no_device_codePKciS0_iS0_.has_indirect_call)
	.section	.AMDGPU.csdata,"",@progbits
; Kernel info:
; codeLenInByte = 76
; TotalNumSgprs: 36
; NumVgprs: 38
; ScratchSize: 16
; MemoryBound: 0
; FloatMode: 240
; IeeeMode: 1
; LDSByteSize: 0 bytes/workgroup (compile time only)
; SGPRBlocks: 0
; VGPRBlocks: 4
; NumSGPRsForWavesPerEU: 36
; NumVGPRsForWavesPerEU: 38
; Occupancy: 16
; WaveLimiterHint : 1
; COMPUTE_PGM_RSRC2:SCRATCH_EN: 1
; COMPUTE_PGM_RSRC2:USER_SGPR: 2
; COMPUTE_PGM_RSRC2:TRAP_HANDLER: 0
; COMPUTE_PGM_RSRC2:TGID_X_EN: 1
; COMPUTE_PGM_RSRC2:TGID_Y_EN: 0
; COMPUTE_PGM_RSRC2:TGID_Z_EN: 0
; COMPUTE_PGM_RSRC2:TIDIG_COMP_CNT: 0
	.section	.text._ZL9mul_mat_fI15__hip_bfloat162Li64ELi4ELi3ELb0EEvPKT_PKfPKiPfiiiiiiiiiiiiiiii,"axG",@progbits,_ZL9mul_mat_fI15__hip_bfloat162Li64ELi4ELi3ELb0EEvPKT_PKfPKiPfiiiiiiiiiiiiiiii,comdat
	.globl	_ZL9mul_mat_fI15__hip_bfloat162Li64ELi4ELi3ELb0EEvPKT_PKfPKiPfiiiiiiiiiiiiiiii ; -- Begin function _ZL9mul_mat_fI15__hip_bfloat162Li64ELi4ELi3ELb0EEvPKT_PKfPKiPfiiiiiiiiiiiiiiii
	.p2align	8
	.type	_ZL9mul_mat_fI15__hip_bfloat162Li64ELi4ELi3ELb0EEvPKT_PKfPKiPfiiiiiiiiiiiiiiii,@function
_ZL9mul_mat_fI15__hip_bfloat162Li64ELi4ELi3ELb0EEvPKT_PKfPKiPfiiiiiiiiiiiiiiii: ; @_ZL9mul_mat_fI15__hip_bfloat162Li64ELi4ELi3ELb0EEvPKT_PKfPKiPfiiiiiiiiiiiiiiii
; %bb.0:
	s_getpc_b64 s[2:3]
	s_sext_i32_i16 s3, s3
	s_add_co_u32 s2, s2, __FUNCTION__._ZL9mul_mat_fIfLi32ELi4ELi1ELb1EEvPKT_PKfPKiPfiiiiiiiiiiiiiiii@rel32@lo+8
	s_add_co_ci_u32 s3, s3, __FUNCTION__._ZL9mul_mat_fIfLi32ELi4ELi1ELb1EEvPKT_PKfPKiPfiiiiiiiiiiiiiiii@rel32@hi+16
	v_dual_mov_b32 v0, 59 :: v_dual_mov_b32 v1, s2
	v_mov_b32_e32 v2, s3
	s_add_nc_u64 s[8:9], s[0:1], 0x60
	s_getpc_b64 s[0:1]
	s_sext_i32_i16 s1, s1
	s_add_co_u32 s0, s0, _ZL14no_device_codePKciS0_iS0_@rel32@lo+8
	s_add_co_ci_u32 s1, s1, _ZL14no_device_codePKciS0_iS0_@rel32@hi+16
	s_mov_b32 s32, 0
	s_swappc_b64 s[30:31], s[0:1]
	.section	.rodata,"a",@progbits
	.p2align	6, 0x0
	.amdhsa_kernel _ZL9mul_mat_fI15__hip_bfloat162Li64ELi4ELi3ELb0EEvPKT_PKfPKiPfiiiiiiiiiiiiiiii
		.amdhsa_group_segment_fixed_size 0
		.amdhsa_private_segment_fixed_size 16
		.amdhsa_kernarg_size 352
		.amdhsa_user_sgpr_count 2
		.amdhsa_user_sgpr_dispatch_ptr 0
		.amdhsa_user_sgpr_queue_ptr 0
		.amdhsa_user_sgpr_kernarg_segment_ptr 1
		.amdhsa_user_sgpr_dispatch_id 0
		.amdhsa_user_sgpr_private_segment_size 0
		.amdhsa_wavefront_size32 1
		.amdhsa_uses_dynamic_stack 0
		.amdhsa_enable_private_segment 1
		.amdhsa_system_sgpr_workgroup_id_x 1
		.amdhsa_system_sgpr_workgroup_id_y 0
		.amdhsa_system_sgpr_workgroup_id_z 0
		.amdhsa_system_sgpr_workgroup_info 0
		.amdhsa_system_vgpr_workitem_id 0
		.amdhsa_next_free_vgpr 38
		.amdhsa_next_free_sgpr 34
		.amdhsa_reserve_vcc 1
		.amdhsa_float_round_mode_32 0
		.amdhsa_float_round_mode_16_64 0
		.amdhsa_float_denorm_mode_32 3
		.amdhsa_float_denorm_mode_16_64 3
		.amdhsa_fp16_overflow 0
		.amdhsa_workgroup_processor_mode 1
		.amdhsa_memory_ordered 1
		.amdhsa_forward_progress 1
		.amdhsa_inst_pref_size 1
		.amdhsa_round_robin_scheduling 0
		.amdhsa_exception_fp_ieee_invalid_op 0
		.amdhsa_exception_fp_denorm_src 0
		.amdhsa_exception_fp_ieee_div_zero 0
		.amdhsa_exception_fp_ieee_overflow 0
		.amdhsa_exception_fp_ieee_underflow 0
		.amdhsa_exception_fp_ieee_inexact 0
		.amdhsa_exception_int_div_zero 0
	.end_amdhsa_kernel
	.section	.text._ZL9mul_mat_fI15__hip_bfloat162Li64ELi4ELi3ELb0EEvPKT_PKfPKiPfiiiiiiiiiiiiiiii,"axG",@progbits,_ZL9mul_mat_fI15__hip_bfloat162Li64ELi4ELi3ELb0EEvPKT_PKfPKiPfiiiiiiiiiiiiiiii,comdat
.Lfunc_end131:
	.size	_ZL9mul_mat_fI15__hip_bfloat162Li64ELi4ELi3ELb0EEvPKT_PKfPKiPfiiiiiiiiiiiiiiii, .Lfunc_end131-_ZL9mul_mat_fI15__hip_bfloat162Li64ELi4ELi3ELb0EEvPKT_PKfPKiPfiiiiiiiiiiiiiiii
                                        ; -- End function
	.set _ZL9mul_mat_fI15__hip_bfloat162Li64ELi4ELi3ELb0EEvPKT_PKfPKiPfiiiiiiiiiiiiiiii.num_vgpr, max(3, .L_ZL14no_device_codePKciS0_iS0_.num_vgpr)
	.set _ZL9mul_mat_fI15__hip_bfloat162Li64ELi4ELi3ELb0EEvPKT_PKfPKiPfiiiiiiiiiiiiiiii.num_agpr, max(0, .L_ZL14no_device_codePKciS0_iS0_.num_agpr)
	.set _ZL9mul_mat_fI15__hip_bfloat162Li64ELi4ELi3ELb0EEvPKT_PKfPKiPfiiiiiiiiiiiiiiii.numbered_sgpr, max(33, .L_ZL14no_device_codePKciS0_iS0_.numbered_sgpr)
	.set _ZL9mul_mat_fI15__hip_bfloat162Li64ELi4ELi3ELb0EEvPKT_PKfPKiPfiiiiiiiiiiiiiiii.num_named_barrier, max(0, .L_ZL14no_device_codePKciS0_iS0_.num_named_barrier)
	.set _ZL9mul_mat_fI15__hip_bfloat162Li64ELi4ELi3ELb0EEvPKT_PKfPKiPfiiiiiiiiiiiiiiii.private_seg_size, 0+max(.L_ZL14no_device_codePKciS0_iS0_.private_seg_size)
	.set _ZL9mul_mat_fI15__hip_bfloat162Li64ELi4ELi3ELb0EEvPKT_PKfPKiPfiiiiiiiiiiiiiiii.uses_vcc, or(1, .L_ZL14no_device_codePKciS0_iS0_.uses_vcc)
	.set _ZL9mul_mat_fI15__hip_bfloat162Li64ELi4ELi3ELb0EEvPKT_PKfPKiPfiiiiiiiiiiiiiiii.uses_flat_scratch, or(0, .L_ZL14no_device_codePKciS0_iS0_.uses_flat_scratch)
	.set _ZL9mul_mat_fI15__hip_bfloat162Li64ELi4ELi3ELb0EEvPKT_PKfPKiPfiiiiiiiiiiiiiiii.has_dyn_sized_stack, or(0, .L_ZL14no_device_codePKciS0_iS0_.has_dyn_sized_stack)
	.set _ZL9mul_mat_fI15__hip_bfloat162Li64ELi4ELi3ELb0EEvPKT_PKfPKiPfiiiiiiiiiiiiiiii.has_recursion, or(0, .L_ZL14no_device_codePKciS0_iS0_.has_recursion)
	.set _ZL9mul_mat_fI15__hip_bfloat162Li64ELi4ELi3ELb0EEvPKT_PKfPKiPfiiiiiiiiiiiiiiii.has_indirect_call, or(0, .L_ZL14no_device_codePKciS0_iS0_.has_indirect_call)
	.section	.AMDGPU.csdata,"",@progbits
; Kernel info:
; codeLenInByte = 76
; TotalNumSgprs: 36
; NumVgprs: 38
; ScratchSize: 16
; MemoryBound: 0
; FloatMode: 240
; IeeeMode: 1
; LDSByteSize: 0 bytes/workgroup (compile time only)
; SGPRBlocks: 0
; VGPRBlocks: 4
; NumSGPRsForWavesPerEU: 36
; NumVGPRsForWavesPerEU: 38
; Occupancy: 16
; WaveLimiterHint : 1
; COMPUTE_PGM_RSRC2:SCRATCH_EN: 1
; COMPUTE_PGM_RSRC2:USER_SGPR: 2
; COMPUTE_PGM_RSRC2:TRAP_HANDLER: 0
; COMPUTE_PGM_RSRC2:TGID_X_EN: 1
; COMPUTE_PGM_RSRC2:TGID_Y_EN: 0
; COMPUTE_PGM_RSRC2:TGID_Z_EN: 0
; COMPUTE_PGM_RSRC2:TIDIG_COMP_CNT: 0
	.section	.text._ZL13mul_mat_f_idsI15__hip_bfloat162Li64ELi4ELi4EEvPKT_PKfPKiS7_S7_Pfiiiiiiiiiiiiii15HIP_vector_typeIjLj3EESA_,"axG",@progbits,_ZL13mul_mat_f_idsI15__hip_bfloat162Li64ELi4ELi4EEvPKT_PKfPKiS7_S7_Pfiiiiiiiiiiiiii15HIP_vector_typeIjLj3EESA_,comdat
	.globl	_ZL13mul_mat_f_idsI15__hip_bfloat162Li64ELi4ELi4EEvPKT_PKfPKiS7_S7_Pfiiiiiiiiiiiiii15HIP_vector_typeIjLj3EESA_ ; -- Begin function _ZL13mul_mat_f_idsI15__hip_bfloat162Li64ELi4ELi4EEvPKT_PKfPKiS7_S7_Pfiiiiiiiiiiiiii15HIP_vector_typeIjLj3EESA_
	.p2align	8
	.type	_ZL13mul_mat_f_idsI15__hip_bfloat162Li64ELi4ELi4EEvPKT_PKfPKiS7_S7_Pfiiiiiiiiiiiiii15HIP_vector_typeIjLj3EESA_,@function
_ZL13mul_mat_f_idsI15__hip_bfloat162Li64ELi4ELi4EEvPKT_PKfPKiS7_S7_Pfiiiiiiiiiiiiii15HIP_vector_typeIjLj3EESA_: ; @_ZL13mul_mat_f_idsI15__hip_bfloat162Li64ELi4ELi4EEvPKT_PKfPKiS7_S7_Pfiiiiiiiiiiiiii15HIP_vector_typeIjLj3EESA_
; %bb.0:
	s_getpc_b64 s[2:3]
	s_sext_i32_i16 s3, s3
	s_add_co_u32 s2, s2, __FUNCTION__._ZL13mul_mat_f_idsIfLi32ELi4ELi1EEvPKT_PKfPKiS6_S6_Pfiiiiiiiiiiiiii15HIP_vector_typeIjLj3EES9_@rel32@lo+8
	s_add_co_ci_u32 s3, s3, __FUNCTION__._ZL13mul_mat_f_idsIfLi32ELi4ELi1EEvPKT_PKfPKiS6_S6_Pfiiiiiiiiiiiiii15HIP_vector_typeIjLj3EES9_@rel32@hi+16
	v_dual_mov_b32 v0, 0x136 :: v_dual_mov_b32 v1, s2
	v_mov_b32_e32 v2, s3
	s_add_nc_u64 s[8:9], s[0:1], 0x80
	s_getpc_b64 s[0:1]
	s_sext_i32_i16 s1, s1
	s_add_co_u32 s0, s0, _ZL14no_device_codePKciS0_iS0_@rel32@lo+8
	s_add_co_ci_u32 s1, s1, _ZL14no_device_codePKciS0_iS0_@rel32@hi+16
	s_mov_b32 s32, 0
	s_swappc_b64 s[30:31], s[0:1]
	.section	.rodata,"a",@progbits
	.p2align	6, 0x0
	.amdhsa_kernel _ZL13mul_mat_f_idsI15__hip_bfloat162Li64ELi4ELi4EEvPKT_PKfPKiS7_S7_Pfiiiiiiiiiiiiii15HIP_vector_typeIjLj3EESA_
		.amdhsa_group_segment_fixed_size 0
		.amdhsa_private_segment_fixed_size 16
		.amdhsa_kernarg_size 384
		.amdhsa_user_sgpr_count 2
		.amdhsa_user_sgpr_dispatch_ptr 0
		.amdhsa_user_sgpr_queue_ptr 0
		.amdhsa_user_sgpr_kernarg_segment_ptr 1
		.amdhsa_user_sgpr_dispatch_id 0
		.amdhsa_user_sgpr_private_segment_size 0
		.amdhsa_wavefront_size32 1
		.amdhsa_uses_dynamic_stack 0
		.amdhsa_enable_private_segment 1
		.amdhsa_system_sgpr_workgroup_id_x 1
		.amdhsa_system_sgpr_workgroup_id_y 0
		.amdhsa_system_sgpr_workgroup_id_z 0
		.amdhsa_system_sgpr_workgroup_info 0
		.amdhsa_system_vgpr_workitem_id 0
		.amdhsa_next_free_vgpr 38
		.amdhsa_next_free_sgpr 34
		.amdhsa_reserve_vcc 1
		.amdhsa_float_round_mode_32 0
		.amdhsa_float_round_mode_16_64 0
		.amdhsa_float_denorm_mode_32 3
		.amdhsa_float_denorm_mode_16_64 3
		.amdhsa_fp16_overflow 0
		.amdhsa_workgroup_processor_mode 1
		.amdhsa_memory_ordered 1
		.amdhsa_forward_progress 1
		.amdhsa_inst_pref_size 1
		.amdhsa_round_robin_scheduling 0
		.amdhsa_exception_fp_ieee_invalid_op 0
		.amdhsa_exception_fp_denorm_src 0
		.amdhsa_exception_fp_ieee_div_zero 0
		.amdhsa_exception_fp_ieee_overflow 0
		.amdhsa_exception_fp_ieee_underflow 0
		.amdhsa_exception_fp_ieee_inexact 0
		.amdhsa_exception_int_div_zero 0
	.end_amdhsa_kernel
	.section	.text._ZL13mul_mat_f_idsI15__hip_bfloat162Li64ELi4ELi4EEvPKT_PKfPKiS7_S7_Pfiiiiiiiiiiiiii15HIP_vector_typeIjLj3EESA_,"axG",@progbits,_ZL13mul_mat_f_idsI15__hip_bfloat162Li64ELi4ELi4EEvPKT_PKfPKiS7_S7_Pfiiiiiiiiiiiiii15HIP_vector_typeIjLj3EESA_,comdat
.Lfunc_end132:
	.size	_ZL13mul_mat_f_idsI15__hip_bfloat162Li64ELi4ELi4EEvPKT_PKfPKiS7_S7_Pfiiiiiiiiiiiiii15HIP_vector_typeIjLj3EESA_, .Lfunc_end132-_ZL13mul_mat_f_idsI15__hip_bfloat162Li64ELi4ELi4EEvPKT_PKfPKiS7_S7_Pfiiiiiiiiiiiiii15HIP_vector_typeIjLj3EESA_
                                        ; -- End function
	.set _ZL13mul_mat_f_idsI15__hip_bfloat162Li64ELi4ELi4EEvPKT_PKfPKiS7_S7_Pfiiiiiiiiiiiiii15HIP_vector_typeIjLj3EESA_.num_vgpr, max(3, .L_ZL14no_device_codePKciS0_iS0_.num_vgpr)
	.set _ZL13mul_mat_f_idsI15__hip_bfloat162Li64ELi4ELi4EEvPKT_PKfPKiS7_S7_Pfiiiiiiiiiiiiii15HIP_vector_typeIjLj3EESA_.num_agpr, max(0, .L_ZL14no_device_codePKciS0_iS0_.num_agpr)
	.set _ZL13mul_mat_f_idsI15__hip_bfloat162Li64ELi4ELi4EEvPKT_PKfPKiS7_S7_Pfiiiiiiiiiiiiii15HIP_vector_typeIjLj3EESA_.numbered_sgpr, max(33, .L_ZL14no_device_codePKciS0_iS0_.numbered_sgpr)
	.set _ZL13mul_mat_f_idsI15__hip_bfloat162Li64ELi4ELi4EEvPKT_PKfPKiS7_S7_Pfiiiiiiiiiiiiii15HIP_vector_typeIjLj3EESA_.num_named_barrier, max(0, .L_ZL14no_device_codePKciS0_iS0_.num_named_barrier)
	.set _ZL13mul_mat_f_idsI15__hip_bfloat162Li64ELi4ELi4EEvPKT_PKfPKiS7_S7_Pfiiiiiiiiiiiiii15HIP_vector_typeIjLj3EESA_.private_seg_size, 0+max(.L_ZL14no_device_codePKciS0_iS0_.private_seg_size)
	.set _ZL13mul_mat_f_idsI15__hip_bfloat162Li64ELi4ELi4EEvPKT_PKfPKiS7_S7_Pfiiiiiiiiiiiiii15HIP_vector_typeIjLj3EESA_.uses_vcc, or(1, .L_ZL14no_device_codePKciS0_iS0_.uses_vcc)
	.set _ZL13mul_mat_f_idsI15__hip_bfloat162Li64ELi4ELi4EEvPKT_PKfPKiS7_S7_Pfiiiiiiiiiiiiii15HIP_vector_typeIjLj3EESA_.uses_flat_scratch, or(0, .L_ZL14no_device_codePKciS0_iS0_.uses_flat_scratch)
	.set _ZL13mul_mat_f_idsI15__hip_bfloat162Li64ELi4ELi4EEvPKT_PKfPKiS7_S7_Pfiiiiiiiiiiiiii15HIP_vector_typeIjLj3EESA_.has_dyn_sized_stack, or(0, .L_ZL14no_device_codePKciS0_iS0_.has_dyn_sized_stack)
	.set _ZL13mul_mat_f_idsI15__hip_bfloat162Li64ELi4ELi4EEvPKT_PKfPKiS7_S7_Pfiiiiiiiiiiiiii15HIP_vector_typeIjLj3EESA_.has_recursion, or(0, .L_ZL14no_device_codePKciS0_iS0_.has_recursion)
	.set _ZL13mul_mat_f_idsI15__hip_bfloat162Li64ELi4ELi4EEvPKT_PKfPKiS7_S7_Pfiiiiiiiiiiiiii15HIP_vector_typeIjLj3EESA_.has_indirect_call, or(0, .L_ZL14no_device_codePKciS0_iS0_.has_indirect_call)
	.section	.AMDGPU.csdata,"",@progbits
; Kernel info:
; codeLenInByte = 80
; TotalNumSgprs: 36
; NumVgprs: 38
; ScratchSize: 16
; MemoryBound: 0
; FloatMode: 240
; IeeeMode: 1
; LDSByteSize: 0 bytes/workgroup (compile time only)
; SGPRBlocks: 0
; VGPRBlocks: 4
; NumSGPRsForWavesPerEU: 36
; NumVGPRsForWavesPerEU: 38
; Occupancy: 16
; WaveLimiterHint : 1
; COMPUTE_PGM_RSRC2:SCRATCH_EN: 1
; COMPUTE_PGM_RSRC2:USER_SGPR: 2
; COMPUTE_PGM_RSRC2:TRAP_HANDLER: 0
; COMPUTE_PGM_RSRC2:TGID_X_EN: 1
; COMPUTE_PGM_RSRC2:TGID_Y_EN: 0
; COMPUTE_PGM_RSRC2:TGID_Z_EN: 0
; COMPUTE_PGM_RSRC2:TIDIG_COMP_CNT: 0
	.section	.text._ZL9mul_mat_fI15__hip_bfloat162Li64ELi4ELi4ELb1EEvPKT_PKfPKiPfiiiiiiiiiiiiiiii,"axG",@progbits,_ZL9mul_mat_fI15__hip_bfloat162Li64ELi4ELi4ELb1EEvPKT_PKfPKiPfiiiiiiiiiiiiiiii,comdat
	.globl	_ZL9mul_mat_fI15__hip_bfloat162Li64ELi4ELi4ELb1EEvPKT_PKfPKiPfiiiiiiiiiiiiiiii ; -- Begin function _ZL9mul_mat_fI15__hip_bfloat162Li64ELi4ELi4ELb1EEvPKT_PKfPKiPfiiiiiiiiiiiiiiii
	.p2align	8
	.type	_ZL9mul_mat_fI15__hip_bfloat162Li64ELi4ELi4ELb1EEvPKT_PKfPKiPfiiiiiiiiiiiiiiii,@function
_ZL9mul_mat_fI15__hip_bfloat162Li64ELi4ELi4ELb1EEvPKT_PKfPKiPfiiiiiiiiiiiiiiii: ; @_ZL9mul_mat_fI15__hip_bfloat162Li64ELi4ELi4ELb1EEvPKT_PKfPKiPfiiiiiiiiiiiiiiii
; %bb.0:
	s_getpc_b64 s[2:3]
	s_sext_i32_i16 s3, s3
	s_add_co_u32 s2, s2, __FUNCTION__._ZL9mul_mat_fIfLi32ELi4ELi1ELb1EEvPKT_PKfPKiPfiiiiiiiiiiiiiiii@rel32@lo+8
	s_add_co_ci_u32 s3, s3, __FUNCTION__._ZL9mul_mat_fIfLi32ELi4ELi1ELb1EEvPKT_PKfPKiPfiiiiiiiiiiiiiiii@rel32@hi+16
	v_dual_mov_b32 v0, 59 :: v_dual_mov_b32 v1, s2
	v_mov_b32_e32 v2, s3
	s_add_nc_u64 s[8:9], s[0:1], 0x60
	s_getpc_b64 s[0:1]
	s_sext_i32_i16 s1, s1
	s_add_co_u32 s0, s0, _ZL14no_device_codePKciS0_iS0_@rel32@lo+8
	s_add_co_ci_u32 s1, s1, _ZL14no_device_codePKciS0_iS0_@rel32@hi+16
	s_mov_b32 s32, 0
	s_swappc_b64 s[30:31], s[0:1]
	.section	.rodata,"a",@progbits
	.p2align	6, 0x0
	.amdhsa_kernel _ZL9mul_mat_fI15__hip_bfloat162Li64ELi4ELi4ELb1EEvPKT_PKfPKiPfiiiiiiiiiiiiiiii
		.amdhsa_group_segment_fixed_size 0
		.amdhsa_private_segment_fixed_size 16
		.amdhsa_kernarg_size 352
		.amdhsa_user_sgpr_count 2
		.amdhsa_user_sgpr_dispatch_ptr 0
		.amdhsa_user_sgpr_queue_ptr 0
		.amdhsa_user_sgpr_kernarg_segment_ptr 1
		.amdhsa_user_sgpr_dispatch_id 0
		.amdhsa_user_sgpr_private_segment_size 0
		.amdhsa_wavefront_size32 1
		.amdhsa_uses_dynamic_stack 0
		.amdhsa_enable_private_segment 1
		.amdhsa_system_sgpr_workgroup_id_x 1
		.amdhsa_system_sgpr_workgroup_id_y 0
		.amdhsa_system_sgpr_workgroup_id_z 0
		.amdhsa_system_sgpr_workgroup_info 0
		.amdhsa_system_vgpr_workitem_id 0
		.amdhsa_next_free_vgpr 38
		.amdhsa_next_free_sgpr 34
		.amdhsa_reserve_vcc 1
		.amdhsa_float_round_mode_32 0
		.amdhsa_float_round_mode_16_64 0
		.amdhsa_float_denorm_mode_32 3
		.amdhsa_float_denorm_mode_16_64 3
		.amdhsa_fp16_overflow 0
		.amdhsa_workgroup_processor_mode 1
		.amdhsa_memory_ordered 1
		.amdhsa_forward_progress 1
		.amdhsa_inst_pref_size 1
		.amdhsa_round_robin_scheduling 0
		.amdhsa_exception_fp_ieee_invalid_op 0
		.amdhsa_exception_fp_denorm_src 0
		.amdhsa_exception_fp_ieee_div_zero 0
		.amdhsa_exception_fp_ieee_overflow 0
		.amdhsa_exception_fp_ieee_underflow 0
		.amdhsa_exception_fp_ieee_inexact 0
		.amdhsa_exception_int_div_zero 0
	.end_amdhsa_kernel
	.section	.text._ZL9mul_mat_fI15__hip_bfloat162Li64ELi4ELi4ELb1EEvPKT_PKfPKiPfiiiiiiiiiiiiiiii,"axG",@progbits,_ZL9mul_mat_fI15__hip_bfloat162Li64ELi4ELi4ELb1EEvPKT_PKfPKiPfiiiiiiiiiiiiiiii,comdat
.Lfunc_end133:
	.size	_ZL9mul_mat_fI15__hip_bfloat162Li64ELi4ELi4ELb1EEvPKT_PKfPKiPfiiiiiiiiiiiiiiii, .Lfunc_end133-_ZL9mul_mat_fI15__hip_bfloat162Li64ELi4ELi4ELb1EEvPKT_PKfPKiPfiiiiiiiiiiiiiiii
                                        ; -- End function
	.set _ZL9mul_mat_fI15__hip_bfloat162Li64ELi4ELi4ELb1EEvPKT_PKfPKiPfiiiiiiiiiiiiiiii.num_vgpr, max(3, .L_ZL14no_device_codePKciS0_iS0_.num_vgpr)
	.set _ZL9mul_mat_fI15__hip_bfloat162Li64ELi4ELi4ELb1EEvPKT_PKfPKiPfiiiiiiiiiiiiiiii.num_agpr, max(0, .L_ZL14no_device_codePKciS0_iS0_.num_agpr)
	.set _ZL9mul_mat_fI15__hip_bfloat162Li64ELi4ELi4ELb1EEvPKT_PKfPKiPfiiiiiiiiiiiiiiii.numbered_sgpr, max(33, .L_ZL14no_device_codePKciS0_iS0_.numbered_sgpr)
	.set _ZL9mul_mat_fI15__hip_bfloat162Li64ELi4ELi4ELb1EEvPKT_PKfPKiPfiiiiiiiiiiiiiiii.num_named_barrier, max(0, .L_ZL14no_device_codePKciS0_iS0_.num_named_barrier)
	.set _ZL9mul_mat_fI15__hip_bfloat162Li64ELi4ELi4ELb1EEvPKT_PKfPKiPfiiiiiiiiiiiiiiii.private_seg_size, 0+max(.L_ZL14no_device_codePKciS0_iS0_.private_seg_size)
	.set _ZL9mul_mat_fI15__hip_bfloat162Li64ELi4ELi4ELb1EEvPKT_PKfPKiPfiiiiiiiiiiiiiiii.uses_vcc, or(1, .L_ZL14no_device_codePKciS0_iS0_.uses_vcc)
	.set _ZL9mul_mat_fI15__hip_bfloat162Li64ELi4ELi4ELb1EEvPKT_PKfPKiPfiiiiiiiiiiiiiiii.uses_flat_scratch, or(0, .L_ZL14no_device_codePKciS0_iS0_.uses_flat_scratch)
	.set _ZL9mul_mat_fI15__hip_bfloat162Li64ELi4ELi4ELb1EEvPKT_PKfPKiPfiiiiiiiiiiiiiiii.has_dyn_sized_stack, or(0, .L_ZL14no_device_codePKciS0_iS0_.has_dyn_sized_stack)
	.set _ZL9mul_mat_fI15__hip_bfloat162Li64ELi4ELi4ELb1EEvPKT_PKfPKiPfiiiiiiiiiiiiiiii.has_recursion, or(0, .L_ZL14no_device_codePKciS0_iS0_.has_recursion)
	.set _ZL9mul_mat_fI15__hip_bfloat162Li64ELi4ELi4ELb1EEvPKT_PKfPKiPfiiiiiiiiiiiiiiii.has_indirect_call, or(0, .L_ZL14no_device_codePKciS0_iS0_.has_indirect_call)
	.section	.AMDGPU.csdata,"",@progbits
; Kernel info:
; codeLenInByte = 76
; TotalNumSgprs: 36
; NumVgprs: 38
; ScratchSize: 16
; MemoryBound: 0
; FloatMode: 240
; IeeeMode: 1
; LDSByteSize: 0 bytes/workgroup (compile time only)
; SGPRBlocks: 0
; VGPRBlocks: 4
; NumSGPRsForWavesPerEU: 36
; NumVGPRsForWavesPerEU: 38
; Occupancy: 16
; WaveLimiterHint : 1
; COMPUTE_PGM_RSRC2:SCRATCH_EN: 1
; COMPUTE_PGM_RSRC2:USER_SGPR: 2
; COMPUTE_PGM_RSRC2:TRAP_HANDLER: 0
; COMPUTE_PGM_RSRC2:TGID_X_EN: 1
; COMPUTE_PGM_RSRC2:TGID_Y_EN: 0
; COMPUTE_PGM_RSRC2:TGID_Z_EN: 0
; COMPUTE_PGM_RSRC2:TIDIG_COMP_CNT: 0
	.section	.text._ZL9mul_mat_fI15__hip_bfloat162Li64ELi4ELi4ELb0EEvPKT_PKfPKiPfiiiiiiiiiiiiiiii,"axG",@progbits,_ZL9mul_mat_fI15__hip_bfloat162Li64ELi4ELi4ELb0EEvPKT_PKfPKiPfiiiiiiiiiiiiiiii,comdat
	.globl	_ZL9mul_mat_fI15__hip_bfloat162Li64ELi4ELi4ELb0EEvPKT_PKfPKiPfiiiiiiiiiiiiiiii ; -- Begin function _ZL9mul_mat_fI15__hip_bfloat162Li64ELi4ELi4ELb0EEvPKT_PKfPKiPfiiiiiiiiiiiiiiii
	.p2align	8
	.type	_ZL9mul_mat_fI15__hip_bfloat162Li64ELi4ELi4ELb0EEvPKT_PKfPKiPfiiiiiiiiiiiiiiii,@function
_ZL9mul_mat_fI15__hip_bfloat162Li64ELi4ELi4ELb0EEvPKT_PKfPKiPfiiiiiiiiiiiiiiii: ; @_ZL9mul_mat_fI15__hip_bfloat162Li64ELi4ELi4ELb0EEvPKT_PKfPKiPfiiiiiiiiiiiiiiii
; %bb.0:
	s_getpc_b64 s[2:3]
	s_sext_i32_i16 s3, s3
	s_add_co_u32 s2, s2, __FUNCTION__._ZL9mul_mat_fIfLi32ELi4ELi1ELb1EEvPKT_PKfPKiPfiiiiiiiiiiiiiiii@rel32@lo+8
	s_add_co_ci_u32 s3, s3, __FUNCTION__._ZL9mul_mat_fIfLi32ELi4ELi1ELb1EEvPKT_PKfPKiPfiiiiiiiiiiiiiiii@rel32@hi+16
	v_dual_mov_b32 v0, 59 :: v_dual_mov_b32 v1, s2
	v_mov_b32_e32 v2, s3
	s_add_nc_u64 s[8:9], s[0:1], 0x60
	s_getpc_b64 s[0:1]
	s_sext_i32_i16 s1, s1
	s_add_co_u32 s0, s0, _ZL14no_device_codePKciS0_iS0_@rel32@lo+8
	s_add_co_ci_u32 s1, s1, _ZL14no_device_codePKciS0_iS0_@rel32@hi+16
	s_mov_b32 s32, 0
	s_swappc_b64 s[30:31], s[0:1]
	.section	.rodata,"a",@progbits
	.p2align	6, 0x0
	.amdhsa_kernel _ZL9mul_mat_fI15__hip_bfloat162Li64ELi4ELi4ELb0EEvPKT_PKfPKiPfiiiiiiiiiiiiiiii
		.amdhsa_group_segment_fixed_size 0
		.amdhsa_private_segment_fixed_size 16
		.amdhsa_kernarg_size 352
		.amdhsa_user_sgpr_count 2
		.amdhsa_user_sgpr_dispatch_ptr 0
		.amdhsa_user_sgpr_queue_ptr 0
		.amdhsa_user_sgpr_kernarg_segment_ptr 1
		.amdhsa_user_sgpr_dispatch_id 0
		.amdhsa_user_sgpr_private_segment_size 0
		.amdhsa_wavefront_size32 1
		.amdhsa_uses_dynamic_stack 0
		.amdhsa_enable_private_segment 1
		.amdhsa_system_sgpr_workgroup_id_x 1
		.amdhsa_system_sgpr_workgroup_id_y 0
		.amdhsa_system_sgpr_workgroup_id_z 0
		.amdhsa_system_sgpr_workgroup_info 0
		.amdhsa_system_vgpr_workitem_id 0
		.amdhsa_next_free_vgpr 38
		.amdhsa_next_free_sgpr 34
		.amdhsa_reserve_vcc 1
		.amdhsa_float_round_mode_32 0
		.amdhsa_float_round_mode_16_64 0
		.amdhsa_float_denorm_mode_32 3
		.amdhsa_float_denorm_mode_16_64 3
		.amdhsa_fp16_overflow 0
		.amdhsa_workgroup_processor_mode 1
		.amdhsa_memory_ordered 1
		.amdhsa_forward_progress 1
		.amdhsa_inst_pref_size 1
		.amdhsa_round_robin_scheduling 0
		.amdhsa_exception_fp_ieee_invalid_op 0
		.amdhsa_exception_fp_denorm_src 0
		.amdhsa_exception_fp_ieee_div_zero 0
		.amdhsa_exception_fp_ieee_overflow 0
		.amdhsa_exception_fp_ieee_underflow 0
		.amdhsa_exception_fp_ieee_inexact 0
		.amdhsa_exception_int_div_zero 0
	.end_amdhsa_kernel
	.section	.text._ZL9mul_mat_fI15__hip_bfloat162Li64ELi4ELi4ELb0EEvPKT_PKfPKiPfiiiiiiiiiiiiiiii,"axG",@progbits,_ZL9mul_mat_fI15__hip_bfloat162Li64ELi4ELi4ELb0EEvPKT_PKfPKiPfiiiiiiiiiiiiiiii,comdat
.Lfunc_end134:
	.size	_ZL9mul_mat_fI15__hip_bfloat162Li64ELi4ELi4ELb0EEvPKT_PKfPKiPfiiiiiiiiiiiiiiii, .Lfunc_end134-_ZL9mul_mat_fI15__hip_bfloat162Li64ELi4ELi4ELb0EEvPKT_PKfPKiPfiiiiiiiiiiiiiiii
                                        ; -- End function
	.set _ZL9mul_mat_fI15__hip_bfloat162Li64ELi4ELi4ELb0EEvPKT_PKfPKiPfiiiiiiiiiiiiiiii.num_vgpr, max(3, .L_ZL14no_device_codePKciS0_iS0_.num_vgpr)
	.set _ZL9mul_mat_fI15__hip_bfloat162Li64ELi4ELi4ELb0EEvPKT_PKfPKiPfiiiiiiiiiiiiiiii.num_agpr, max(0, .L_ZL14no_device_codePKciS0_iS0_.num_agpr)
	.set _ZL9mul_mat_fI15__hip_bfloat162Li64ELi4ELi4ELb0EEvPKT_PKfPKiPfiiiiiiiiiiiiiiii.numbered_sgpr, max(33, .L_ZL14no_device_codePKciS0_iS0_.numbered_sgpr)
	.set _ZL9mul_mat_fI15__hip_bfloat162Li64ELi4ELi4ELb0EEvPKT_PKfPKiPfiiiiiiiiiiiiiiii.num_named_barrier, max(0, .L_ZL14no_device_codePKciS0_iS0_.num_named_barrier)
	.set _ZL9mul_mat_fI15__hip_bfloat162Li64ELi4ELi4ELb0EEvPKT_PKfPKiPfiiiiiiiiiiiiiiii.private_seg_size, 0+max(.L_ZL14no_device_codePKciS0_iS0_.private_seg_size)
	.set _ZL9mul_mat_fI15__hip_bfloat162Li64ELi4ELi4ELb0EEvPKT_PKfPKiPfiiiiiiiiiiiiiiii.uses_vcc, or(1, .L_ZL14no_device_codePKciS0_iS0_.uses_vcc)
	.set _ZL9mul_mat_fI15__hip_bfloat162Li64ELi4ELi4ELb0EEvPKT_PKfPKiPfiiiiiiiiiiiiiiii.uses_flat_scratch, or(0, .L_ZL14no_device_codePKciS0_iS0_.uses_flat_scratch)
	.set _ZL9mul_mat_fI15__hip_bfloat162Li64ELi4ELi4ELb0EEvPKT_PKfPKiPfiiiiiiiiiiiiiiii.has_dyn_sized_stack, or(0, .L_ZL14no_device_codePKciS0_iS0_.has_dyn_sized_stack)
	.set _ZL9mul_mat_fI15__hip_bfloat162Li64ELi4ELi4ELb0EEvPKT_PKfPKiPfiiiiiiiiiiiiiiii.has_recursion, or(0, .L_ZL14no_device_codePKciS0_iS0_.has_recursion)
	.set _ZL9mul_mat_fI15__hip_bfloat162Li64ELi4ELi4ELb0EEvPKT_PKfPKiPfiiiiiiiiiiiiiiii.has_indirect_call, or(0, .L_ZL14no_device_codePKciS0_iS0_.has_indirect_call)
	.section	.AMDGPU.csdata,"",@progbits
; Kernel info:
; codeLenInByte = 76
; TotalNumSgprs: 36
; NumVgprs: 38
; ScratchSize: 16
; MemoryBound: 0
; FloatMode: 240
; IeeeMode: 1
; LDSByteSize: 0 bytes/workgroup (compile time only)
; SGPRBlocks: 0
; VGPRBlocks: 4
; NumSGPRsForWavesPerEU: 36
; NumVGPRsForWavesPerEU: 38
; Occupancy: 16
; WaveLimiterHint : 1
; COMPUTE_PGM_RSRC2:SCRATCH_EN: 1
; COMPUTE_PGM_RSRC2:USER_SGPR: 2
; COMPUTE_PGM_RSRC2:TRAP_HANDLER: 0
; COMPUTE_PGM_RSRC2:TGID_X_EN: 1
; COMPUTE_PGM_RSRC2:TGID_Y_EN: 0
; COMPUTE_PGM_RSRC2:TGID_Z_EN: 0
; COMPUTE_PGM_RSRC2:TIDIG_COMP_CNT: 0
	.section	.text._ZL13mul_mat_f_idsI15__hip_bfloat162Li64ELi4ELi5EEvPKT_PKfPKiS7_S7_Pfiiiiiiiiiiiiii15HIP_vector_typeIjLj3EESA_,"axG",@progbits,_ZL13mul_mat_f_idsI15__hip_bfloat162Li64ELi4ELi5EEvPKT_PKfPKiS7_S7_Pfiiiiiiiiiiiiii15HIP_vector_typeIjLj3EESA_,comdat
	.globl	_ZL13mul_mat_f_idsI15__hip_bfloat162Li64ELi4ELi5EEvPKT_PKfPKiS7_S7_Pfiiiiiiiiiiiiii15HIP_vector_typeIjLj3EESA_ ; -- Begin function _ZL13mul_mat_f_idsI15__hip_bfloat162Li64ELi4ELi5EEvPKT_PKfPKiS7_S7_Pfiiiiiiiiiiiiii15HIP_vector_typeIjLj3EESA_
	.p2align	8
	.type	_ZL13mul_mat_f_idsI15__hip_bfloat162Li64ELi4ELi5EEvPKT_PKfPKiS7_S7_Pfiiiiiiiiiiiiii15HIP_vector_typeIjLj3EESA_,@function
_ZL13mul_mat_f_idsI15__hip_bfloat162Li64ELi4ELi5EEvPKT_PKfPKiS7_S7_Pfiiiiiiiiiiiiii15HIP_vector_typeIjLj3EESA_: ; @_ZL13mul_mat_f_idsI15__hip_bfloat162Li64ELi4ELi5EEvPKT_PKfPKiS7_S7_Pfiiiiiiiiiiiiii15HIP_vector_typeIjLj3EESA_
; %bb.0:
	s_getpc_b64 s[2:3]
	s_sext_i32_i16 s3, s3
	s_add_co_u32 s2, s2, __FUNCTION__._ZL13mul_mat_f_idsIfLi32ELi4ELi1EEvPKT_PKfPKiS6_S6_Pfiiiiiiiiiiiiii15HIP_vector_typeIjLj3EES9_@rel32@lo+8
	s_add_co_ci_u32 s3, s3, __FUNCTION__._ZL13mul_mat_f_idsIfLi32ELi4ELi1EEvPKT_PKfPKiS6_S6_Pfiiiiiiiiiiiiii15HIP_vector_typeIjLj3EES9_@rel32@hi+16
	v_dual_mov_b32 v0, 0x136 :: v_dual_mov_b32 v1, s2
	v_mov_b32_e32 v2, s3
	s_add_nc_u64 s[8:9], s[0:1], 0x80
	s_getpc_b64 s[0:1]
	s_sext_i32_i16 s1, s1
	s_add_co_u32 s0, s0, _ZL14no_device_codePKciS0_iS0_@rel32@lo+8
	s_add_co_ci_u32 s1, s1, _ZL14no_device_codePKciS0_iS0_@rel32@hi+16
	s_mov_b32 s32, 0
	s_swappc_b64 s[30:31], s[0:1]
	.section	.rodata,"a",@progbits
	.p2align	6, 0x0
	.amdhsa_kernel _ZL13mul_mat_f_idsI15__hip_bfloat162Li64ELi4ELi5EEvPKT_PKfPKiS7_S7_Pfiiiiiiiiiiiiii15HIP_vector_typeIjLj3EESA_
		.amdhsa_group_segment_fixed_size 0
		.amdhsa_private_segment_fixed_size 16
		.amdhsa_kernarg_size 384
		.amdhsa_user_sgpr_count 2
		.amdhsa_user_sgpr_dispatch_ptr 0
		.amdhsa_user_sgpr_queue_ptr 0
		.amdhsa_user_sgpr_kernarg_segment_ptr 1
		.amdhsa_user_sgpr_dispatch_id 0
		.amdhsa_user_sgpr_private_segment_size 0
		.amdhsa_wavefront_size32 1
		.amdhsa_uses_dynamic_stack 0
		.amdhsa_enable_private_segment 1
		.amdhsa_system_sgpr_workgroup_id_x 1
		.amdhsa_system_sgpr_workgroup_id_y 0
		.amdhsa_system_sgpr_workgroup_id_z 0
		.amdhsa_system_sgpr_workgroup_info 0
		.amdhsa_system_vgpr_workitem_id 0
		.amdhsa_next_free_vgpr 38
		.amdhsa_next_free_sgpr 34
		.amdhsa_reserve_vcc 1
		.amdhsa_float_round_mode_32 0
		.amdhsa_float_round_mode_16_64 0
		.amdhsa_float_denorm_mode_32 3
		.amdhsa_float_denorm_mode_16_64 3
		.amdhsa_fp16_overflow 0
		.amdhsa_workgroup_processor_mode 1
		.amdhsa_memory_ordered 1
		.amdhsa_forward_progress 1
		.amdhsa_inst_pref_size 1
		.amdhsa_round_robin_scheduling 0
		.amdhsa_exception_fp_ieee_invalid_op 0
		.amdhsa_exception_fp_denorm_src 0
		.amdhsa_exception_fp_ieee_div_zero 0
		.amdhsa_exception_fp_ieee_overflow 0
		.amdhsa_exception_fp_ieee_underflow 0
		.amdhsa_exception_fp_ieee_inexact 0
		.amdhsa_exception_int_div_zero 0
	.end_amdhsa_kernel
	.section	.text._ZL13mul_mat_f_idsI15__hip_bfloat162Li64ELi4ELi5EEvPKT_PKfPKiS7_S7_Pfiiiiiiiiiiiiii15HIP_vector_typeIjLj3EESA_,"axG",@progbits,_ZL13mul_mat_f_idsI15__hip_bfloat162Li64ELi4ELi5EEvPKT_PKfPKiS7_S7_Pfiiiiiiiiiiiiii15HIP_vector_typeIjLj3EESA_,comdat
.Lfunc_end135:
	.size	_ZL13mul_mat_f_idsI15__hip_bfloat162Li64ELi4ELi5EEvPKT_PKfPKiS7_S7_Pfiiiiiiiiiiiiii15HIP_vector_typeIjLj3EESA_, .Lfunc_end135-_ZL13mul_mat_f_idsI15__hip_bfloat162Li64ELi4ELi5EEvPKT_PKfPKiS7_S7_Pfiiiiiiiiiiiiii15HIP_vector_typeIjLj3EESA_
                                        ; -- End function
	.set _ZL13mul_mat_f_idsI15__hip_bfloat162Li64ELi4ELi5EEvPKT_PKfPKiS7_S7_Pfiiiiiiiiiiiiii15HIP_vector_typeIjLj3EESA_.num_vgpr, max(3, .L_ZL14no_device_codePKciS0_iS0_.num_vgpr)
	.set _ZL13mul_mat_f_idsI15__hip_bfloat162Li64ELi4ELi5EEvPKT_PKfPKiS7_S7_Pfiiiiiiiiiiiiii15HIP_vector_typeIjLj3EESA_.num_agpr, max(0, .L_ZL14no_device_codePKciS0_iS0_.num_agpr)
	.set _ZL13mul_mat_f_idsI15__hip_bfloat162Li64ELi4ELi5EEvPKT_PKfPKiS7_S7_Pfiiiiiiiiiiiiii15HIP_vector_typeIjLj3EESA_.numbered_sgpr, max(33, .L_ZL14no_device_codePKciS0_iS0_.numbered_sgpr)
	.set _ZL13mul_mat_f_idsI15__hip_bfloat162Li64ELi4ELi5EEvPKT_PKfPKiS7_S7_Pfiiiiiiiiiiiiii15HIP_vector_typeIjLj3EESA_.num_named_barrier, max(0, .L_ZL14no_device_codePKciS0_iS0_.num_named_barrier)
	.set _ZL13mul_mat_f_idsI15__hip_bfloat162Li64ELi4ELi5EEvPKT_PKfPKiS7_S7_Pfiiiiiiiiiiiiii15HIP_vector_typeIjLj3EESA_.private_seg_size, 0+max(.L_ZL14no_device_codePKciS0_iS0_.private_seg_size)
	.set _ZL13mul_mat_f_idsI15__hip_bfloat162Li64ELi4ELi5EEvPKT_PKfPKiS7_S7_Pfiiiiiiiiiiiiii15HIP_vector_typeIjLj3EESA_.uses_vcc, or(1, .L_ZL14no_device_codePKciS0_iS0_.uses_vcc)
	.set _ZL13mul_mat_f_idsI15__hip_bfloat162Li64ELi4ELi5EEvPKT_PKfPKiS7_S7_Pfiiiiiiiiiiiiii15HIP_vector_typeIjLj3EESA_.uses_flat_scratch, or(0, .L_ZL14no_device_codePKciS0_iS0_.uses_flat_scratch)
	.set _ZL13mul_mat_f_idsI15__hip_bfloat162Li64ELi4ELi5EEvPKT_PKfPKiS7_S7_Pfiiiiiiiiiiiiii15HIP_vector_typeIjLj3EESA_.has_dyn_sized_stack, or(0, .L_ZL14no_device_codePKciS0_iS0_.has_dyn_sized_stack)
	.set _ZL13mul_mat_f_idsI15__hip_bfloat162Li64ELi4ELi5EEvPKT_PKfPKiS7_S7_Pfiiiiiiiiiiiiii15HIP_vector_typeIjLj3EESA_.has_recursion, or(0, .L_ZL14no_device_codePKciS0_iS0_.has_recursion)
	.set _ZL13mul_mat_f_idsI15__hip_bfloat162Li64ELi4ELi5EEvPKT_PKfPKiS7_S7_Pfiiiiiiiiiiiiii15HIP_vector_typeIjLj3EESA_.has_indirect_call, or(0, .L_ZL14no_device_codePKciS0_iS0_.has_indirect_call)
	.section	.AMDGPU.csdata,"",@progbits
; Kernel info:
; codeLenInByte = 80
; TotalNumSgprs: 36
; NumVgprs: 38
; ScratchSize: 16
; MemoryBound: 0
; FloatMode: 240
; IeeeMode: 1
; LDSByteSize: 0 bytes/workgroup (compile time only)
; SGPRBlocks: 0
; VGPRBlocks: 4
; NumSGPRsForWavesPerEU: 36
; NumVGPRsForWavesPerEU: 38
; Occupancy: 16
; WaveLimiterHint : 1
; COMPUTE_PGM_RSRC2:SCRATCH_EN: 1
; COMPUTE_PGM_RSRC2:USER_SGPR: 2
; COMPUTE_PGM_RSRC2:TRAP_HANDLER: 0
; COMPUTE_PGM_RSRC2:TGID_X_EN: 1
; COMPUTE_PGM_RSRC2:TGID_Y_EN: 0
; COMPUTE_PGM_RSRC2:TGID_Z_EN: 0
; COMPUTE_PGM_RSRC2:TIDIG_COMP_CNT: 0
	.section	.text._ZL9mul_mat_fI15__hip_bfloat162Li64ELi4ELi5ELb1EEvPKT_PKfPKiPfiiiiiiiiiiiiiiii,"axG",@progbits,_ZL9mul_mat_fI15__hip_bfloat162Li64ELi4ELi5ELb1EEvPKT_PKfPKiPfiiiiiiiiiiiiiiii,comdat
	.globl	_ZL9mul_mat_fI15__hip_bfloat162Li64ELi4ELi5ELb1EEvPKT_PKfPKiPfiiiiiiiiiiiiiiii ; -- Begin function _ZL9mul_mat_fI15__hip_bfloat162Li64ELi4ELi5ELb1EEvPKT_PKfPKiPfiiiiiiiiiiiiiiii
	.p2align	8
	.type	_ZL9mul_mat_fI15__hip_bfloat162Li64ELi4ELi5ELb1EEvPKT_PKfPKiPfiiiiiiiiiiiiiiii,@function
_ZL9mul_mat_fI15__hip_bfloat162Li64ELi4ELi5ELb1EEvPKT_PKfPKiPfiiiiiiiiiiiiiiii: ; @_ZL9mul_mat_fI15__hip_bfloat162Li64ELi4ELi5ELb1EEvPKT_PKfPKiPfiiiiiiiiiiiiiiii
; %bb.0:
	s_getpc_b64 s[2:3]
	s_sext_i32_i16 s3, s3
	s_add_co_u32 s2, s2, __FUNCTION__._ZL9mul_mat_fIfLi32ELi4ELi1ELb1EEvPKT_PKfPKiPfiiiiiiiiiiiiiiii@rel32@lo+8
	s_add_co_ci_u32 s3, s3, __FUNCTION__._ZL9mul_mat_fIfLi32ELi4ELi1ELb1EEvPKT_PKfPKiPfiiiiiiiiiiiiiiii@rel32@hi+16
	v_dual_mov_b32 v0, 59 :: v_dual_mov_b32 v1, s2
	v_mov_b32_e32 v2, s3
	s_add_nc_u64 s[8:9], s[0:1], 0x60
	s_getpc_b64 s[0:1]
	s_sext_i32_i16 s1, s1
	s_add_co_u32 s0, s0, _ZL14no_device_codePKciS0_iS0_@rel32@lo+8
	s_add_co_ci_u32 s1, s1, _ZL14no_device_codePKciS0_iS0_@rel32@hi+16
	s_mov_b32 s32, 0
	s_swappc_b64 s[30:31], s[0:1]
	.section	.rodata,"a",@progbits
	.p2align	6, 0x0
	.amdhsa_kernel _ZL9mul_mat_fI15__hip_bfloat162Li64ELi4ELi5ELb1EEvPKT_PKfPKiPfiiiiiiiiiiiiiiii
		.amdhsa_group_segment_fixed_size 0
		.amdhsa_private_segment_fixed_size 16
		.amdhsa_kernarg_size 352
		.amdhsa_user_sgpr_count 2
		.amdhsa_user_sgpr_dispatch_ptr 0
		.amdhsa_user_sgpr_queue_ptr 0
		.amdhsa_user_sgpr_kernarg_segment_ptr 1
		.amdhsa_user_sgpr_dispatch_id 0
		.amdhsa_user_sgpr_private_segment_size 0
		.amdhsa_wavefront_size32 1
		.amdhsa_uses_dynamic_stack 0
		.amdhsa_enable_private_segment 1
		.amdhsa_system_sgpr_workgroup_id_x 1
		.amdhsa_system_sgpr_workgroup_id_y 0
		.amdhsa_system_sgpr_workgroup_id_z 0
		.amdhsa_system_sgpr_workgroup_info 0
		.amdhsa_system_vgpr_workitem_id 0
		.amdhsa_next_free_vgpr 38
		.amdhsa_next_free_sgpr 34
		.amdhsa_reserve_vcc 1
		.amdhsa_float_round_mode_32 0
		.amdhsa_float_round_mode_16_64 0
		.amdhsa_float_denorm_mode_32 3
		.amdhsa_float_denorm_mode_16_64 3
		.amdhsa_fp16_overflow 0
		.amdhsa_workgroup_processor_mode 1
		.amdhsa_memory_ordered 1
		.amdhsa_forward_progress 1
		.amdhsa_inst_pref_size 1
		.amdhsa_round_robin_scheduling 0
		.amdhsa_exception_fp_ieee_invalid_op 0
		.amdhsa_exception_fp_denorm_src 0
		.amdhsa_exception_fp_ieee_div_zero 0
		.amdhsa_exception_fp_ieee_overflow 0
		.amdhsa_exception_fp_ieee_underflow 0
		.amdhsa_exception_fp_ieee_inexact 0
		.amdhsa_exception_int_div_zero 0
	.end_amdhsa_kernel
	.section	.text._ZL9mul_mat_fI15__hip_bfloat162Li64ELi4ELi5ELb1EEvPKT_PKfPKiPfiiiiiiiiiiiiiiii,"axG",@progbits,_ZL9mul_mat_fI15__hip_bfloat162Li64ELi4ELi5ELb1EEvPKT_PKfPKiPfiiiiiiiiiiiiiiii,comdat
.Lfunc_end136:
	.size	_ZL9mul_mat_fI15__hip_bfloat162Li64ELi4ELi5ELb1EEvPKT_PKfPKiPfiiiiiiiiiiiiiiii, .Lfunc_end136-_ZL9mul_mat_fI15__hip_bfloat162Li64ELi4ELi5ELb1EEvPKT_PKfPKiPfiiiiiiiiiiiiiiii
                                        ; -- End function
	.set _ZL9mul_mat_fI15__hip_bfloat162Li64ELi4ELi5ELb1EEvPKT_PKfPKiPfiiiiiiiiiiiiiiii.num_vgpr, max(3, .L_ZL14no_device_codePKciS0_iS0_.num_vgpr)
	.set _ZL9mul_mat_fI15__hip_bfloat162Li64ELi4ELi5ELb1EEvPKT_PKfPKiPfiiiiiiiiiiiiiiii.num_agpr, max(0, .L_ZL14no_device_codePKciS0_iS0_.num_agpr)
	.set _ZL9mul_mat_fI15__hip_bfloat162Li64ELi4ELi5ELb1EEvPKT_PKfPKiPfiiiiiiiiiiiiiiii.numbered_sgpr, max(33, .L_ZL14no_device_codePKciS0_iS0_.numbered_sgpr)
	.set _ZL9mul_mat_fI15__hip_bfloat162Li64ELi4ELi5ELb1EEvPKT_PKfPKiPfiiiiiiiiiiiiiiii.num_named_barrier, max(0, .L_ZL14no_device_codePKciS0_iS0_.num_named_barrier)
	.set _ZL9mul_mat_fI15__hip_bfloat162Li64ELi4ELi5ELb1EEvPKT_PKfPKiPfiiiiiiiiiiiiiiii.private_seg_size, 0+max(.L_ZL14no_device_codePKciS0_iS0_.private_seg_size)
	.set _ZL9mul_mat_fI15__hip_bfloat162Li64ELi4ELi5ELb1EEvPKT_PKfPKiPfiiiiiiiiiiiiiiii.uses_vcc, or(1, .L_ZL14no_device_codePKciS0_iS0_.uses_vcc)
	.set _ZL9mul_mat_fI15__hip_bfloat162Li64ELi4ELi5ELb1EEvPKT_PKfPKiPfiiiiiiiiiiiiiiii.uses_flat_scratch, or(0, .L_ZL14no_device_codePKciS0_iS0_.uses_flat_scratch)
	.set _ZL9mul_mat_fI15__hip_bfloat162Li64ELi4ELi5ELb1EEvPKT_PKfPKiPfiiiiiiiiiiiiiiii.has_dyn_sized_stack, or(0, .L_ZL14no_device_codePKciS0_iS0_.has_dyn_sized_stack)
	.set _ZL9mul_mat_fI15__hip_bfloat162Li64ELi4ELi5ELb1EEvPKT_PKfPKiPfiiiiiiiiiiiiiiii.has_recursion, or(0, .L_ZL14no_device_codePKciS0_iS0_.has_recursion)
	.set _ZL9mul_mat_fI15__hip_bfloat162Li64ELi4ELi5ELb1EEvPKT_PKfPKiPfiiiiiiiiiiiiiiii.has_indirect_call, or(0, .L_ZL14no_device_codePKciS0_iS0_.has_indirect_call)
	.section	.AMDGPU.csdata,"",@progbits
; Kernel info:
; codeLenInByte = 76
; TotalNumSgprs: 36
; NumVgprs: 38
; ScratchSize: 16
; MemoryBound: 0
; FloatMode: 240
; IeeeMode: 1
; LDSByteSize: 0 bytes/workgroup (compile time only)
; SGPRBlocks: 0
; VGPRBlocks: 4
; NumSGPRsForWavesPerEU: 36
; NumVGPRsForWavesPerEU: 38
; Occupancy: 16
; WaveLimiterHint : 1
; COMPUTE_PGM_RSRC2:SCRATCH_EN: 1
; COMPUTE_PGM_RSRC2:USER_SGPR: 2
; COMPUTE_PGM_RSRC2:TRAP_HANDLER: 0
; COMPUTE_PGM_RSRC2:TGID_X_EN: 1
; COMPUTE_PGM_RSRC2:TGID_Y_EN: 0
; COMPUTE_PGM_RSRC2:TGID_Z_EN: 0
; COMPUTE_PGM_RSRC2:TIDIG_COMP_CNT: 0
	.section	.text._ZL9mul_mat_fI15__hip_bfloat162Li64ELi4ELi5ELb0EEvPKT_PKfPKiPfiiiiiiiiiiiiiiii,"axG",@progbits,_ZL9mul_mat_fI15__hip_bfloat162Li64ELi4ELi5ELb0EEvPKT_PKfPKiPfiiiiiiiiiiiiiiii,comdat
	.globl	_ZL9mul_mat_fI15__hip_bfloat162Li64ELi4ELi5ELb0EEvPKT_PKfPKiPfiiiiiiiiiiiiiiii ; -- Begin function _ZL9mul_mat_fI15__hip_bfloat162Li64ELi4ELi5ELb0EEvPKT_PKfPKiPfiiiiiiiiiiiiiiii
	.p2align	8
	.type	_ZL9mul_mat_fI15__hip_bfloat162Li64ELi4ELi5ELb0EEvPKT_PKfPKiPfiiiiiiiiiiiiiiii,@function
_ZL9mul_mat_fI15__hip_bfloat162Li64ELi4ELi5ELb0EEvPKT_PKfPKiPfiiiiiiiiiiiiiiii: ; @_ZL9mul_mat_fI15__hip_bfloat162Li64ELi4ELi5ELb0EEvPKT_PKfPKiPfiiiiiiiiiiiiiiii
; %bb.0:
	s_getpc_b64 s[2:3]
	s_sext_i32_i16 s3, s3
	s_add_co_u32 s2, s2, __FUNCTION__._ZL9mul_mat_fIfLi32ELi4ELi1ELb1EEvPKT_PKfPKiPfiiiiiiiiiiiiiiii@rel32@lo+8
	s_add_co_ci_u32 s3, s3, __FUNCTION__._ZL9mul_mat_fIfLi32ELi4ELi1ELb1EEvPKT_PKfPKiPfiiiiiiiiiiiiiiii@rel32@hi+16
	v_dual_mov_b32 v0, 59 :: v_dual_mov_b32 v1, s2
	v_mov_b32_e32 v2, s3
	s_add_nc_u64 s[8:9], s[0:1], 0x60
	s_getpc_b64 s[0:1]
	s_sext_i32_i16 s1, s1
	s_add_co_u32 s0, s0, _ZL14no_device_codePKciS0_iS0_@rel32@lo+8
	s_add_co_ci_u32 s1, s1, _ZL14no_device_codePKciS0_iS0_@rel32@hi+16
	s_mov_b32 s32, 0
	s_swappc_b64 s[30:31], s[0:1]
	.section	.rodata,"a",@progbits
	.p2align	6, 0x0
	.amdhsa_kernel _ZL9mul_mat_fI15__hip_bfloat162Li64ELi4ELi5ELb0EEvPKT_PKfPKiPfiiiiiiiiiiiiiiii
		.amdhsa_group_segment_fixed_size 0
		.amdhsa_private_segment_fixed_size 16
		.amdhsa_kernarg_size 352
		.amdhsa_user_sgpr_count 2
		.amdhsa_user_sgpr_dispatch_ptr 0
		.amdhsa_user_sgpr_queue_ptr 0
		.amdhsa_user_sgpr_kernarg_segment_ptr 1
		.amdhsa_user_sgpr_dispatch_id 0
		.amdhsa_user_sgpr_private_segment_size 0
		.amdhsa_wavefront_size32 1
		.amdhsa_uses_dynamic_stack 0
		.amdhsa_enable_private_segment 1
		.amdhsa_system_sgpr_workgroup_id_x 1
		.amdhsa_system_sgpr_workgroup_id_y 0
		.amdhsa_system_sgpr_workgroup_id_z 0
		.amdhsa_system_sgpr_workgroup_info 0
		.amdhsa_system_vgpr_workitem_id 0
		.amdhsa_next_free_vgpr 38
		.amdhsa_next_free_sgpr 34
		.amdhsa_reserve_vcc 1
		.amdhsa_float_round_mode_32 0
		.amdhsa_float_round_mode_16_64 0
		.amdhsa_float_denorm_mode_32 3
		.amdhsa_float_denorm_mode_16_64 3
		.amdhsa_fp16_overflow 0
		.amdhsa_workgroup_processor_mode 1
		.amdhsa_memory_ordered 1
		.amdhsa_forward_progress 1
		.amdhsa_inst_pref_size 1
		.amdhsa_round_robin_scheduling 0
		.amdhsa_exception_fp_ieee_invalid_op 0
		.amdhsa_exception_fp_denorm_src 0
		.amdhsa_exception_fp_ieee_div_zero 0
		.amdhsa_exception_fp_ieee_overflow 0
		.amdhsa_exception_fp_ieee_underflow 0
		.amdhsa_exception_fp_ieee_inexact 0
		.amdhsa_exception_int_div_zero 0
	.end_amdhsa_kernel
	.section	.text._ZL9mul_mat_fI15__hip_bfloat162Li64ELi4ELi5ELb0EEvPKT_PKfPKiPfiiiiiiiiiiiiiiii,"axG",@progbits,_ZL9mul_mat_fI15__hip_bfloat162Li64ELi4ELi5ELb0EEvPKT_PKfPKiPfiiiiiiiiiiiiiiii,comdat
.Lfunc_end137:
	.size	_ZL9mul_mat_fI15__hip_bfloat162Li64ELi4ELi5ELb0EEvPKT_PKfPKiPfiiiiiiiiiiiiiiii, .Lfunc_end137-_ZL9mul_mat_fI15__hip_bfloat162Li64ELi4ELi5ELb0EEvPKT_PKfPKiPfiiiiiiiiiiiiiiii
                                        ; -- End function
	.set _ZL9mul_mat_fI15__hip_bfloat162Li64ELi4ELi5ELb0EEvPKT_PKfPKiPfiiiiiiiiiiiiiiii.num_vgpr, max(3, .L_ZL14no_device_codePKciS0_iS0_.num_vgpr)
	.set _ZL9mul_mat_fI15__hip_bfloat162Li64ELi4ELi5ELb0EEvPKT_PKfPKiPfiiiiiiiiiiiiiiii.num_agpr, max(0, .L_ZL14no_device_codePKciS0_iS0_.num_agpr)
	.set _ZL9mul_mat_fI15__hip_bfloat162Li64ELi4ELi5ELb0EEvPKT_PKfPKiPfiiiiiiiiiiiiiiii.numbered_sgpr, max(33, .L_ZL14no_device_codePKciS0_iS0_.numbered_sgpr)
	.set _ZL9mul_mat_fI15__hip_bfloat162Li64ELi4ELi5ELb0EEvPKT_PKfPKiPfiiiiiiiiiiiiiiii.num_named_barrier, max(0, .L_ZL14no_device_codePKciS0_iS0_.num_named_barrier)
	.set _ZL9mul_mat_fI15__hip_bfloat162Li64ELi4ELi5ELb0EEvPKT_PKfPKiPfiiiiiiiiiiiiiiii.private_seg_size, 0+max(.L_ZL14no_device_codePKciS0_iS0_.private_seg_size)
	.set _ZL9mul_mat_fI15__hip_bfloat162Li64ELi4ELi5ELb0EEvPKT_PKfPKiPfiiiiiiiiiiiiiiii.uses_vcc, or(1, .L_ZL14no_device_codePKciS0_iS0_.uses_vcc)
	.set _ZL9mul_mat_fI15__hip_bfloat162Li64ELi4ELi5ELb0EEvPKT_PKfPKiPfiiiiiiiiiiiiiiii.uses_flat_scratch, or(0, .L_ZL14no_device_codePKciS0_iS0_.uses_flat_scratch)
	.set _ZL9mul_mat_fI15__hip_bfloat162Li64ELi4ELi5ELb0EEvPKT_PKfPKiPfiiiiiiiiiiiiiiii.has_dyn_sized_stack, or(0, .L_ZL14no_device_codePKciS0_iS0_.has_dyn_sized_stack)
	.set _ZL9mul_mat_fI15__hip_bfloat162Li64ELi4ELi5ELb0EEvPKT_PKfPKiPfiiiiiiiiiiiiiiii.has_recursion, or(0, .L_ZL14no_device_codePKciS0_iS0_.has_recursion)
	.set _ZL9mul_mat_fI15__hip_bfloat162Li64ELi4ELi5ELb0EEvPKT_PKfPKiPfiiiiiiiiiiiiiiii.has_indirect_call, or(0, .L_ZL14no_device_codePKciS0_iS0_.has_indirect_call)
	.section	.AMDGPU.csdata,"",@progbits
; Kernel info:
; codeLenInByte = 76
; TotalNumSgprs: 36
; NumVgprs: 38
; ScratchSize: 16
; MemoryBound: 0
; FloatMode: 240
; IeeeMode: 1
; LDSByteSize: 0 bytes/workgroup (compile time only)
; SGPRBlocks: 0
; VGPRBlocks: 4
; NumSGPRsForWavesPerEU: 36
; NumVGPRsForWavesPerEU: 38
; Occupancy: 16
; WaveLimiterHint : 1
; COMPUTE_PGM_RSRC2:SCRATCH_EN: 1
; COMPUTE_PGM_RSRC2:USER_SGPR: 2
; COMPUTE_PGM_RSRC2:TRAP_HANDLER: 0
; COMPUTE_PGM_RSRC2:TGID_X_EN: 1
; COMPUTE_PGM_RSRC2:TGID_Y_EN: 0
; COMPUTE_PGM_RSRC2:TGID_Z_EN: 0
; COMPUTE_PGM_RSRC2:TIDIG_COMP_CNT: 0
	.section	.text._ZL13mul_mat_f_idsI15__hip_bfloat162Li64ELi4ELi6EEvPKT_PKfPKiS7_S7_Pfiiiiiiiiiiiiii15HIP_vector_typeIjLj3EESA_,"axG",@progbits,_ZL13mul_mat_f_idsI15__hip_bfloat162Li64ELi4ELi6EEvPKT_PKfPKiS7_S7_Pfiiiiiiiiiiiiii15HIP_vector_typeIjLj3EESA_,comdat
	.globl	_ZL13mul_mat_f_idsI15__hip_bfloat162Li64ELi4ELi6EEvPKT_PKfPKiS7_S7_Pfiiiiiiiiiiiiii15HIP_vector_typeIjLj3EESA_ ; -- Begin function _ZL13mul_mat_f_idsI15__hip_bfloat162Li64ELi4ELi6EEvPKT_PKfPKiS7_S7_Pfiiiiiiiiiiiiii15HIP_vector_typeIjLj3EESA_
	.p2align	8
	.type	_ZL13mul_mat_f_idsI15__hip_bfloat162Li64ELi4ELi6EEvPKT_PKfPKiS7_S7_Pfiiiiiiiiiiiiii15HIP_vector_typeIjLj3EESA_,@function
_ZL13mul_mat_f_idsI15__hip_bfloat162Li64ELi4ELi6EEvPKT_PKfPKiS7_S7_Pfiiiiiiiiiiiiii15HIP_vector_typeIjLj3EESA_: ; @_ZL13mul_mat_f_idsI15__hip_bfloat162Li64ELi4ELi6EEvPKT_PKfPKiS7_S7_Pfiiiiiiiiiiiiii15HIP_vector_typeIjLj3EESA_
; %bb.0:
	s_getpc_b64 s[2:3]
	s_sext_i32_i16 s3, s3
	s_add_co_u32 s2, s2, __FUNCTION__._ZL13mul_mat_f_idsIfLi32ELi4ELi1EEvPKT_PKfPKiS6_S6_Pfiiiiiiiiiiiiii15HIP_vector_typeIjLj3EES9_@rel32@lo+8
	s_add_co_ci_u32 s3, s3, __FUNCTION__._ZL13mul_mat_f_idsIfLi32ELi4ELi1EEvPKT_PKfPKiS6_S6_Pfiiiiiiiiiiiiii15HIP_vector_typeIjLj3EES9_@rel32@hi+16
	v_dual_mov_b32 v0, 0x136 :: v_dual_mov_b32 v1, s2
	v_mov_b32_e32 v2, s3
	s_add_nc_u64 s[8:9], s[0:1], 0x80
	s_getpc_b64 s[0:1]
	s_sext_i32_i16 s1, s1
	s_add_co_u32 s0, s0, _ZL14no_device_codePKciS0_iS0_@rel32@lo+8
	s_add_co_ci_u32 s1, s1, _ZL14no_device_codePKciS0_iS0_@rel32@hi+16
	s_mov_b32 s32, 0
	s_swappc_b64 s[30:31], s[0:1]
	.section	.rodata,"a",@progbits
	.p2align	6, 0x0
	.amdhsa_kernel _ZL13mul_mat_f_idsI15__hip_bfloat162Li64ELi4ELi6EEvPKT_PKfPKiS7_S7_Pfiiiiiiiiiiiiii15HIP_vector_typeIjLj3EESA_
		.amdhsa_group_segment_fixed_size 0
		.amdhsa_private_segment_fixed_size 16
		.amdhsa_kernarg_size 384
		.amdhsa_user_sgpr_count 2
		.amdhsa_user_sgpr_dispatch_ptr 0
		.amdhsa_user_sgpr_queue_ptr 0
		.amdhsa_user_sgpr_kernarg_segment_ptr 1
		.amdhsa_user_sgpr_dispatch_id 0
		.amdhsa_user_sgpr_private_segment_size 0
		.amdhsa_wavefront_size32 1
		.amdhsa_uses_dynamic_stack 0
		.amdhsa_enable_private_segment 1
		.amdhsa_system_sgpr_workgroup_id_x 1
		.amdhsa_system_sgpr_workgroup_id_y 0
		.amdhsa_system_sgpr_workgroup_id_z 0
		.amdhsa_system_sgpr_workgroup_info 0
		.amdhsa_system_vgpr_workitem_id 0
		.amdhsa_next_free_vgpr 38
		.amdhsa_next_free_sgpr 34
		.amdhsa_reserve_vcc 1
		.amdhsa_float_round_mode_32 0
		.amdhsa_float_round_mode_16_64 0
		.amdhsa_float_denorm_mode_32 3
		.amdhsa_float_denorm_mode_16_64 3
		.amdhsa_fp16_overflow 0
		.amdhsa_workgroup_processor_mode 1
		.amdhsa_memory_ordered 1
		.amdhsa_forward_progress 1
		.amdhsa_inst_pref_size 1
		.amdhsa_round_robin_scheduling 0
		.amdhsa_exception_fp_ieee_invalid_op 0
		.amdhsa_exception_fp_denorm_src 0
		.amdhsa_exception_fp_ieee_div_zero 0
		.amdhsa_exception_fp_ieee_overflow 0
		.amdhsa_exception_fp_ieee_underflow 0
		.amdhsa_exception_fp_ieee_inexact 0
		.amdhsa_exception_int_div_zero 0
	.end_amdhsa_kernel
	.section	.text._ZL13mul_mat_f_idsI15__hip_bfloat162Li64ELi4ELi6EEvPKT_PKfPKiS7_S7_Pfiiiiiiiiiiiiii15HIP_vector_typeIjLj3EESA_,"axG",@progbits,_ZL13mul_mat_f_idsI15__hip_bfloat162Li64ELi4ELi6EEvPKT_PKfPKiS7_S7_Pfiiiiiiiiiiiiii15HIP_vector_typeIjLj3EESA_,comdat
.Lfunc_end138:
	.size	_ZL13mul_mat_f_idsI15__hip_bfloat162Li64ELi4ELi6EEvPKT_PKfPKiS7_S7_Pfiiiiiiiiiiiiii15HIP_vector_typeIjLj3EESA_, .Lfunc_end138-_ZL13mul_mat_f_idsI15__hip_bfloat162Li64ELi4ELi6EEvPKT_PKfPKiS7_S7_Pfiiiiiiiiiiiiii15HIP_vector_typeIjLj3EESA_
                                        ; -- End function
	.set _ZL13mul_mat_f_idsI15__hip_bfloat162Li64ELi4ELi6EEvPKT_PKfPKiS7_S7_Pfiiiiiiiiiiiiii15HIP_vector_typeIjLj3EESA_.num_vgpr, max(3, .L_ZL14no_device_codePKciS0_iS0_.num_vgpr)
	.set _ZL13mul_mat_f_idsI15__hip_bfloat162Li64ELi4ELi6EEvPKT_PKfPKiS7_S7_Pfiiiiiiiiiiiiii15HIP_vector_typeIjLj3EESA_.num_agpr, max(0, .L_ZL14no_device_codePKciS0_iS0_.num_agpr)
	.set _ZL13mul_mat_f_idsI15__hip_bfloat162Li64ELi4ELi6EEvPKT_PKfPKiS7_S7_Pfiiiiiiiiiiiiii15HIP_vector_typeIjLj3EESA_.numbered_sgpr, max(33, .L_ZL14no_device_codePKciS0_iS0_.numbered_sgpr)
	.set _ZL13mul_mat_f_idsI15__hip_bfloat162Li64ELi4ELi6EEvPKT_PKfPKiS7_S7_Pfiiiiiiiiiiiiii15HIP_vector_typeIjLj3EESA_.num_named_barrier, max(0, .L_ZL14no_device_codePKciS0_iS0_.num_named_barrier)
	.set _ZL13mul_mat_f_idsI15__hip_bfloat162Li64ELi4ELi6EEvPKT_PKfPKiS7_S7_Pfiiiiiiiiiiiiii15HIP_vector_typeIjLj3EESA_.private_seg_size, 0+max(.L_ZL14no_device_codePKciS0_iS0_.private_seg_size)
	.set _ZL13mul_mat_f_idsI15__hip_bfloat162Li64ELi4ELi6EEvPKT_PKfPKiS7_S7_Pfiiiiiiiiiiiiii15HIP_vector_typeIjLj3EESA_.uses_vcc, or(1, .L_ZL14no_device_codePKciS0_iS0_.uses_vcc)
	.set _ZL13mul_mat_f_idsI15__hip_bfloat162Li64ELi4ELi6EEvPKT_PKfPKiS7_S7_Pfiiiiiiiiiiiiii15HIP_vector_typeIjLj3EESA_.uses_flat_scratch, or(0, .L_ZL14no_device_codePKciS0_iS0_.uses_flat_scratch)
	.set _ZL13mul_mat_f_idsI15__hip_bfloat162Li64ELi4ELi6EEvPKT_PKfPKiS7_S7_Pfiiiiiiiiiiiiii15HIP_vector_typeIjLj3EESA_.has_dyn_sized_stack, or(0, .L_ZL14no_device_codePKciS0_iS0_.has_dyn_sized_stack)
	.set _ZL13mul_mat_f_idsI15__hip_bfloat162Li64ELi4ELi6EEvPKT_PKfPKiS7_S7_Pfiiiiiiiiiiiiii15HIP_vector_typeIjLj3EESA_.has_recursion, or(0, .L_ZL14no_device_codePKciS0_iS0_.has_recursion)
	.set _ZL13mul_mat_f_idsI15__hip_bfloat162Li64ELi4ELi6EEvPKT_PKfPKiS7_S7_Pfiiiiiiiiiiiiii15HIP_vector_typeIjLj3EESA_.has_indirect_call, or(0, .L_ZL14no_device_codePKciS0_iS0_.has_indirect_call)
	.section	.AMDGPU.csdata,"",@progbits
; Kernel info:
; codeLenInByte = 80
; TotalNumSgprs: 36
; NumVgprs: 38
; ScratchSize: 16
; MemoryBound: 0
; FloatMode: 240
; IeeeMode: 1
; LDSByteSize: 0 bytes/workgroup (compile time only)
; SGPRBlocks: 0
; VGPRBlocks: 4
; NumSGPRsForWavesPerEU: 36
; NumVGPRsForWavesPerEU: 38
; Occupancy: 16
; WaveLimiterHint : 1
; COMPUTE_PGM_RSRC2:SCRATCH_EN: 1
; COMPUTE_PGM_RSRC2:USER_SGPR: 2
; COMPUTE_PGM_RSRC2:TRAP_HANDLER: 0
; COMPUTE_PGM_RSRC2:TGID_X_EN: 1
; COMPUTE_PGM_RSRC2:TGID_Y_EN: 0
; COMPUTE_PGM_RSRC2:TGID_Z_EN: 0
; COMPUTE_PGM_RSRC2:TIDIG_COMP_CNT: 0
	.section	.text._ZL9mul_mat_fI15__hip_bfloat162Li64ELi4ELi6ELb1EEvPKT_PKfPKiPfiiiiiiiiiiiiiiii,"axG",@progbits,_ZL9mul_mat_fI15__hip_bfloat162Li64ELi4ELi6ELb1EEvPKT_PKfPKiPfiiiiiiiiiiiiiiii,comdat
	.globl	_ZL9mul_mat_fI15__hip_bfloat162Li64ELi4ELi6ELb1EEvPKT_PKfPKiPfiiiiiiiiiiiiiiii ; -- Begin function _ZL9mul_mat_fI15__hip_bfloat162Li64ELi4ELi6ELb1EEvPKT_PKfPKiPfiiiiiiiiiiiiiiii
	.p2align	8
	.type	_ZL9mul_mat_fI15__hip_bfloat162Li64ELi4ELi6ELb1EEvPKT_PKfPKiPfiiiiiiiiiiiiiiii,@function
_ZL9mul_mat_fI15__hip_bfloat162Li64ELi4ELi6ELb1EEvPKT_PKfPKiPfiiiiiiiiiiiiiiii: ; @_ZL9mul_mat_fI15__hip_bfloat162Li64ELi4ELi6ELb1EEvPKT_PKfPKiPfiiiiiiiiiiiiiiii
; %bb.0:
	s_getpc_b64 s[2:3]
	s_sext_i32_i16 s3, s3
	s_add_co_u32 s2, s2, __FUNCTION__._ZL9mul_mat_fIfLi32ELi4ELi1ELb1EEvPKT_PKfPKiPfiiiiiiiiiiiiiiii@rel32@lo+8
	s_add_co_ci_u32 s3, s3, __FUNCTION__._ZL9mul_mat_fIfLi32ELi4ELi1ELb1EEvPKT_PKfPKiPfiiiiiiiiiiiiiiii@rel32@hi+16
	v_dual_mov_b32 v0, 59 :: v_dual_mov_b32 v1, s2
	v_mov_b32_e32 v2, s3
	s_add_nc_u64 s[8:9], s[0:1], 0x60
	s_getpc_b64 s[0:1]
	s_sext_i32_i16 s1, s1
	s_add_co_u32 s0, s0, _ZL14no_device_codePKciS0_iS0_@rel32@lo+8
	s_add_co_ci_u32 s1, s1, _ZL14no_device_codePKciS0_iS0_@rel32@hi+16
	s_mov_b32 s32, 0
	s_swappc_b64 s[30:31], s[0:1]
	.section	.rodata,"a",@progbits
	.p2align	6, 0x0
	.amdhsa_kernel _ZL9mul_mat_fI15__hip_bfloat162Li64ELi4ELi6ELb1EEvPKT_PKfPKiPfiiiiiiiiiiiiiiii
		.amdhsa_group_segment_fixed_size 0
		.amdhsa_private_segment_fixed_size 16
		.amdhsa_kernarg_size 352
		.amdhsa_user_sgpr_count 2
		.amdhsa_user_sgpr_dispatch_ptr 0
		.amdhsa_user_sgpr_queue_ptr 0
		.amdhsa_user_sgpr_kernarg_segment_ptr 1
		.amdhsa_user_sgpr_dispatch_id 0
		.amdhsa_user_sgpr_private_segment_size 0
		.amdhsa_wavefront_size32 1
		.amdhsa_uses_dynamic_stack 0
		.amdhsa_enable_private_segment 1
		.amdhsa_system_sgpr_workgroup_id_x 1
		.amdhsa_system_sgpr_workgroup_id_y 0
		.amdhsa_system_sgpr_workgroup_id_z 0
		.amdhsa_system_sgpr_workgroup_info 0
		.amdhsa_system_vgpr_workitem_id 0
		.amdhsa_next_free_vgpr 38
		.amdhsa_next_free_sgpr 34
		.amdhsa_reserve_vcc 1
		.amdhsa_float_round_mode_32 0
		.amdhsa_float_round_mode_16_64 0
		.amdhsa_float_denorm_mode_32 3
		.amdhsa_float_denorm_mode_16_64 3
		.amdhsa_fp16_overflow 0
		.amdhsa_workgroup_processor_mode 1
		.amdhsa_memory_ordered 1
		.amdhsa_forward_progress 1
		.amdhsa_inst_pref_size 1
		.amdhsa_round_robin_scheduling 0
		.amdhsa_exception_fp_ieee_invalid_op 0
		.amdhsa_exception_fp_denorm_src 0
		.amdhsa_exception_fp_ieee_div_zero 0
		.amdhsa_exception_fp_ieee_overflow 0
		.amdhsa_exception_fp_ieee_underflow 0
		.amdhsa_exception_fp_ieee_inexact 0
		.amdhsa_exception_int_div_zero 0
	.end_amdhsa_kernel
	.section	.text._ZL9mul_mat_fI15__hip_bfloat162Li64ELi4ELi6ELb1EEvPKT_PKfPKiPfiiiiiiiiiiiiiiii,"axG",@progbits,_ZL9mul_mat_fI15__hip_bfloat162Li64ELi4ELi6ELb1EEvPKT_PKfPKiPfiiiiiiiiiiiiiiii,comdat
.Lfunc_end139:
	.size	_ZL9mul_mat_fI15__hip_bfloat162Li64ELi4ELi6ELb1EEvPKT_PKfPKiPfiiiiiiiiiiiiiiii, .Lfunc_end139-_ZL9mul_mat_fI15__hip_bfloat162Li64ELi4ELi6ELb1EEvPKT_PKfPKiPfiiiiiiiiiiiiiiii
                                        ; -- End function
	.set _ZL9mul_mat_fI15__hip_bfloat162Li64ELi4ELi6ELb1EEvPKT_PKfPKiPfiiiiiiiiiiiiiiii.num_vgpr, max(3, .L_ZL14no_device_codePKciS0_iS0_.num_vgpr)
	.set _ZL9mul_mat_fI15__hip_bfloat162Li64ELi4ELi6ELb1EEvPKT_PKfPKiPfiiiiiiiiiiiiiiii.num_agpr, max(0, .L_ZL14no_device_codePKciS0_iS0_.num_agpr)
	.set _ZL9mul_mat_fI15__hip_bfloat162Li64ELi4ELi6ELb1EEvPKT_PKfPKiPfiiiiiiiiiiiiiiii.numbered_sgpr, max(33, .L_ZL14no_device_codePKciS0_iS0_.numbered_sgpr)
	.set _ZL9mul_mat_fI15__hip_bfloat162Li64ELi4ELi6ELb1EEvPKT_PKfPKiPfiiiiiiiiiiiiiiii.num_named_barrier, max(0, .L_ZL14no_device_codePKciS0_iS0_.num_named_barrier)
	.set _ZL9mul_mat_fI15__hip_bfloat162Li64ELi4ELi6ELb1EEvPKT_PKfPKiPfiiiiiiiiiiiiiiii.private_seg_size, 0+max(.L_ZL14no_device_codePKciS0_iS0_.private_seg_size)
	.set _ZL9mul_mat_fI15__hip_bfloat162Li64ELi4ELi6ELb1EEvPKT_PKfPKiPfiiiiiiiiiiiiiiii.uses_vcc, or(1, .L_ZL14no_device_codePKciS0_iS0_.uses_vcc)
	.set _ZL9mul_mat_fI15__hip_bfloat162Li64ELi4ELi6ELb1EEvPKT_PKfPKiPfiiiiiiiiiiiiiiii.uses_flat_scratch, or(0, .L_ZL14no_device_codePKciS0_iS0_.uses_flat_scratch)
	.set _ZL9mul_mat_fI15__hip_bfloat162Li64ELi4ELi6ELb1EEvPKT_PKfPKiPfiiiiiiiiiiiiiiii.has_dyn_sized_stack, or(0, .L_ZL14no_device_codePKciS0_iS0_.has_dyn_sized_stack)
	.set _ZL9mul_mat_fI15__hip_bfloat162Li64ELi4ELi6ELb1EEvPKT_PKfPKiPfiiiiiiiiiiiiiiii.has_recursion, or(0, .L_ZL14no_device_codePKciS0_iS0_.has_recursion)
	.set _ZL9mul_mat_fI15__hip_bfloat162Li64ELi4ELi6ELb1EEvPKT_PKfPKiPfiiiiiiiiiiiiiiii.has_indirect_call, or(0, .L_ZL14no_device_codePKciS0_iS0_.has_indirect_call)
	.section	.AMDGPU.csdata,"",@progbits
; Kernel info:
; codeLenInByte = 76
; TotalNumSgprs: 36
; NumVgprs: 38
; ScratchSize: 16
; MemoryBound: 0
; FloatMode: 240
; IeeeMode: 1
; LDSByteSize: 0 bytes/workgroup (compile time only)
; SGPRBlocks: 0
; VGPRBlocks: 4
; NumSGPRsForWavesPerEU: 36
; NumVGPRsForWavesPerEU: 38
; Occupancy: 16
; WaveLimiterHint : 1
; COMPUTE_PGM_RSRC2:SCRATCH_EN: 1
; COMPUTE_PGM_RSRC2:USER_SGPR: 2
; COMPUTE_PGM_RSRC2:TRAP_HANDLER: 0
; COMPUTE_PGM_RSRC2:TGID_X_EN: 1
; COMPUTE_PGM_RSRC2:TGID_Y_EN: 0
; COMPUTE_PGM_RSRC2:TGID_Z_EN: 0
; COMPUTE_PGM_RSRC2:TIDIG_COMP_CNT: 0
	.section	.text._ZL9mul_mat_fI15__hip_bfloat162Li64ELi4ELi6ELb0EEvPKT_PKfPKiPfiiiiiiiiiiiiiiii,"axG",@progbits,_ZL9mul_mat_fI15__hip_bfloat162Li64ELi4ELi6ELb0EEvPKT_PKfPKiPfiiiiiiiiiiiiiiii,comdat
	.globl	_ZL9mul_mat_fI15__hip_bfloat162Li64ELi4ELi6ELb0EEvPKT_PKfPKiPfiiiiiiiiiiiiiiii ; -- Begin function _ZL9mul_mat_fI15__hip_bfloat162Li64ELi4ELi6ELb0EEvPKT_PKfPKiPfiiiiiiiiiiiiiiii
	.p2align	8
	.type	_ZL9mul_mat_fI15__hip_bfloat162Li64ELi4ELi6ELb0EEvPKT_PKfPKiPfiiiiiiiiiiiiiiii,@function
_ZL9mul_mat_fI15__hip_bfloat162Li64ELi4ELi6ELb0EEvPKT_PKfPKiPfiiiiiiiiiiiiiiii: ; @_ZL9mul_mat_fI15__hip_bfloat162Li64ELi4ELi6ELb0EEvPKT_PKfPKiPfiiiiiiiiiiiiiiii
; %bb.0:
	s_getpc_b64 s[2:3]
	s_sext_i32_i16 s3, s3
	s_add_co_u32 s2, s2, __FUNCTION__._ZL9mul_mat_fIfLi32ELi4ELi1ELb1EEvPKT_PKfPKiPfiiiiiiiiiiiiiiii@rel32@lo+8
	s_add_co_ci_u32 s3, s3, __FUNCTION__._ZL9mul_mat_fIfLi32ELi4ELi1ELb1EEvPKT_PKfPKiPfiiiiiiiiiiiiiiii@rel32@hi+16
	v_dual_mov_b32 v0, 59 :: v_dual_mov_b32 v1, s2
	v_mov_b32_e32 v2, s3
	s_add_nc_u64 s[8:9], s[0:1], 0x60
	s_getpc_b64 s[0:1]
	s_sext_i32_i16 s1, s1
	s_add_co_u32 s0, s0, _ZL14no_device_codePKciS0_iS0_@rel32@lo+8
	s_add_co_ci_u32 s1, s1, _ZL14no_device_codePKciS0_iS0_@rel32@hi+16
	s_mov_b32 s32, 0
	s_swappc_b64 s[30:31], s[0:1]
	.section	.rodata,"a",@progbits
	.p2align	6, 0x0
	.amdhsa_kernel _ZL9mul_mat_fI15__hip_bfloat162Li64ELi4ELi6ELb0EEvPKT_PKfPKiPfiiiiiiiiiiiiiiii
		.amdhsa_group_segment_fixed_size 0
		.amdhsa_private_segment_fixed_size 16
		.amdhsa_kernarg_size 352
		.amdhsa_user_sgpr_count 2
		.amdhsa_user_sgpr_dispatch_ptr 0
		.amdhsa_user_sgpr_queue_ptr 0
		.amdhsa_user_sgpr_kernarg_segment_ptr 1
		.amdhsa_user_sgpr_dispatch_id 0
		.amdhsa_user_sgpr_private_segment_size 0
		.amdhsa_wavefront_size32 1
		.amdhsa_uses_dynamic_stack 0
		.amdhsa_enable_private_segment 1
		.amdhsa_system_sgpr_workgroup_id_x 1
		.amdhsa_system_sgpr_workgroup_id_y 0
		.amdhsa_system_sgpr_workgroup_id_z 0
		.amdhsa_system_sgpr_workgroup_info 0
		.amdhsa_system_vgpr_workitem_id 0
		.amdhsa_next_free_vgpr 38
		.amdhsa_next_free_sgpr 34
		.amdhsa_reserve_vcc 1
		.amdhsa_float_round_mode_32 0
		.amdhsa_float_round_mode_16_64 0
		.amdhsa_float_denorm_mode_32 3
		.amdhsa_float_denorm_mode_16_64 3
		.amdhsa_fp16_overflow 0
		.amdhsa_workgroup_processor_mode 1
		.amdhsa_memory_ordered 1
		.amdhsa_forward_progress 1
		.amdhsa_inst_pref_size 1
		.amdhsa_round_robin_scheduling 0
		.amdhsa_exception_fp_ieee_invalid_op 0
		.amdhsa_exception_fp_denorm_src 0
		.amdhsa_exception_fp_ieee_div_zero 0
		.amdhsa_exception_fp_ieee_overflow 0
		.amdhsa_exception_fp_ieee_underflow 0
		.amdhsa_exception_fp_ieee_inexact 0
		.amdhsa_exception_int_div_zero 0
	.end_amdhsa_kernel
	.section	.text._ZL9mul_mat_fI15__hip_bfloat162Li64ELi4ELi6ELb0EEvPKT_PKfPKiPfiiiiiiiiiiiiiiii,"axG",@progbits,_ZL9mul_mat_fI15__hip_bfloat162Li64ELi4ELi6ELb0EEvPKT_PKfPKiPfiiiiiiiiiiiiiiii,comdat
.Lfunc_end140:
	.size	_ZL9mul_mat_fI15__hip_bfloat162Li64ELi4ELi6ELb0EEvPKT_PKfPKiPfiiiiiiiiiiiiiiii, .Lfunc_end140-_ZL9mul_mat_fI15__hip_bfloat162Li64ELi4ELi6ELb0EEvPKT_PKfPKiPfiiiiiiiiiiiiiiii
                                        ; -- End function
	.set _ZL9mul_mat_fI15__hip_bfloat162Li64ELi4ELi6ELb0EEvPKT_PKfPKiPfiiiiiiiiiiiiiiii.num_vgpr, max(3, .L_ZL14no_device_codePKciS0_iS0_.num_vgpr)
	.set _ZL9mul_mat_fI15__hip_bfloat162Li64ELi4ELi6ELb0EEvPKT_PKfPKiPfiiiiiiiiiiiiiiii.num_agpr, max(0, .L_ZL14no_device_codePKciS0_iS0_.num_agpr)
	.set _ZL9mul_mat_fI15__hip_bfloat162Li64ELi4ELi6ELb0EEvPKT_PKfPKiPfiiiiiiiiiiiiiiii.numbered_sgpr, max(33, .L_ZL14no_device_codePKciS0_iS0_.numbered_sgpr)
	.set _ZL9mul_mat_fI15__hip_bfloat162Li64ELi4ELi6ELb0EEvPKT_PKfPKiPfiiiiiiiiiiiiiiii.num_named_barrier, max(0, .L_ZL14no_device_codePKciS0_iS0_.num_named_barrier)
	.set _ZL9mul_mat_fI15__hip_bfloat162Li64ELi4ELi6ELb0EEvPKT_PKfPKiPfiiiiiiiiiiiiiiii.private_seg_size, 0+max(.L_ZL14no_device_codePKciS0_iS0_.private_seg_size)
	.set _ZL9mul_mat_fI15__hip_bfloat162Li64ELi4ELi6ELb0EEvPKT_PKfPKiPfiiiiiiiiiiiiiiii.uses_vcc, or(1, .L_ZL14no_device_codePKciS0_iS0_.uses_vcc)
	.set _ZL9mul_mat_fI15__hip_bfloat162Li64ELi4ELi6ELb0EEvPKT_PKfPKiPfiiiiiiiiiiiiiiii.uses_flat_scratch, or(0, .L_ZL14no_device_codePKciS0_iS0_.uses_flat_scratch)
	.set _ZL9mul_mat_fI15__hip_bfloat162Li64ELi4ELi6ELb0EEvPKT_PKfPKiPfiiiiiiiiiiiiiiii.has_dyn_sized_stack, or(0, .L_ZL14no_device_codePKciS0_iS0_.has_dyn_sized_stack)
	.set _ZL9mul_mat_fI15__hip_bfloat162Li64ELi4ELi6ELb0EEvPKT_PKfPKiPfiiiiiiiiiiiiiiii.has_recursion, or(0, .L_ZL14no_device_codePKciS0_iS0_.has_recursion)
	.set _ZL9mul_mat_fI15__hip_bfloat162Li64ELi4ELi6ELb0EEvPKT_PKfPKiPfiiiiiiiiiiiiiiii.has_indirect_call, or(0, .L_ZL14no_device_codePKciS0_iS0_.has_indirect_call)
	.section	.AMDGPU.csdata,"",@progbits
; Kernel info:
; codeLenInByte = 76
; TotalNumSgprs: 36
; NumVgprs: 38
; ScratchSize: 16
; MemoryBound: 0
; FloatMode: 240
; IeeeMode: 1
; LDSByteSize: 0 bytes/workgroup (compile time only)
; SGPRBlocks: 0
; VGPRBlocks: 4
; NumSGPRsForWavesPerEU: 36
; NumVGPRsForWavesPerEU: 38
; Occupancy: 16
; WaveLimiterHint : 1
; COMPUTE_PGM_RSRC2:SCRATCH_EN: 1
; COMPUTE_PGM_RSRC2:USER_SGPR: 2
; COMPUTE_PGM_RSRC2:TRAP_HANDLER: 0
; COMPUTE_PGM_RSRC2:TGID_X_EN: 1
; COMPUTE_PGM_RSRC2:TGID_Y_EN: 0
; COMPUTE_PGM_RSRC2:TGID_Z_EN: 0
; COMPUTE_PGM_RSRC2:TIDIG_COMP_CNT: 0
	.section	.text._ZL13mul_mat_f_idsI15__hip_bfloat162Li64ELi4ELi7EEvPKT_PKfPKiS7_S7_Pfiiiiiiiiiiiiii15HIP_vector_typeIjLj3EESA_,"axG",@progbits,_ZL13mul_mat_f_idsI15__hip_bfloat162Li64ELi4ELi7EEvPKT_PKfPKiS7_S7_Pfiiiiiiiiiiiiii15HIP_vector_typeIjLj3EESA_,comdat
	.globl	_ZL13mul_mat_f_idsI15__hip_bfloat162Li64ELi4ELi7EEvPKT_PKfPKiS7_S7_Pfiiiiiiiiiiiiii15HIP_vector_typeIjLj3EESA_ ; -- Begin function _ZL13mul_mat_f_idsI15__hip_bfloat162Li64ELi4ELi7EEvPKT_PKfPKiS7_S7_Pfiiiiiiiiiiiiii15HIP_vector_typeIjLj3EESA_
	.p2align	8
	.type	_ZL13mul_mat_f_idsI15__hip_bfloat162Li64ELi4ELi7EEvPKT_PKfPKiS7_S7_Pfiiiiiiiiiiiiii15HIP_vector_typeIjLj3EESA_,@function
_ZL13mul_mat_f_idsI15__hip_bfloat162Li64ELi4ELi7EEvPKT_PKfPKiS7_S7_Pfiiiiiiiiiiiiii15HIP_vector_typeIjLj3EESA_: ; @_ZL13mul_mat_f_idsI15__hip_bfloat162Li64ELi4ELi7EEvPKT_PKfPKiS7_S7_Pfiiiiiiiiiiiiii15HIP_vector_typeIjLj3EESA_
; %bb.0:
	s_getpc_b64 s[2:3]
	s_sext_i32_i16 s3, s3
	s_add_co_u32 s2, s2, __FUNCTION__._ZL13mul_mat_f_idsIfLi32ELi4ELi1EEvPKT_PKfPKiS6_S6_Pfiiiiiiiiiiiiii15HIP_vector_typeIjLj3EES9_@rel32@lo+8
	s_add_co_ci_u32 s3, s3, __FUNCTION__._ZL13mul_mat_f_idsIfLi32ELi4ELi1EEvPKT_PKfPKiS6_S6_Pfiiiiiiiiiiiiii15HIP_vector_typeIjLj3EES9_@rel32@hi+16
	v_dual_mov_b32 v0, 0x136 :: v_dual_mov_b32 v1, s2
	v_mov_b32_e32 v2, s3
	s_add_nc_u64 s[8:9], s[0:1], 0x80
	s_getpc_b64 s[0:1]
	s_sext_i32_i16 s1, s1
	s_add_co_u32 s0, s0, _ZL14no_device_codePKciS0_iS0_@rel32@lo+8
	s_add_co_ci_u32 s1, s1, _ZL14no_device_codePKciS0_iS0_@rel32@hi+16
	s_mov_b32 s32, 0
	s_swappc_b64 s[30:31], s[0:1]
	.section	.rodata,"a",@progbits
	.p2align	6, 0x0
	.amdhsa_kernel _ZL13mul_mat_f_idsI15__hip_bfloat162Li64ELi4ELi7EEvPKT_PKfPKiS7_S7_Pfiiiiiiiiiiiiii15HIP_vector_typeIjLj3EESA_
		.amdhsa_group_segment_fixed_size 0
		.amdhsa_private_segment_fixed_size 16
		.amdhsa_kernarg_size 384
		.amdhsa_user_sgpr_count 2
		.amdhsa_user_sgpr_dispatch_ptr 0
		.amdhsa_user_sgpr_queue_ptr 0
		.amdhsa_user_sgpr_kernarg_segment_ptr 1
		.amdhsa_user_sgpr_dispatch_id 0
		.amdhsa_user_sgpr_private_segment_size 0
		.amdhsa_wavefront_size32 1
		.amdhsa_uses_dynamic_stack 0
		.amdhsa_enable_private_segment 1
		.amdhsa_system_sgpr_workgroup_id_x 1
		.amdhsa_system_sgpr_workgroup_id_y 0
		.amdhsa_system_sgpr_workgroup_id_z 0
		.amdhsa_system_sgpr_workgroup_info 0
		.amdhsa_system_vgpr_workitem_id 0
		.amdhsa_next_free_vgpr 38
		.amdhsa_next_free_sgpr 34
		.amdhsa_reserve_vcc 1
		.amdhsa_float_round_mode_32 0
		.amdhsa_float_round_mode_16_64 0
		.amdhsa_float_denorm_mode_32 3
		.amdhsa_float_denorm_mode_16_64 3
		.amdhsa_fp16_overflow 0
		.amdhsa_workgroup_processor_mode 1
		.amdhsa_memory_ordered 1
		.amdhsa_forward_progress 1
		.amdhsa_inst_pref_size 1
		.amdhsa_round_robin_scheduling 0
		.amdhsa_exception_fp_ieee_invalid_op 0
		.amdhsa_exception_fp_denorm_src 0
		.amdhsa_exception_fp_ieee_div_zero 0
		.amdhsa_exception_fp_ieee_overflow 0
		.amdhsa_exception_fp_ieee_underflow 0
		.amdhsa_exception_fp_ieee_inexact 0
		.amdhsa_exception_int_div_zero 0
	.end_amdhsa_kernel
	.section	.text._ZL13mul_mat_f_idsI15__hip_bfloat162Li64ELi4ELi7EEvPKT_PKfPKiS7_S7_Pfiiiiiiiiiiiiii15HIP_vector_typeIjLj3EESA_,"axG",@progbits,_ZL13mul_mat_f_idsI15__hip_bfloat162Li64ELi4ELi7EEvPKT_PKfPKiS7_S7_Pfiiiiiiiiiiiiii15HIP_vector_typeIjLj3EESA_,comdat
.Lfunc_end141:
	.size	_ZL13mul_mat_f_idsI15__hip_bfloat162Li64ELi4ELi7EEvPKT_PKfPKiS7_S7_Pfiiiiiiiiiiiiii15HIP_vector_typeIjLj3EESA_, .Lfunc_end141-_ZL13mul_mat_f_idsI15__hip_bfloat162Li64ELi4ELi7EEvPKT_PKfPKiS7_S7_Pfiiiiiiiiiiiiii15HIP_vector_typeIjLj3EESA_
                                        ; -- End function
	.set _ZL13mul_mat_f_idsI15__hip_bfloat162Li64ELi4ELi7EEvPKT_PKfPKiS7_S7_Pfiiiiiiiiiiiiii15HIP_vector_typeIjLj3EESA_.num_vgpr, max(3, .L_ZL14no_device_codePKciS0_iS0_.num_vgpr)
	.set _ZL13mul_mat_f_idsI15__hip_bfloat162Li64ELi4ELi7EEvPKT_PKfPKiS7_S7_Pfiiiiiiiiiiiiii15HIP_vector_typeIjLj3EESA_.num_agpr, max(0, .L_ZL14no_device_codePKciS0_iS0_.num_agpr)
	.set _ZL13mul_mat_f_idsI15__hip_bfloat162Li64ELi4ELi7EEvPKT_PKfPKiS7_S7_Pfiiiiiiiiiiiiii15HIP_vector_typeIjLj3EESA_.numbered_sgpr, max(33, .L_ZL14no_device_codePKciS0_iS0_.numbered_sgpr)
	.set _ZL13mul_mat_f_idsI15__hip_bfloat162Li64ELi4ELi7EEvPKT_PKfPKiS7_S7_Pfiiiiiiiiiiiiii15HIP_vector_typeIjLj3EESA_.num_named_barrier, max(0, .L_ZL14no_device_codePKciS0_iS0_.num_named_barrier)
	.set _ZL13mul_mat_f_idsI15__hip_bfloat162Li64ELi4ELi7EEvPKT_PKfPKiS7_S7_Pfiiiiiiiiiiiiii15HIP_vector_typeIjLj3EESA_.private_seg_size, 0+max(.L_ZL14no_device_codePKciS0_iS0_.private_seg_size)
	.set _ZL13mul_mat_f_idsI15__hip_bfloat162Li64ELi4ELi7EEvPKT_PKfPKiS7_S7_Pfiiiiiiiiiiiiii15HIP_vector_typeIjLj3EESA_.uses_vcc, or(1, .L_ZL14no_device_codePKciS0_iS0_.uses_vcc)
	.set _ZL13mul_mat_f_idsI15__hip_bfloat162Li64ELi4ELi7EEvPKT_PKfPKiS7_S7_Pfiiiiiiiiiiiiii15HIP_vector_typeIjLj3EESA_.uses_flat_scratch, or(0, .L_ZL14no_device_codePKciS0_iS0_.uses_flat_scratch)
	.set _ZL13mul_mat_f_idsI15__hip_bfloat162Li64ELi4ELi7EEvPKT_PKfPKiS7_S7_Pfiiiiiiiiiiiiii15HIP_vector_typeIjLj3EESA_.has_dyn_sized_stack, or(0, .L_ZL14no_device_codePKciS0_iS0_.has_dyn_sized_stack)
	.set _ZL13mul_mat_f_idsI15__hip_bfloat162Li64ELi4ELi7EEvPKT_PKfPKiS7_S7_Pfiiiiiiiiiiiiii15HIP_vector_typeIjLj3EESA_.has_recursion, or(0, .L_ZL14no_device_codePKciS0_iS0_.has_recursion)
	.set _ZL13mul_mat_f_idsI15__hip_bfloat162Li64ELi4ELi7EEvPKT_PKfPKiS7_S7_Pfiiiiiiiiiiiiii15HIP_vector_typeIjLj3EESA_.has_indirect_call, or(0, .L_ZL14no_device_codePKciS0_iS0_.has_indirect_call)
	.section	.AMDGPU.csdata,"",@progbits
; Kernel info:
; codeLenInByte = 80
; TotalNumSgprs: 36
; NumVgprs: 38
; ScratchSize: 16
; MemoryBound: 0
; FloatMode: 240
; IeeeMode: 1
; LDSByteSize: 0 bytes/workgroup (compile time only)
; SGPRBlocks: 0
; VGPRBlocks: 4
; NumSGPRsForWavesPerEU: 36
; NumVGPRsForWavesPerEU: 38
; Occupancy: 16
; WaveLimiterHint : 1
; COMPUTE_PGM_RSRC2:SCRATCH_EN: 1
; COMPUTE_PGM_RSRC2:USER_SGPR: 2
; COMPUTE_PGM_RSRC2:TRAP_HANDLER: 0
; COMPUTE_PGM_RSRC2:TGID_X_EN: 1
; COMPUTE_PGM_RSRC2:TGID_Y_EN: 0
; COMPUTE_PGM_RSRC2:TGID_Z_EN: 0
; COMPUTE_PGM_RSRC2:TIDIG_COMP_CNT: 0
	.section	.text._ZL9mul_mat_fI15__hip_bfloat162Li64ELi4ELi7ELb1EEvPKT_PKfPKiPfiiiiiiiiiiiiiiii,"axG",@progbits,_ZL9mul_mat_fI15__hip_bfloat162Li64ELi4ELi7ELb1EEvPKT_PKfPKiPfiiiiiiiiiiiiiiii,comdat
	.globl	_ZL9mul_mat_fI15__hip_bfloat162Li64ELi4ELi7ELb1EEvPKT_PKfPKiPfiiiiiiiiiiiiiiii ; -- Begin function _ZL9mul_mat_fI15__hip_bfloat162Li64ELi4ELi7ELb1EEvPKT_PKfPKiPfiiiiiiiiiiiiiiii
	.p2align	8
	.type	_ZL9mul_mat_fI15__hip_bfloat162Li64ELi4ELi7ELb1EEvPKT_PKfPKiPfiiiiiiiiiiiiiiii,@function
_ZL9mul_mat_fI15__hip_bfloat162Li64ELi4ELi7ELb1EEvPKT_PKfPKiPfiiiiiiiiiiiiiiii: ; @_ZL9mul_mat_fI15__hip_bfloat162Li64ELi4ELi7ELb1EEvPKT_PKfPKiPfiiiiiiiiiiiiiiii
; %bb.0:
	s_getpc_b64 s[2:3]
	s_sext_i32_i16 s3, s3
	s_add_co_u32 s2, s2, __FUNCTION__._ZL9mul_mat_fIfLi32ELi4ELi1ELb1EEvPKT_PKfPKiPfiiiiiiiiiiiiiiii@rel32@lo+8
	s_add_co_ci_u32 s3, s3, __FUNCTION__._ZL9mul_mat_fIfLi32ELi4ELi1ELb1EEvPKT_PKfPKiPfiiiiiiiiiiiiiiii@rel32@hi+16
	v_dual_mov_b32 v0, 59 :: v_dual_mov_b32 v1, s2
	v_mov_b32_e32 v2, s3
	s_add_nc_u64 s[8:9], s[0:1], 0x60
	s_getpc_b64 s[0:1]
	s_sext_i32_i16 s1, s1
	s_add_co_u32 s0, s0, _ZL14no_device_codePKciS0_iS0_@rel32@lo+8
	s_add_co_ci_u32 s1, s1, _ZL14no_device_codePKciS0_iS0_@rel32@hi+16
	s_mov_b32 s32, 0
	s_swappc_b64 s[30:31], s[0:1]
	.section	.rodata,"a",@progbits
	.p2align	6, 0x0
	.amdhsa_kernel _ZL9mul_mat_fI15__hip_bfloat162Li64ELi4ELi7ELb1EEvPKT_PKfPKiPfiiiiiiiiiiiiiiii
		.amdhsa_group_segment_fixed_size 0
		.amdhsa_private_segment_fixed_size 16
		.amdhsa_kernarg_size 352
		.amdhsa_user_sgpr_count 2
		.amdhsa_user_sgpr_dispatch_ptr 0
		.amdhsa_user_sgpr_queue_ptr 0
		.amdhsa_user_sgpr_kernarg_segment_ptr 1
		.amdhsa_user_sgpr_dispatch_id 0
		.amdhsa_user_sgpr_private_segment_size 0
		.amdhsa_wavefront_size32 1
		.amdhsa_uses_dynamic_stack 0
		.amdhsa_enable_private_segment 1
		.amdhsa_system_sgpr_workgroup_id_x 1
		.amdhsa_system_sgpr_workgroup_id_y 0
		.amdhsa_system_sgpr_workgroup_id_z 0
		.amdhsa_system_sgpr_workgroup_info 0
		.amdhsa_system_vgpr_workitem_id 0
		.amdhsa_next_free_vgpr 38
		.amdhsa_next_free_sgpr 34
		.amdhsa_reserve_vcc 1
		.amdhsa_float_round_mode_32 0
		.amdhsa_float_round_mode_16_64 0
		.amdhsa_float_denorm_mode_32 3
		.amdhsa_float_denorm_mode_16_64 3
		.amdhsa_fp16_overflow 0
		.amdhsa_workgroup_processor_mode 1
		.amdhsa_memory_ordered 1
		.amdhsa_forward_progress 1
		.amdhsa_inst_pref_size 1
		.amdhsa_round_robin_scheduling 0
		.amdhsa_exception_fp_ieee_invalid_op 0
		.amdhsa_exception_fp_denorm_src 0
		.amdhsa_exception_fp_ieee_div_zero 0
		.amdhsa_exception_fp_ieee_overflow 0
		.amdhsa_exception_fp_ieee_underflow 0
		.amdhsa_exception_fp_ieee_inexact 0
		.amdhsa_exception_int_div_zero 0
	.end_amdhsa_kernel
	.section	.text._ZL9mul_mat_fI15__hip_bfloat162Li64ELi4ELi7ELb1EEvPKT_PKfPKiPfiiiiiiiiiiiiiiii,"axG",@progbits,_ZL9mul_mat_fI15__hip_bfloat162Li64ELi4ELi7ELb1EEvPKT_PKfPKiPfiiiiiiiiiiiiiiii,comdat
.Lfunc_end142:
	.size	_ZL9mul_mat_fI15__hip_bfloat162Li64ELi4ELi7ELb1EEvPKT_PKfPKiPfiiiiiiiiiiiiiiii, .Lfunc_end142-_ZL9mul_mat_fI15__hip_bfloat162Li64ELi4ELi7ELb1EEvPKT_PKfPKiPfiiiiiiiiiiiiiiii
                                        ; -- End function
	.set _ZL9mul_mat_fI15__hip_bfloat162Li64ELi4ELi7ELb1EEvPKT_PKfPKiPfiiiiiiiiiiiiiiii.num_vgpr, max(3, .L_ZL14no_device_codePKciS0_iS0_.num_vgpr)
	.set _ZL9mul_mat_fI15__hip_bfloat162Li64ELi4ELi7ELb1EEvPKT_PKfPKiPfiiiiiiiiiiiiiiii.num_agpr, max(0, .L_ZL14no_device_codePKciS0_iS0_.num_agpr)
	.set _ZL9mul_mat_fI15__hip_bfloat162Li64ELi4ELi7ELb1EEvPKT_PKfPKiPfiiiiiiiiiiiiiiii.numbered_sgpr, max(33, .L_ZL14no_device_codePKciS0_iS0_.numbered_sgpr)
	.set _ZL9mul_mat_fI15__hip_bfloat162Li64ELi4ELi7ELb1EEvPKT_PKfPKiPfiiiiiiiiiiiiiiii.num_named_barrier, max(0, .L_ZL14no_device_codePKciS0_iS0_.num_named_barrier)
	.set _ZL9mul_mat_fI15__hip_bfloat162Li64ELi4ELi7ELb1EEvPKT_PKfPKiPfiiiiiiiiiiiiiiii.private_seg_size, 0+max(.L_ZL14no_device_codePKciS0_iS0_.private_seg_size)
	.set _ZL9mul_mat_fI15__hip_bfloat162Li64ELi4ELi7ELb1EEvPKT_PKfPKiPfiiiiiiiiiiiiiiii.uses_vcc, or(1, .L_ZL14no_device_codePKciS0_iS0_.uses_vcc)
	.set _ZL9mul_mat_fI15__hip_bfloat162Li64ELi4ELi7ELb1EEvPKT_PKfPKiPfiiiiiiiiiiiiiiii.uses_flat_scratch, or(0, .L_ZL14no_device_codePKciS0_iS0_.uses_flat_scratch)
	.set _ZL9mul_mat_fI15__hip_bfloat162Li64ELi4ELi7ELb1EEvPKT_PKfPKiPfiiiiiiiiiiiiiiii.has_dyn_sized_stack, or(0, .L_ZL14no_device_codePKciS0_iS0_.has_dyn_sized_stack)
	.set _ZL9mul_mat_fI15__hip_bfloat162Li64ELi4ELi7ELb1EEvPKT_PKfPKiPfiiiiiiiiiiiiiiii.has_recursion, or(0, .L_ZL14no_device_codePKciS0_iS0_.has_recursion)
	.set _ZL9mul_mat_fI15__hip_bfloat162Li64ELi4ELi7ELb1EEvPKT_PKfPKiPfiiiiiiiiiiiiiiii.has_indirect_call, or(0, .L_ZL14no_device_codePKciS0_iS0_.has_indirect_call)
	.section	.AMDGPU.csdata,"",@progbits
; Kernel info:
; codeLenInByte = 76
; TotalNumSgprs: 36
; NumVgprs: 38
; ScratchSize: 16
; MemoryBound: 0
; FloatMode: 240
; IeeeMode: 1
; LDSByteSize: 0 bytes/workgroup (compile time only)
; SGPRBlocks: 0
; VGPRBlocks: 4
; NumSGPRsForWavesPerEU: 36
; NumVGPRsForWavesPerEU: 38
; Occupancy: 16
; WaveLimiterHint : 1
; COMPUTE_PGM_RSRC2:SCRATCH_EN: 1
; COMPUTE_PGM_RSRC2:USER_SGPR: 2
; COMPUTE_PGM_RSRC2:TRAP_HANDLER: 0
; COMPUTE_PGM_RSRC2:TGID_X_EN: 1
; COMPUTE_PGM_RSRC2:TGID_Y_EN: 0
; COMPUTE_PGM_RSRC2:TGID_Z_EN: 0
; COMPUTE_PGM_RSRC2:TIDIG_COMP_CNT: 0
	.section	.text._ZL9mul_mat_fI15__hip_bfloat162Li64ELi4ELi7ELb0EEvPKT_PKfPKiPfiiiiiiiiiiiiiiii,"axG",@progbits,_ZL9mul_mat_fI15__hip_bfloat162Li64ELi4ELi7ELb0EEvPKT_PKfPKiPfiiiiiiiiiiiiiiii,comdat
	.globl	_ZL9mul_mat_fI15__hip_bfloat162Li64ELi4ELi7ELb0EEvPKT_PKfPKiPfiiiiiiiiiiiiiiii ; -- Begin function _ZL9mul_mat_fI15__hip_bfloat162Li64ELi4ELi7ELb0EEvPKT_PKfPKiPfiiiiiiiiiiiiiiii
	.p2align	8
	.type	_ZL9mul_mat_fI15__hip_bfloat162Li64ELi4ELi7ELb0EEvPKT_PKfPKiPfiiiiiiiiiiiiiiii,@function
_ZL9mul_mat_fI15__hip_bfloat162Li64ELi4ELi7ELb0EEvPKT_PKfPKiPfiiiiiiiiiiiiiiii: ; @_ZL9mul_mat_fI15__hip_bfloat162Li64ELi4ELi7ELb0EEvPKT_PKfPKiPfiiiiiiiiiiiiiiii
; %bb.0:
	s_getpc_b64 s[2:3]
	s_sext_i32_i16 s3, s3
	s_add_co_u32 s2, s2, __FUNCTION__._ZL9mul_mat_fIfLi32ELi4ELi1ELb1EEvPKT_PKfPKiPfiiiiiiiiiiiiiiii@rel32@lo+8
	s_add_co_ci_u32 s3, s3, __FUNCTION__._ZL9mul_mat_fIfLi32ELi4ELi1ELb1EEvPKT_PKfPKiPfiiiiiiiiiiiiiiii@rel32@hi+16
	v_dual_mov_b32 v0, 59 :: v_dual_mov_b32 v1, s2
	v_mov_b32_e32 v2, s3
	s_add_nc_u64 s[8:9], s[0:1], 0x60
	s_getpc_b64 s[0:1]
	s_sext_i32_i16 s1, s1
	s_add_co_u32 s0, s0, _ZL14no_device_codePKciS0_iS0_@rel32@lo+8
	s_add_co_ci_u32 s1, s1, _ZL14no_device_codePKciS0_iS0_@rel32@hi+16
	s_mov_b32 s32, 0
	s_swappc_b64 s[30:31], s[0:1]
	.section	.rodata,"a",@progbits
	.p2align	6, 0x0
	.amdhsa_kernel _ZL9mul_mat_fI15__hip_bfloat162Li64ELi4ELi7ELb0EEvPKT_PKfPKiPfiiiiiiiiiiiiiiii
		.amdhsa_group_segment_fixed_size 0
		.amdhsa_private_segment_fixed_size 16
		.amdhsa_kernarg_size 352
		.amdhsa_user_sgpr_count 2
		.amdhsa_user_sgpr_dispatch_ptr 0
		.amdhsa_user_sgpr_queue_ptr 0
		.amdhsa_user_sgpr_kernarg_segment_ptr 1
		.amdhsa_user_sgpr_dispatch_id 0
		.amdhsa_user_sgpr_private_segment_size 0
		.amdhsa_wavefront_size32 1
		.amdhsa_uses_dynamic_stack 0
		.amdhsa_enable_private_segment 1
		.amdhsa_system_sgpr_workgroup_id_x 1
		.amdhsa_system_sgpr_workgroup_id_y 0
		.amdhsa_system_sgpr_workgroup_id_z 0
		.amdhsa_system_sgpr_workgroup_info 0
		.amdhsa_system_vgpr_workitem_id 0
		.amdhsa_next_free_vgpr 38
		.amdhsa_next_free_sgpr 34
		.amdhsa_reserve_vcc 1
		.amdhsa_float_round_mode_32 0
		.amdhsa_float_round_mode_16_64 0
		.amdhsa_float_denorm_mode_32 3
		.amdhsa_float_denorm_mode_16_64 3
		.amdhsa_fp16_overflow 0
		.amdhsa_workgroup_processor_mode 1
		.amdhsa_memory_ordered 1
		.amdhsa_forward_progress 1
		.amdhsa_inst_pref_size 1
		.amdhsa_round_robin_scheduling 0
		.amdhsa_exception_fp_ieee_invalid_op 0
		.amdhsa_exception_fp_denorm_src 0
		.amdhsa_exception_fp_ieee_div_zero 0
		.amdhsa_exception_fp_ieee_overflow 0
		.amdhsa_exception_fp_ieee_underflow 0
		.amdhsa_exception_fp_ieee_inexact 0
		.amdhsa_exception_int_div_zero 0
	.end_amdhsa_kernel
	.section	.text._ZL9mul_mat_fI15__hip_bfloat162Li64ELi4ELi7ELb0EEvPKT_PKfPKiPfiiiiiiiiiiiiiiii,"axG",@progbits,_ZL9mul_mat_fI15__hip_bfloat162Li64ELi4ELi7ELb0EEvPKT_PKfPKiPfiiiiiiiiiiiiiiii,comdat
.Lfunc_end143:
	.size	_ZL9mul_mat_fI15__hip_bfloat162Li64ELi4ELi7ELb0EEvPKT_PKfPKiPfiiiiiiiiiiiiiiii, .Lfunc_end143-_ZL9mul_mat_fI15__hip_bfloat162Li64ELi4ELi7ELb0EEvPKT_PKfPKiPfiiiiiiiiiiiiiiii
                                        ; -- End function
	.set _ZL9mul_mat_fI15__hip_bfloat162Li64ELi4ELi7ELb0EEvPKT_PKfPKiPfiiiiiiiiiiiiiiii.num_vgpr, max(3, .L_ZL14no_device_codePKciS0_iS0_.num_vgpr)
	.set _ZL9mul_mat_fI15__hip_bfloat162Li64ELi4ELi7ELb0EEvPKT_PKfPKiPfiiiiiiiiiiiiiiii.num_agpr, max(0, .L_ZL14no_device_codePKciS0_iS0_.num_agpr)
	.set _ZL9mul_mat_fI15__hip_bfloat162Li64ELi4ELi7ELb0EEvPKT_PKfPKiPfiiiiiiiiiiiiiiii.numbered_sgpr, max(33, .L_ZL14no_device_codePKciS0_iS0_.numbered_sgpr)
	.set _ZL9mul_mat_fI15__hip_bfloat162Li64ELi4ELi7ELb0EEvPKT_PKfPKiPfiiiiiiiiiiiiiiii.num_named_barrier, max(0, .L_ZL14no_device_codePKciS0_iS0_.num_named_barrier)
	.set _ZL9mul_mat_fI15__hip_bfloat162Li64ELi4ELi7ELb0EEvPKT_PKfPKiPfiiiiiiiiiiiiiiii.private_seg_size, 0+max(.L_ZL14no_device_codePKciS0_iS0_.private_seg_size)
	.set _ZL9mul_mat_fI15__hip_bfloat162Li64ELi4ELi7ELb0EEvPKT_PKfPKiPfiiiiiiiiiiiiiiii.uses_vcc, or(1, .L_ZL14no_device_codePKciS0_iS0_.uses_vcc)
	.set _ZL9mul_mat_fI15__hip_bfloat162Li64ELi4ELi7ELb0EEvPKT_PKfPKiPfiiiiiiiiiiiiiiii.uses_flat_scratch, or(0, .L_ZL14no_device_codePKciS0_iS0_.uses_flat_scratch)
	.set _ZL9mul_mat_fI15__hip_bfloat162Li64ELi4ELi7ELb0EEvPKT_PKfPKiPfiiiiiiiiiiiiiiii.has_dyn_sized_stack, or(0, .L_ZL14no_device_codePKciS0_iS0_.has_dyn_sized_stack)
	.set _ZL9mul_mat_fI15__hip_bfloat162Li64ELi4ELi7ELb0EEvPKT_PKfPKiPfiiiiiiiiiiiiiiii.has_recursion, or(0, .L_ZL14no_device_codePKciS0_iS0_.has_recursion)
	.set _ZL9mul_mat_fI15__hip_bfloat162Li64ELi4ELi7ELb0EEvPKT_PKfPKiPfiiiiiiiiiiiiiiii.has_indirect_call, or(0, .L_ZL14no_device_codePKciS0_iS0_.has_indirect_call)
	.section	.AMDGPU.csdata,"",@progbits
; Kernel info:
; codeLenInByte = 76
; TotalNumSgprs: 36
; NumVgprs: 38
; ScratchSize: 16
; MemoryBound: 0
; FloatMode: 240
; IeeeMode: 1
; LDSByteSize: 0 bytes/workgroup (compile time only)
; SGPRBlocks: 0
; VGPRBlocks: 4
; NumSGPRsForWavesPerEU: 36
; NumVGPRsForWavesPerEU: 38
; Occupancy: 16
; WaveLimiterHint : 1
; COMPUTE_PGM_RSRC2:SCRATCH_EN: 1
; COMPUTE_PGM_RSRC2:USER_SGPR: 2
; COMPUTE_PGM_RSRC2:TRAP_HANDLER: 0
; COMPUTE_PGM_RSRC2:TGID_X_EN: 1
; COMPUTE_PGM_RSRC2:TGID_Y_EN: 0
; COMPUTE_PGM_RSRC2:TGID_Z_EN: 0
; COMPUTE_PGM_RSRC2:TIDIG_COMP_CNT: 0
	.section	.text._ZL13mul_mat_f_idsI15__hip_bfloat162Li64ELi4ELi8EEvPKT_PKfPKiS7_S7_Pfiiiiiiiiiiiiii15HIP_vector_typeIjLj3EESA_,"axG",@progbits,_ZL13mul_mat_f_idsI15__hip_bfloat162Li64ELi4ELi8EEvPKT_PKfPKiS7_S7_Pfiiiiiiiiiiiiii15HIP_vector_typeIjLj3EESA_,comdat
	.globl	_ZL13mul_mat_f_idsI15__hip_bfloat162Li64ELi4ELi8EEvPKT_PKfPKiS7_S7_Pfiiiiiiiiiiiiii15HIP_vector_typeIjLj3EESA_ ; -- Begin function _ZL13mul_mat_f_idsI15__hip_bfloat162Li64ELi4ELi8EEvPKT_PKfPKiS7_S7_Pfiiiiiiiiiiiiii15HIP_vector_typeIjLj3EESA_
	.p2align	8
	.type	_ZL13mul_mat_f_idsI15__hip_bfloat162Li64ELi4ELi8EEvPKT_PKfPKiS7_S7_Pfiiiiiiiiiiiiii15HIP_vector_typeIjLj3EESA_,@function
_ZL13mul_mat_f_idsI15__hip_bfloat162Li64ELi4ELi8EEvPKT_PKfPKiS7_S7_Pfiiiiiiiiiiiiii15HIP_vector_typeIjLj3EESA_: ; @_ZL13mul_mat_f_idsI15__hip_bfloat162Li64ELi4ELi8EEvPKT_PKfPKiS7_S7_Pfiiiiiiiiiiiiii15HIP_vector_typeIjLj3EESA_
; %bb.0:
	s_getpc_b64 s[2:3]
	s_sext_i32_i16 s3, s3
	s_add_co_u32 s2, s2, __FUNCTION__._ZL13mul_mat_f_idsIfLi32ELi4ELi1EEvPKT_PKfPKiS6_S6_Pfiiiiiiiiiiiiii15HIP_vector_typeIjLj3EES9_@rel32@lo+8
	s_add_co_ci_u32 s3, s3, __FUNCTION__._ZL13mul_mat_f_idsIfLi32ELi4ELi1EEvPKT_PKfPKiS6_S6_Pfiiiiiiiiiiiiii15HIP_vector_typeIjLj3EES9_@rel32@hi+16
	v_dual_mov_b32 v0, 0x136 :: v_dual_mov_b32 v1, s2
	v_mov_b32_e32 v2, s3
	s_add_nc_u64 s[8:9], s[0:1], 0x80
	s_getpc_b64 s[0:1]
	s_sext_i32_i16 s1, s1
	s_add_co_u32 s0, s0, _ZL14no_device_codePKciS0_iS0_@rel32@lo+8
	s_add_co_ci_u32 s1, s1, _ZL14no_device_codePKciS0_iS0_@rel32@hi+16
	s_mov_b32 s32, 0
	s_swappc_b64 s[30:31], s[0:1]
	.section	.rodata,"a",@progbits
	.p2align	6, 0x0
	.amdhsa_kernel _ZL13mul_mat_f_idsI15__hip_bfloat162Li64ELi4ELi8EEvPKT_PKfPKiS7_S7_Pfiiiiiiiiiiiiii15HIP_vector_typeIjLj3EESA_
		.amdhsa_group_segment_fixed_size 0
		.amdhsa_private_segment_fixed_size 16
		.amdhsa_kernarg_size 384
		.amdhsa_user_sgpr_count 2
		.amdhsa_user_sgpr_dispatch_ptr 0
		.amdhsa_user_sgpr_queue_ptr 0
		.amdhsa_user_sgpr_kernarg_segment_ptr 1
		.amdhsa_user_sgpr_dispatch_id 0
		.amdhsa_user_sgpr_private_segment_size 0
		.amdhsa_wavefront_size32 1
		.amdhsa_uses_dynamic_stack 0
		.amdhsa_enable_private_segment 1
		.amdhsa_system_sgpr_workgroup_id_x 1
		.amdhsa_system_sgpr_workgroup_id_y 0
		.amdhsa_system_sgpr_workgroup_id_z 0
		.amdhsa_system_sgpr_workgroup_info 0
		.amdhsa_system_vgpr_workitem_id 0
		.amdhsa_next_free_vgpr 38
		.amdhsa_next_free_sgpr 34
		.amdhsa_reserve_vcc 1
		.amdhsa_float_round_mode_32 0
		.amdhsa_float_round_mode_16_64 0
		.amdhsa_float_denorm_mode_32 3
		.amdhsa_float_denorm_mode_16_64 3
		.amdhsa_fp16_overflow 0
		.amdhsa_workgroup_processor_mode 1
		.amdhsa_memory_ordered 1
		.amdhsa_forward_progress 1
		.amdhsa_inst_pref_size 1
		.amdhsa_round_robin_scheduling 0
		.amdhsa_exception_fp_ieee_invalid_op 0
		.amdhsa_exception_fp_denorm_src 0
		.amdhsa_exception_fp_ieee_div_zero 0
		.amdhsa_exception_fp_ieee_overflow 0
		.amdhsa_exception_fp_ieee_underflow 0
		.amdhsa_exception_fp_ieee_inexact 0
		.amdhsa_exception_int_div_zero 0
	.end_amdhsa_kernel
	.section	.text._ZL13mul_mat_f_idsI15__hip_bfloat162Li64ELi4ELi8EEvPKT_PKfPKiS7_S7_Pfiiiiiiiiiiiiii15HIP_vector_typeIjLj3EESA_,"axG",@progbits,_ZL13mul_mat_f_idsI15__hip_bfloat162Li64ELi4ELi8EEvPKT_PKfPKiS7_S7_Pfiiiiiiiiiiiiii15HIP_vector_typeIjLj3EESA_,comdat
.Lfunc_end144:
	.size	_ZL13mul_mat_f_idsI15__hip_bfloat162Li64ELi4ELi8EEvPKT_PKfPKiS7_S7_Pfiiiiiiiiiiiiii15HIP_vector_typeIjLj3EESA_, .Lfunc_end144-_ZL13mul_mat_f_idsI15__hip_bfloat162Li64ELi4ELi8EEvPKT_PKfPKiS7_S7_Pfiiiiiiiiiiiiii15HIP_vector_typeIjLj3EESA_
                                        ; -- End function
	.set _ZL13mul_mat_f_idsI15__hip_bfloat162Li64ELi4ELi8EEvPKT_PKfPKiS7_S7_Pfiiiiiiiiiiiiii15HIP_vector_typeIjLj3EESA_.num_vgpr, max(3, .L_ZL14no_device_codePKciS0_iS0_.num_vgpr)
	.set _ZL13mul_mat_f_idsI15__hip_bfloat162Li64ELi4ELi8EEvPKT_PKfPKiS7_S7_Pfiiiiiiiiiiiiii15HIP_vector_typeIjLj3EESA_.num_agpr, max(0, .L_ZL14no_device_codePKciS0_iS0_.num_agpr)
	.set _ZL13mul_mat_f_idsI15__hip_bfloat162Li64ELi4ELi8EEvPKT_PKfPKiS7_S7_Pfiiiiiiiiiiiiii15HIP_vector_typeIjLj3EESA_.numbered_sgpr, max(33, .L_ZL14no_device_codePKciS0_iS0_.numbered_sgpr)
	.set _ZL13mul_mat_f_idsI15__hip_bfloat162Li64ELi4ELi8EEvPKT_PKfPKiS7_S7_Pfiiiiiiiiiiiiii15HIP_vector_typeIjLj3EESA_.num_named_barrier, max(0, .L_ZL14no_device_codePKciS0_iS0_.num_named_barrier)
	.set _ZL13mul_mat_f_idsI15__hip_bfloat162Li64ELi4ELi8EEvPKT_PKfPKiS7_S7_Pfiiiiiiiiiiiiii15HIP_vector_typeIjLj3EESA_.private_seg_size, 0+max(.L_ZL14no_device_codePKciS0_iS0_.private_seg_size)
	.set _ZL13mul_mat_f_idsI15__hip_bfloat162Li64ELi4ELi8EEvPKT_PKfPKiS7_S7_Pfiiiiiiiiiiiiii15HIP_vector_typeIjLj3EESA_.uses_vcc, or(1, .L_ZL14no_device_codePKciS0_iS0_.uses_vcc)
	.set _ZL13mul_mat_f_idsI15__hip_bfloat162Li64ELi4ELi8EEvPKT_PKfPKiS7_S7_Pfiiiiiiiiiiiiii15HIP_vector_typeIjLj3EESA_.uses_flat_scratch, or(0, .L_ZL14no_device_codePKciS0_iS0_.uses_flat_scratch)
	.set _ZL13mul_mat_f_idsI15__hip_bfloat162Li64ELi4ELi8EEvPKT_PKfPKiS7_S7_Pfiiiiiiiiiiiiii15HIP_vector_typeIjLj3EESA_.has_dyn_sized_stack, or(0, .L_ZL14no_device_codePKciS0_iS0_.has_dyn_sized_stack)
	.set _ZL13mul_mat_f_idsI15__hip_bfloat162Li64ELi4ELi8EEvPKT_PKfPKiS7_S7_Pfiiiiiiiiiiiiii15HIP_vector_typeIjLj3EESA_.has_recursion, or(0, .L_ZL14no_device_codePKciS0_iS0_.has_recursion)
	.set _ZL13mul_mat_f_idsI15__hip_bfloat162Li64ELi4ELi8EEvPKT_PKfPKiS7_S7_Pfiiiiiiiiiiiiii15HIP_vector_typeIjLj3EESA_.has_indirect_call, or(0, .L_ZL14no_device_codePKciS0_iS0_.has_indirect_call)
	.section	.AMDGPU.csdata,"",@progbits
; Kernel info:
; codeLenInByte = 80
; TotalNumSgprs: 36
; NumVgprs: 38
; ScratchSize: 16
; MemoryBound: 0
; FloatMode: 240
; IeeeMode: 1
; LDSByteSize: 0 bytes/workgroup (compile time only)
; SGPRBlocks: 0
; VGPRBlocks: 4
; NumSGPRsForWavesPerEU: 36
; NumVGPRsForWavesPerEU: 38
; Occupancy: 16
; WaveLimiterHint : 1
; COMPUTE_PGM_RSRC2:SCRATCH_EN: 1
; COMPUTE_PGM_RSRC2:USER_SGPR: 2
; COMPUTE_PGM_RSRC2:TRAP_HANDLER: 0
; COMPUTE_PGM_RSRC2:TGID_X_EN: 1
; COMPUTE_PGM_RSRC2:TGID_Y_EN: 0
; COMPUTE_PGM_RSRC2:TGID_Z_EN: 0
; COMPUTE_PGM_RSRC2:TIDIG_COMP_CNT: 0
	.section	.text._ZL9mul_mat_fI15__hip_bfloat162Li64ELi4ELi8ELb1EEvPKT_PKfPKiPfiiiiiiiiiiiiiiii,"axG",@progbits,_ZL9mul_mat_fI15__hip_bfloat162Li64ELi4ELi8ELb1EEvPKT_PKfPKiPfiiiiiiiiiiiiiiii,comdat
	.globl	_ZL9mul_mat_fI15__hip_bfloat162Li64ELi4ELi8ELb1EEvPKT_PKfPKiPfiiiiiiiiiiiiiiii ; -- Begin function _ZL9mul_mat_fI15__hip_bfloat162Li64ELi4ELi8ELb1EEvPKT_PKfPKiPfiiiiiiiiiiiiiiii
	.p2align	8
	.type	_ZL9mul_mat_fI15__hip_bfloat162Li64ELi4ELi8ELb1EEvPKT_PKfPKiPfiiiiiiiiiiiiiiii,@function
_ZL9mul_mat_fI15__hip_bfloat162Li64ELi4ELi8ELb1EEvPKT_PKfPKiPfiiiiiiiiiiiiiiii: ; @_ZL9mul_mat_fI15__hip_bfloat162Li64ELi4ELi8ELb1EEvPKT_PKfPKiPfiiiiiiiiiiiiiiii
; %bb.0:
	s_getpc_b64 s[2:3]
	s_sext_i32_i16 s3, s3
	s_add_co_u32 s2, s2, __FUNCTION__._ZL9mul_mat_fIfLi32ELi4ELi1ELb1EEvPKT_PKfPKiPfiiiiiiiiiiiiiiii@rel32@lo+8
	s_add_co_ci_u32 s3, s3, __FUNCTION__._ZL9mul_mat_fIfLi32ELi4ELi1ELb1EEvPKT_PKfPKiPfiiiiiiiiiiiiiiii@rel32@hi+16
	v_dual_mov_b32 v0, 59 :: v_dual_mov_b32 v1, s2
	v_mov_b32_e32 v2, s3
	s_add_nc_u64 s[8:9], s[0:1], 0x60
	s_getpc_b64 s[0:1]
	s_sext_i32_i16 s1, s1
	s_add_co_u32 s0, s0, _ZL14no_device_codePKciS0_iS0_@rel32@lo+8
	s_add_co_ci_u32 s1, s1, _ZL14no_device_codePKciS0_iS0_@rel32@hi+16
	s_mov_b32 s32, 0
	s_swappc_b64 s[30:31], s[0:1]
	.section	.rodata,"a",@progbits
	.p2align	6, 0x0
	.amdhsa_kernel _ZL9mul_mat_fI15__hip_bfloat162Li64ELi4ELi8ELb1EEvPKT_PKfPKiPfiiiiiiiiiiiiiiii
		.amdhsa_group_segment_fixed_size 0
		.amdhsa_private_segment_fixed_size 16
		.amdhsa_kernarg_size 352
		.amdhsa_user_sgpr_count 2
		.amdhsa_user_sgpr_dispatch_ptr 0
		.amdhsa_user_sgpr_queue_ptr 0
		.amdhsa_user_sgpr_kernarg_segment_ptr 1
		.amdhsa_user_sgpr_dispatch_id 0
		.amdhsa_user_sgpr_private_segment_size 0
		.amdhsa_wavefront_size32 1
		.amdhsa_uses_dynamic_stack 0
		.amdhsa_enable_private_segment 1
		.amdhsa_system_sgpr_workgroup_id_x 1
		.amdhsa_system_sgpr_workgroup_id_y 0
		.amdhsa_system_sgpr_workgroup_id_z 0
		.amdhsa_system_sgpr_workgroup_info 0
		.amdhsa_system_vgpr_workitem_id 0
		.amdhsa_next_free_vgpr 38
		.amdhsa_next_free_sgpr 34
		.amdhsa_reserve_vcc 1
		.amdhsa_float_round_mode_32 0
		.amdhsa_float_round_mode_16_64 0
		.amdhsa_float_denorm_mode_32 3
		.amdhsa_float_denorm_mode_16_64 3
		.amdhsa_fp16_overflow 0
		.amdhsa_workgroup_processor_mode 1
		.amdhsa_memory_ordered 1
		.amdhsa_forward_progress 1
		.amdhsa_inst_pref_size 1
		.amdhsa_round_robin_scheduling 0
		.amdhsa_exception_fp_ieee_invalid_op 0
		.amdhsa_exception_fp_denorm_src 0
		.amdhsa_exception_fp_ieee_div_zero 0
		.amdhsa_exception_fp_ieee_overflow 0
		.amdhsa_exception_fp_ieee_underflow 0
		.amdhsa_exception_fp_ieee_inexact 0
		.amdhsa_exception_int_div_zero 0
	.end_amdhsa_kernel
	.section	.text._ZL9mul_mat_fI15__hip_bfloat162Li64ELi4ELi8ELb1EEvPKT_PKfPKiPfiiiiiiiiiiiiiiii,"axG",@progbits,_ZL9mul_mat_fI15__hip_bfloat162Li64ELi4ELi8ELb1EEvPKT_PKfPKiPfiiiiiiiiiiiiiiii,comdat
.Lfunc_end145:
	.size	_ZL9mul_mat_fI15__hip_bfloat162Li64ELi4ELi8ELb1EEvPKT_PKfPKiPfiiiiiiiiiiiiiiii, .Lfunc_end145-_ZL9mul_mat_fI15__hip_bfloat162Li64ELi4ELi8ELb1EEvPKT_PKfPKiPfiiiiiiiiiiiiiiii
                                        ; -- End function
	.set _ZL9mul_mat_fI15__hip_bfloat162Li64ELi4ELi8ELb1EEvPKT_PKfPKiPfiiiiiiiiiiiiiiii.num_vgpr, max(3, .L_ZL14no_device_codePKciS0_iS0_.num_vgpr)
	.set _ZL9mul_mat_fI15__hip_bfloat162Li64ELi4ELi8ELb1EEvPKT_PKfPKiPfiiiiiiiiiiiiiiii.num_agpr, max(0, .L_ZL14no_device_codePKciS0_iS0_.num_agpr)
	.set _ZL9mul_mat_fI15__hip_bfloat162Li64ELi4ELi8ELb1EEvPKT_PKfPKiPfiiiiiiiiiiiiiiii.numbered_sgpr, max(33, .L_ZL14no_device_codePKciS0_iS0_.numbered_sgpr)
	.set _ZL9mul_mat_fI15__hip_bfloat162Li64ELi4ELi8ELb1EEvPKT_PKfPKiPfiiiiiiiiiiiiiiii.num_named_barrier, max(0, .L_ZL14no_device_codePKciS0_iS0_.num_named_barrier)
	.set _ZL9mul_mat_fI15__hip_bfloat162Li64ELi4ELi8ELb1EEvPKT_PKfPKiPfiiiiiiiiiiiiiiii.private_seg_size, 0+max(.L_ZL14no_device_codePKciS0_iS0_.private_seg_size)
	.set _ZL9mul_mat_fI15__hip_bfloat162Li64ELi4ELi8ELb1EEvPKT_PKfPKiPfiiiiiiiiiiiiiiii.uses_vcc, or(1, .L_ZL14no_device_codePKciS0_iS0_.uses_vcc)
	.set _ZL9mul_mat_fI15__hip_bfloat162Li64ELi4ELi8ELb1EEvPKT_PKfPKiPfiiiiiiiiiiiiiiii.uses_flat_scratch, or(0, .L_ZL14no_device_codePKciS0_iS0_.uses_flat_scratch)
	.set _ZL9mul_mat_fI15__hip_bfloat162Li64ELi4ELi8ELb1EEvPKT_PKfPKiPfiiiiiiiiiiiiiiii.has_dyn_sized_stack, or(0, .L_ZL14no_device_codePKciS0_iS0_.has_dyn_sized_stack)
	.set _ZL9mul_mat_fI15__hip_bfloat162Li64ELi4ELi8ELb1EEvPKT_PKfPKiPfiiiiiiiiiiiiiiii.has_recursion, or(0, .L_ZL14no_device_codePKciS0_iS0_.has_recursion)
	.set _ZL9mul_mat_fI15__hip_bfloat162Li64ELi4ELi8ELb1EEvPKT_PKfPKiPfiiiiiiiiiiiiiiii.has_indirect_call, or(0, .L_ZL14no_device_codePKciS0_iS0_.has_indirect_call)
	.section	.AMDGPU.csdata,"",@progbits
; Kernel info:
; codeLenInByte = 76
; TotalNumSgprs: 36
; NumVgprs: 38
; ScratchSize: 16
; MemoryBound: 0
; FloatMode: 240
; IeeeMode: 1
; LDSByteSize: 0 bytes/workgroup (compile time only)
; SGPRBlocks: 0
; VGPRBlocks: 4
; NumSGPRsForWavesPerEU: 36
; NumVGPRsForWavesPerEU: 38
; Occupancy: 16
; WaveLimiterHint : 1
; COMPUTE_PGM_RSRC2:SCRATCH_EN: 1
; COMPUTE_PGM_RSRC2:USER_SGPR: 2
; COMPUTE_PGM_RSRC2:TRAP_HANDLER: 0
; COMPUTE_PGM_RSRC2:TGID_X_EN: 1
; COMPUTE_PGM_RSRC2:TGID_Y_EN: 0
; COMPUTE_PGM_RSRC2:TGID_Z_EN: 0
; COMPUTE_PGM_RSRC2:TIDIG_COMP_CNT: 0
	.section	.text._ZL9mul_mat_fI15__hip_bfloat162Li64ELi4ELi8ELb0EEvPKT_PKfPKiPfiiiiiiiiiiiiiiii,"axG",@progbits,_ZL9mul_mat_fI15__hip_bfloat162Li64ELi4ELi8ELb0EEvPKT_PKfPKiPfiiiiiiiiiiiiiiii,comdat
	.globl	_ZL9mul_mat_fI15__hip_bfloat162Li64ELi4ELi8ELb0EEvPKT_PKfPKiPfiiiiiiiiiiiiiiii ; -- Begin function _ZL9mul_mat_fI15__hip_bfloat162Li64ELi4ELi8ELb0EEvPKT_PKfPKiPfiiiiiiiiiiiiiiii
	.p2align	8
	.type	_ZL9mul_mat_fI15__hip_bfloat162Li64ELi4ELi8ELb0EEvPKT_PKfPKiPfiiiiiiiiiiiiiiii,@function
_ZL9mul_mat_fI15__hip_bfloat162Li64ELi4ELi8ELb0EEvPKT_PKfPKiPfiiiiiiiiiiiiiiii: ; @_ZL9mul_mat_fI15__hip_bfloat162Li64ELi4ELi8ELb0EEvPKT_PKfPKiPfiiiiiiiiiiiiiiii
; %bb.0:
	s_getpc_b64 s[2:3]
	s_sext_i32_i16 s3, s3
	s_add_co_u32 s2, s2, __FUNCTION__._ZL9mul_mat_fIfLi32ELi4ELi1ELb1EEvPKT_PKfPKiPfiiiiiiiiiiiiiiii@rel32@lo+8
	s_add_co_ci_u32 s3, s3, __FUNCTION__._ZL9mul_mat_fIfLi32ELi4ELi1ELb1EEvPKT_PKfPKiPfiiiiiiiiiiiiiiii@rel32@hi+16
	v_dual_mov_b32 v0, 59 :: v_dual_mov_b32 v1, s2
	v_mov_b32_e32 v2, s3
	s_add_nc_u64 s[8:9], s[0:1], 0x60
	s_getpc_b64 s[0:1]
	s_sext_i32_i16 s1, s1
	s_add_co_u32 s0, s0, _ZL14no_device_codePKciS0_iS0_@rel32@lo+8
	s_add_co_ci_u32 s1, s1, _ZL14no_device_codePKciS0_iS0_@rel32@hi+16
	s_mov_b32 s32, 0
	s_swappc_b64 s[30:31], s[0:1]
	.section	.rodata,"a",@progbits
	.p2align	6, 0x0
	.amdhsa_kernel _ZL9mul_mat_fI15__hip_bfloat162Li64ELi4ELi8ELb0EEvPKT_PKfPKiPfiiiiiiiiiiiiiiii
		.amdhsa_group_segment_fixed_size 0
		.amdhsa_private_segment_fixed_size 16
		.amdhsa_kernarg_size 352
		.amdhsa_user_sgpr_count 2
		.amdhsa_user_sgpr_dispatch_ptr 0
		.amdhsa_user_sgpr_queue_ptr 0
		.amdhsa_user_sgpr_kernarg_segment_ptr 1
		.amdhsa_user_sgpr_dispatch_id 0
		.amdhsa_user_sgpr_private_segment_size 0
		.amdhsa_wavefront_size32 1
		.amdhsa_uses_dynamic_stack 0
		.amdhsa_enable_private_segment 1
		.amdhsa_system_sgpr_workgroup_id_x 1
		.amdhsa_system_sgpr_workgroup_id_y 0
		.amdhsa_system_sgpr_workgroup_id_z 0
		.amdhsa_system_sgpr_workgroup_info 0
		.amdhsa_system_vgpr_workitem_id 0
		.amdhsa_next_free_vgpr 38
		.amdhsa_next_free_sgpr 34
		.amdhsa_reserve_vcc 1
		.amdhsa_float_round_mode_32 0
		.amdhsa_float_round_mode_16_64 0
		.amdhsa_float_denorm_mode_32 3
		.amdhsa_float_denorm_mode_16_64 3
		.amdhsa_fp16_overflow 0
		.amdhsa_workgroup_processor_mode 1
		.amdhsa_memory_ordered 1
		.amdhsa_forward_progress 1
		.amdhsa_inst_pref_size 1
		.amdhsa_round_robin_scheduling 0
		.amdhsa_exception_fp_ieee_invalid_op 0
		.amdhsa_exception_fp_denorm_src 0
		.amdhsa_exception_fp_ieee_div_zero 0
		.amdhsa_exception_fp_ieee_overflow 0
		.amdhsa_exception_fp_ieee_underflow 0
		.amdhsa_exception_fp_ieee_inexact 0
		.amdhsa_exception_int_div_zero 0
	.end_amdhsa_kernel
	.section	.text._ZL9mul_mat_fI15__hip_bfloat162Li64ELi4ELi8ELb0EEvPKT_PKfPKiPfiiiiiiiiiiiiiiii,"axG",@progbits,_ZL9mul_mat_fI15__hip_bfloat162Li64ELi4ELi8ELb0EEvPKT_PKfPKiPfiiiiiiiiiiiiiiii,comdat
.Lfunc_end146:
	.size	_ZL9mul_mat_fI15__hip_bfloat162Li64ELi4ELi8ELb0EEvPKT_PKfPKiPfiiiiiiiiiiiiiiii, .Lfunc_end146-_ZL9mul_mat_fI15__hip_bfloat162Li64ELi4ELi8ELb0EEvPKT_PKfPKiPfiiiiiiiiiiiiiiii
                                        ; -- End function
	.set _ZL9mul_mat_fI15__hip_bfloat162Li64ELi4ELi8ELb0EEvPKT_PKfPKiPfiiiiiiiiiiiiiiii.num_vgpr, max(3, .L_ZL14no_device_codePKciS0_iS0_.num_vgpr)
	.set _ZL9mul_mat_fI15__hip_bfloat162Li64ELi4ELi8ELb0EEvPKT_PKfPKiPfiiiiiiiiiiiiiiii.num_agpr, max(0, .L_ZL14no_device_codePKciS0_iS0_.num_agpr)
	.set _ZL9mul_mat_fI15__hip_bfloat162Li64ELi4ELi8ELb0EEvPKT_PKfPKiPfiiiiiiiiiiiiiiii.numbered_sgpr, max(33, .L_ZL14no_device_codePKciS0_iS0_.numbered_sgpr)
	.set _ZL9mul_mat_fI15__hip_bfloat162Li64ELi4ELi8ELb0EEvPKT_PKfPKiPfiiiiiiiiiiiiiiii.num_named_barrier, max(0, .L_ZL14no_device_codePKciS0_iS0_.num_named_barrier)
	.set _ZL9mul_mat_fI15__hip_bfloat162Li64ELi4ELi8ELb0EEvPKT_PKfPKiPfiiiiiiiiiiiiiiii.private_seg_size, 0+max(.L_ZL14no_device_codePKciS0_iS0_.private_seg_size)
	.set _ZL9mul_mat_fI15__hip_bfloat162Li64ELi4ELi8ELb0EEvPKT_PKfPKiPfiiiiiiiiiiiiiiii.uses_vcc, or(1, .L_ZL14no_device_codePKciS0_iS0_.uses_vcc)
	.set _ZL9mul_mat_fI15__hip_bfloat162Li64ELi4ELi8ELb0EEvPKT_PKfPKiPfiiiiiiiiiiiiiiii.uses_flat_scratch, or(0, .L_ZL14no_device_codePKciS0_iS0_.uses_flat_scratch)
	.set _ZL9mul_mat_fI15__hip_bfloat162Li64ELi4ELi8ELb0EEvPKT_PKfPKiPfiiiiiiiiiiiiiiii.has_dyn_sized_stack, or(0, .L_ZL14no_device_codePKciS0_iS0_.has_dyn_sized_stack)
	.set _ZL9mul_mat_fI15__hip_bfloat162Li64ELi4ELi8ELb0EEvPKT_PKfPKiPfiiiiiiiiiiiiiiii.has_recursion, or(0, .L_ZL14no_device_codePKciS0_iS0_.has_recursion)
	.set _ZL9mul_mat_fI15__hip_bfloat162Li64ELi4ELi8ELb0EEvPKT_PKfPKiPfiiiiiiiiiiiiiiii.has_indirect_call, or(0, .L_ZL14no_device_codePKciS0_iS0_.has_indirect_call)
	.section	.AMDGPU.csdata,"",@progbits
; Kernel info:
; codeLenInByte = 76
; TotalNumSgprs: 36
; NumVgprs: 38
; ScratchSize: 16
; MemoryBound: 0
; FloatMode: 240
; IeeeMode: 1
; LDSByteSize: 0 bytes/workgroup (compile time only)
; SGPRBlocks: 0
; VGPRBlocks: 4
; NumSGPRsForWavesPerEU: 36
; NumVGPRsForWavesPerEU: 38
; Occupancy: 16
; WaveLimiterHint : 1
; COMPUTE_PGM_RSRC2:SCRATCH_EN: 1
; COMPUTE_PGM_RSRC2:USER_SGPR: 2
; COMPUTE_PGM_RSRC2:TRAP_HANDLER: 0
; COMPUTE_PGM_RSRC2:TGID_X_EN: 1
; COMPUTE_PGM_RSRC2:TGID_Y_EN: 0
; COMPUTE_PGM_RSRC2:TGID_Z_EN: 0
; COMPUTE_PGM_RSRC2:TIDIG_COMP_CNT: 0
	.text
	.p2alignl 7, 3214868480
	.fill 96, 4, 3214868480
	.section	.AMDGPU.gpr_maximums,"",@progbits
	.set amdgpu.max_num_vgpr, 38
	.set amdgpu.max_num_agpr, 0
	.set amdgpu.max_num_sgpr, 34
	.text
	.type	.str,@object                    ; @.str
	.section	.rodata.str1.1,"aMS",@progbits,1
.str:
	.asciz	"/root/src/amdgpu-assembly/repos/ggml-org__llama.cpp/ggml/src/ggml-cuda/template-instances/../mmf.cuh"
	.size	.str, 101

	.type	__FUNCTION__._ZL13mul_mat_f_idsIfLi32ELi4ELi1EEvPKT_PKfPKiS6_S6_Pfiiiiiiiiiiiiii15HIP_vector_typeIjLj3EES9_,@object ; @__FUNCTION__._ZL13mul_mat_f_idsIfLi32ELi4ELi1EEvPKT_PKfPKiS6_S6_Pfiiiiiiiiiiiiii15HIP_vector_typeIjLj3EES9_
__FUNCTION__._ZL13mul_mat_f_idsIfLi32ELi4ELi1EEvPKT_PKfPKiS6_S6_Pfiiiiiiiiiiiiii15HIP_vector_typeIjLj3EES9_:
	.asciz	"mul_mat_f_ids"
	.size	__FUNCTION__._ZL13mul_mat_f_idsIfLi32ELi4ELi1EEvPKT_PKfPKiS6_S6_Pfiiiiiiiiiiiiii15HIP_vector_typeIjLj3EES9_, 14

	.type	.str.2,@object                  ; @.str.2
.str.2:
	.asciz	"%s:%d: ERROR: HIP kernel %s has no device code compatible with HIP arch %d.\n"
	.size	.str.2, 77

	.type	__FUNCTION__._ZL9mul_mat_fIfLi32ELi4ELi1ELb1EEvPKT_PKfPKiPfiiiiiiiiiiiiiiii,@object ; @__FUNCTION__._ZL9mul_mat_fIfLi32ELi4ELi1ELb1EEvPKT_PKfPKiPfiiiiiiiiiiiiiiii
__FUNCTION__._ZL9mul_mat_fIfLi32ELi4ELi1ELb1EEvPKT_PKfPKiPfiiiiiiiiiiiiiiii:
	.asciz	"mul_mat_f"
	.size	__FUNCTION__._ZL9mul_mat_fIfLi32ELi4ELi1ELb1EEvPKT_PKfPKiPfiiiiiiiiiiiiiiii, 10

	.type	__hip_cuid_56b9764b7f9ace2,@object ; @__hip_cuid_56b9764b7f9ace2
	.section	.bss,"aw",@nobits
	.globl	__hip_cuid_56b9764b7f9ace2
__hip_cuid_56b9764b7f9ace2:
	.byte	0                               ; 0x0
	.size	__hip_cuid_56b9764b7f9ace2, 1

	.ident	"AMD clang version 22.0.0git (https://github.com/RadeonOpenCompute/llvm-project roc-7.2.4 26084 f58b06dce1f9c15707c5f808fd002e18c2accf7e)"
	.section	".note.GNU-stack","",@progbits
	.addrsig
	.addrsig_sym __hip_cuid_56b9764b7f9ace2
	.amdgpu_metadata
---
amdhsa.kernels:
  - .args:
      - .actual_access:  read_only
        .address_space:  global
        .offset:         0
        .size:           8
        .value_kind:     global_buffer
      - .actual_access:  read_only
        .address_space:  global
        .offset:         8
        .size:           8
        .value_kind:     global_buffer
      - .actual_access:  read_only
        .address_space:  global
        .offset:         16
        .size:           8
        .value_kind:     global_buffer
      - .actual_access:  read_only
        .address_space:  global
        .offset:         24
        .size:           8
        .value_kind:     global_buffer
      - .actual_access:  read_only
        .address_space:  global
        .offset:         32
        .size:           8
        .value_kind:     global_buffer
      - .actual_access:  read_only
        .address_space:  global
        .offset:         40
        .size:           8
        .value_kind:     global_buffer
      - .offset:         48
        .size:           4
        .value_kind:     by_value
      - .offset:         52
        .size:           4
        .value_kind:     by_value
      - .offset:         56
        .size:           4
        .value_kind:     by_value
      - .offset:         60
        .size:           4
        .value_kind:     by_value
      - .offset:         64
        .size:           4
        .value_kind:     by_value
      - .offset:         68
        .size:           4
        .value_kind:     by_value
      - .offset:         72
        .size:           4
        .value_kind:     by_value
      - .offset:         76
        .size:           4
        .value_kind:     by_value
      - .offset:         80
        .size:           4
        .value_kind:     by_value
      - .offset:         84
        .size:           4
        .value_kind:     by_value
      - .offset:         88
        .size:           4
        .value_kind:     by_value
      - .offset:         92
        .size:           4
        .value_kind:     by_value
      - .offset:         96
        .size:           4
        .value_kind:     by_value
      - .offset:         100
        .size:           4
        .value_kind:     by_value
      - .offset:         104
        .size:           12
        .value_kind:     by_value
      - .offset:         116
        .size:           12
        .value_kind:     by_value
      - .offset:         128
        .size:           4
        .value_kind:     hidden_block_count_x
      - .offset:         132
        .size:           4
        .value_kind:     hidden_block_count_y
      - .offset:         136
        .size:           4
        .value_kind:     hidden_block_count_z
      - .offset:         140
        .size:           2
        .value_kind:     hidden_group_size_x
      - .offset:         142
        .size:           2
        .value_kind:     hidden_group_size_y
      - .offset:         144
        .size:           2
        .value_kind:     hidden_group_size_z
      - .offset:         146
        .size:           2
        .value_kind:     hidden_remainder_x
      - .offset:         148
        .size:           2
        .value_kind:     hidden_remainder_y
      - .offset:         150
        .size:           2
        .value_kind:     hidden_remainder_z
      - .offset:         168
        .size:           8
        .value_kind:     hidden_global_offset_x
      - .offset:         176
        .size:           8
        .value_kind:     hidden_global_offset_y
      - .offset:         184
        .size:           8
        .value_kind:     hidden_global_offset_z
      - .offset:         192
        .size:           2
        .value_kind:     hidden_grid_dims
      - .offset:         208
        .size:           8
        .value_kind:     hidden_hostcall_buffer
    .group_segment_fixed_size: 0
    .kernarg_segment_align: 8
    .kernarg_segment_size: 384
    .language:       OpenCL C
    .language_version:
      - 2
      - 0
    .max_flat_workgroup_size: 32
    .name:           _ZL13mul_mat_f_idsIfLi32ELi4ELi1EEvPKT_PKfPKiS6_S6_Pfiiiiiiiiiiiiii15HIP_vector_typeIjLj3EES9_
    .private_segment_fixed_size: 16
    .sgpr_count:     36
    .sgpr_spill_count: 0
    .symbol:         _ZL13mul_mat_f_idsIfLi32ELi4ELi1EEvPKT_PKfPKiS6_S6_Pfiiiiiiiiiiiiii15HIP_vector_typeIjLj3EES9_.kd
    .uniform_work_group_size: 1
    .uses_dynamic_stack: false
    .vgpr_count:     38
    .vgpr_spill_count: 0
    .wavefront_size: 32
    .workgroup_processor_mode: 1
  - .args:
      - .actual_access:  read_only
        .address_space:  global
        .offset:         0
        .size:           8
        .value_kind:     global_buffer
      - .actual_access:  read_only
        .address_space:  global
        .offset:         8
        .size:           8
        .value_kind:     global_buffer
      - .actual_access:  read_only
        .address_space:  global
        .offset:         16
        .size:           8
        .value_kind:     global_buffer
      - .actual_access:  read_only
        .address_space:  global
        .offset:         24
        .size:           8
        .value_kind:     global_buffer
      - .offset:         32
        .size:           4
        .value_kind:     by_value
      - .offset:         36
        .size:           4
        .value_kind:     by_value
      - .offset:         40
        .size:           4
        .value_kind:     by_value
      - .offset:         44
        .size:           4
        .value_kind:     by_value
      - .offset:         48
        .size:           4
        .value_kind:     by_value
      - .offset:         52
        .size:           4
        .value_kind:     by_value
      - .offset:         56
        .size:           4
        .value_kind:     by_value
      - .offset:         60
        .size:           4
        .value_kind:     by_value
      - .offset:         64
        .size:           4
        .value_kind:     by_value
      - .offset:         68
        .size:           4
        .value_kind:     by_value
      - .offset:         72
        .size:           4
        .value_kind:     by_value
      - .offset:         76
        .size:           4
        .value_kind:     by_value
      - .offset:         80
        .size:           4
        .value_kind:     by_value
      - .offset:         84
        .size:           4
        .value_kind:     by_value
      - .offset:         88
        .size:           4
        .value_kind:     by_value
      - .offset:         92
        .size:           4
        .value_kind:     by_value
      - .offset:         96
        .size:           4
        .value_kind:     hidden_block_count_x
      - .offset:         100
        .size:           4
        .value_kind:     hidden_block_count_y
      - .offset:         104
        .size:           4
        .value_kind:     hidden_block_count_z
      - .offset:         108
        .size:           2
        .value_kind:     hidden_group_size_x
      - .offset:         110
        .size:           2
        .value_kind:     hidden_group_size_y
      - .offset:         112
        .size:           2
        .value_kind:     hidden_group_size_z
      - .offset:         114
        .size:           2
        .value_kind:     hidden_remainder_x
      - .offset:         116
        .size:           2
        .value_kind:     hidden_remainder_y
      - .offset:         118
        .size:           2
        .value_kind:     hidden_remainder_z
      - .offset:         136
        .size:           8
        .value_kind:     hidden_global_offset_x
      - .offset:         144
        .size:           8
        .value_kind:     hidden_global_offset_y
      - .offset:         152
        .size:           8
        .value_kind:     hidden_global_offset_z
      - .offset:         160
        .size:           2
        .value_kind:     hidden_grid_dims
      - .offset:         176
        .size:           8
        .value_kind:     hidden_hostcall_buffer
    .group_segment_fixed_size: 0
    .kernarg_segment_align: 8
    .kernarg_segment_size: 352
    .language:       OpenCL C
    .language_version:
      - 2
      - 0
    .max_flat_workgroup_size: 32
    .name:           _ZL9mul_mat_fIfLi32ELi4ELi1ELb1EEvPKT_PKfPKiPfiiiiiiiiiiiiiiii
    .private_segment_fixed_size: 16
    .sgpr_count:     36
    .sgpr_spill_count: 0
    .symbol:         _ZL9mul_mat_fIfLi32ELi4ELi1ELb1EEvPKT_PKfPKiPfiiiiiiiiiiiiiiii.kd
    .uniform_work_group_size: 1
    .uses_dynamic_stack: false
    .vgpr_count:     38
    .vgpr_spill_count: 0
    .wavefront_size: 32
    .workgroup_processor_mode: 1
  - .args:
      - .actual_access:  read_only
        .address_space:  global
        .offset:         0
        .size:           8
        .value_kind:     global_buffer
      - .actual_access:  read_only
        .address_space:  global
        .offset:         8
        .size:           8
        .value_kind:     global_buffer
      - .actual_access:  read_only
        .address_space:  global
        .offset:         16
        .size:           8
        .value_kind:     global_buffer
      - .actual_access:  read_only
        .address_space:  global
        .offset:         24
        .size:           8
        .value_kind:     global_buffer
      - .offset:         32
        .size:           4
        .value_kind:     by_value
      - .offset:         36
        .size:           4
        .value_kind:     by_value
      - .offset:         40
        .size:           4
        .value_kind:     by_value
      - .offset:         44
        .size:           4
        .value_kind:     by_value
      - .offset:         48
        .size:           4
        .value_kind:     by_value
      - .offset:         52
        .size:           4
        .value_kind:     by_value
      - .offset:         56
        .size:           4
        .value_kind:     by_value
      - .offset:         60
        .size:           4
        .value_kind:     by_value
      - .offset:         64
        .size:           4
        .value_kind:     by_value
      - .offset:         68
        .size:           4
        .value_kind:     by_value
      - .offset:         72
        .size:           4
        .value_kind:     by_value
      - .offset:         76
        .size:           4
        .value_kind:     by_value
      - .offset:         80
        .size:           4
        .value_kind:     by_value
      - .offset:         84
        .size:           4
        .value_kind:     by_value
      - .offset:         88
        .size:           4
        .value_kind:     by_value
      - .offset:         92
        .size:           4
        .value_kind:     by_value
      - .offset:         96
        .size:           4
        .value_kind:     hidden_block_count_x
      - .offset:         100
        .size:           4
        .value_kind:     hidden_block_count_y
      - .offset:         104
        .size:           4
        .value_kind:     hidden_block_count_z
      - .offset:         108
        .size:           2
        .value_kind:     hidden_group_size_x
      - .offset:         110
        .size:           2
        .value_kind:     hidden_group_size_y
      - .offset:         112
        .size:           2
        .value_kind:     hidden_group_size_z
      - .offset:         114
        .size:           2
        .value_kind:     hidden_remainder_x
      - .offset:         116
        .size:           2
        .value_kind:     hidden_remainder_y
      - .offset:         118
        .size:           2
        .value_kind:     hidden_remainder_z
      - .offset:         136
        .size:           8
        .value_kind:     hidden_global_offset_x
      - .offset:         144
        .size:           8
        .value_kind:     hidden_global_offset_y
      - .offset:         152
        .size:           8
        .value_kind:     hidden_global_offset_z
      - .offset:         160
        .size:           2
        .value_kind:     hidden_grid_dims
      - .offset:         176
        .size:           8
        .value_kind:     hidden_hostcall_buffer
    .group_segment_fixed_size: 0
    .kernarg_segment_align: 8
    .kernarg_segment_size: 352
    .language:       OpenCL C
    .language_version:
      - 2
      - 0
    .max_flat_workgroup_size: 32
    .name:           _ZL9mul_mat_fIfLi32ELi4ELi1ELb0EEvPKT_PKfPKiPfiiiiiiiiiiiiiiii
    .private_segment_fixed_size: 16
    .sgpr_count:     36
    .sgpr_spill_count: 0
    .symbol:         _ZL9mul_mat_fIfLi32ELi4ELi1ELb0EEvPKT_PKfPKiPfiiiiiiiiiiiiiiii.kd
    .uniform_work_group_size: 1
    .uses_dynamic_stack: false
    .vgpr_count:     38
    .vgpr_spill_count: 0
    .wavefront_size: 32
    .workgroup_processor_mode: 1
  - .args:
      - .actual_access:  read_only
        .address_space:  global
        .offset:         0
        .size:           8
        .value_kind:     global_buffer
      - .actual_access:  read_only
        .address_space:  global
        .offset:         8
        .size:           8
        .value_kind:     global_buffer
      - .actual_access:  read_only
        .address_space:  global
        .offset:         16
        .size:           8
        .value_kind:     global_buffer
      - .actual_access:  read_only
        .address_space:  global
        .offset:         24
        .size:           8
        .value_kind:     global_buffer
      - .actual_access:  read_only
        .address_space:  global
        .offset:         32
        .size:           8
        .value_kind:     global_buffer
      - .actual_access:  read_only
        .address_space:  global
        .offset:         40
        .size:           8
        .value_kind:     global_buffer
      - .offset:         48
        .size:           4
        .value_kind:     by_value
      - .offset:         52
        .size:           4
        .value_kind:     by_value
      - .offset:         56
        .size:           4
        .value_kind:     by_value
      - .offset:         60
        .size:           4
        .value_kind:     by_value
      - .offset:         64
        .size:           4
        .value_kind:     by_value
      - .offset:         68
        .size:           4
        .value_kind:     by_value
      - .offset:         72
        .size:           4
        .value_kind:     by_value
      - .offset:         76
        .size:           4
        .value_kind:     by_value
      - .offset:         80
        .size:           4
        .value_kind:     by_value
      - .offset:         84
        .size:           4
        .value_kind:     by_value
      - .offset:         88
        .size:           4
        .value_kind:     by_value
      - .offset:         92
        .size:           4
        .value_kind:     by_value
      - .offset:         96
        .size:           4
        .value_kind:     by_value
      - .offset:         100
        .size:           4
        .value_kind:     by_value
      - .offset:         104
        .size:           12
        .value_kind:     by_value
      - .offset:         116
        .size:           12
        .value_kind:     by_value
      - .offset:         128
        .size:           4
        .value_kind:     hidden_block_count_x
      - .offset:         132
        .size:           4
        .value_kind:     hidden_block_count_y
      - .offset:         136
        .size:           4
        .value_kind:     hidden_block_count_z
      - .offset:         140
        .size:           2
        .value_kind:     hidden_group_size_x
      - .offset:         142
        .size:           2
        .value_kind:     hidden_group_size_y
      - .offset:         144
        .size:           2
        .value_kind:     hidden_group_size_z
      - .offset:         146
        .size:           2
        .value_kind:     hidden_remainder_x
      - .offset:         148
        .size:           2
        .value_kind:     hidden_remainder_y
      - .offset:         150
        .size:           2
        .value_kind:     hidden_remainder_z
      - .offset:         168
        .size:           8
        .value_kind:     hidden_global_offset_x
      - .offset:         176
        .size:           8
        .value_kind:     hidden_global_offset_y
      - .offset:         184
        .size:           8
        .value_kind:     hidden_global_offset_z
      - .offset:         192
        .size:           2
        .value_kind:     hidden_grid_dims
      - .offset:         208
        .size:           8
        .value_kind:     hidden_hostcall_buffer
    .group_segment_fixed_size: 0
    .kernarg_segment_align: 8
    .kernarg_segment_size: 384
    .language:       OpenCL C
    .language_version:
      - 2
      - 0
    .max_flat_workgroup_size: 64
    .name:           _ZL13mul_mat_f_idsIfLi32ELi4ELi2EEvPKT_PKfPKiS6_S6_Pfiiiiiiiiiiiiii15HIP_vector_typeIjLj3EES9_
    .private_segment_fixed_size: 16
    .sgpr_count:     36
    .sgpr_spill_count: 0
    .symbol:         _ZL13mul_mat_f_idsIfLi32ELi4ELi2EEvPKT_PKfPKiS6_S6_Pfiiiiiiiiiiiiii15HIP_vector_typeIjLj3EES9_.kd
    .uniform_work_group_size: 1
    .uses_dynamic_stack: false
    .vgpr_count:     38
    .vgpr_spill_count: 0
    .wavefront_size: 32
    .workgroup_processor_mode: 1
  - .args:
      - .actual_access:  read_only
        .address_space:  global
        .offset:         0
        .size:           8
        .value_kind:     global_buffer
      - .actual_access:  read_only
        .address_space:  global
        .offset:         8
        .size:           8
        .value_kind:     global_buffer
      - .actual_access:  read_only
        .address_space:  global
        .offset:         16
        .size:           8
        .value_kind:     global_buffer
      - .actual_access:  read_only
        .address_space:  global
        .offset:         24
        .size:           8
        .value_kind:     global_buffer
      - .offset:         32
        .size:           4
        .value_kind:     by_value
      - .offset:         36
        .size:           4
        .value_kind:     by_value
      - .offset:         40
        .size:           4
        .value_kind:     by_value
      - .offset:         44
        .size:           4
        .value_kind:     by_value
      - .offset:         48
        .size:           4
        .value_kind:     by_value
      - .offset:         52
        .size:           4
        .value_kind:     by_value
      - .offset:         56
        .size:           4
        .value_kind:     by_value
      - .offset:         60
        .size:           4
        .value_kind:     by_value
      - .offset:         64
        .size:           4
        .value_kind:     by_value
      - .offset:         68
        .size:           4
        .value_kind:     by_value
      - .offset:         72
        .size:           4
        .value_kind:     by_value
      - .offset:         76
        .size:           4
        .value_kind:     by_value
      - .offset:         80
        .size:           4
        .value_kind:     by_value
      - .offset:         84
        .size:           4
        .value_kind:     by_value
      - .offset:         88
        .size:           4
        .value_kind:     by_value
      - .offset:         92
        .size:           4
        .value_kind:     by_value
      - .offset:         96
        .size:           4
        .value_kind:     hidden_block_count_x
      - .offset:         100
        .size:           4
        .value_kind:     hidden_block_count_y
      - .offset:         104
        .size:           4
        .value_kind:     hidden_block_count_z
      - .offset:         108
        .size:           2
        .value_kind:     hidden_group_size_x
      - .offset:         110
        .size:           2
        .value_kind:     hidden_group_size_y
      - .offset:         112
        .size:           2
        .value_kind:     hidden_group_size_z
      - .offset:         114
        .size:           2
        .value_kind:     hidden_remainder_x
      - .offset:         116
        .size:           2
        .value_kind:     hidden_remainder_y
      - .offset:         118
        .size:           2
        .value_kind:     hidden_remainder_z
      - .offset:         136
        .size:           8
        .value_kind:     hidden_global_offset_x
      - .offset:         144
        .size:           8
        .value_kind:     hidden_global_offset_y
      - .offset:         152
        .size:           8
        .value_kind:     hidden_global_offset_z
      - .offset:         160
        .size:           2
        .value_kind:     hidden_grid_dims
      - .offset:         176
        .size:           8
        .value_kind:     hidden_hostcall_buffer
    .group_segment_fixed_size: 0
    .kernarg_segment_align: 8
    .kernarg_segment_size: 352
    .language:       OpenCL C
    .language_version:
      - 2
      - 0
    .max_flat_workgroup_size: 64
    .name:           _ZL9mul_mat_fIfLi32ELi4ELi2ELb1EEvPKT_PKfPKiPfiiiiiiiiiiiiiiii
    .private_segment_fixed_size: 16
    .sgpr_count:     36
    .sgpr_spill_count: 0
    .symbol:         _ZL9mul_mat_fIfLi32ELi4ELi2ELb1EEvPKT_PKfPKiPfiiiiiiiiiiiiiiii.kd
    .uniform_work_group_size: 1
    .uses_dynamic_stack: false
    .vgpr_count:     38
    .vgpr_spill_count: 0
    .wavefront_size: 32
    .workgroup_processor_mode: 1
  - .args:
      - .actual_access:  read_only
        .address_space:  global
        .offset:         0
        .size:           8
        .value_kind:     global_buffer
      - .actual_access:  read_only
        .address_space:  global
        .offset:         8
        .size:           8
        .value_kind:     global_buffer
      - .actual_access:  read_only
        .address_space:  global
        .offset:         16
        .size:           8
        .value_kind:     global_buffer
      - .actual_access:  read_only
        .address_space:  global
        .offset:         24
        .size:           8
        .value_kind:     global_buffer
      - .offset:         32
        .size:           4
        .value_kind:     by_value
      - .offset:         36
        .size:           4
        .value_kind:     by_value
      - .offset:         40
        .size:           4
        .value_kind:     by_value
      - .offset:         44
        .size:           4
        .value_kind:     by_value
      - .offset:         48
        .size:           4
        .value_kind:     by_value
      - .offset:         52
        .size:           4
        .value_kind:     by_value
      - .offset:         56
        .size:           4
        .value_kind:     by_value
      - .offset:         60
        .size:           4
        .value_kind:     by_value
      - .offset:         64
        .size:           4
        .value_kind:     by_value
      - .offset:         68
        .size:           4
        .value_kind:     by_value
      - .offset:         72
        .size:           4
        .value_kind:     by_value
      - .offset:         76
        .size:           4
        .value_kind:     by_value
      - .offset:         80
        .size:           4
        .value_kind:     by_value
      - .offset:         84
        .size:           4
        .value_kind:     by_value
      - .offset:         88
        .size:           4
        .value_kind:     by_value
      - .offset:         92
        .size:           4
        .value_kind:     by_value
      - .offset:         96
        .size:           4
        .value_kind:     hidden_block_count_x
      - .offset:         100
        .size:           4
        .value_kind:     hidden_block_count_y
      - .offset:         104
        .size:           4
        .value_kind:     hidden_block_count_z
      - .offset:         108
        .size:           2
        .value_kind:     hidden_group_size_x
      - .offset:         110
        .size:           2
        .value_kind:     hidden_group_size_y
      - .offset:         112
        .size:           2
        .value_kind:     hidden_group_size_z
      - .offset:         114
        .size:           2
        .value_kind:     hidden_remainder_x
      - .offset:         116
        .size:           2
        .value_kind:     hidden_remainder_y
      - .offset:         118
        .size:           2
        .value_kind:     hidden_remainder_z
      - .offset:         136
        .size:           8
        .value_kind:     hidden_global_offset_x
      - .offset:         144
        .size:           8
        .value_kind:     hidden_global_offset_y
      - .offset:         152
        .size:           8
        .value_kind:     hidden_global_offset_z
      - .offset:         160
        .size:           2
        .value_kind:     hidden_grid_dims
      - .offset:         176
        .size:           8
        .value_kind:     hidden_hostcall_buffer
    .group_segment_fixed_size: 0
    .kernarg_segment_align: 8
    .kernarg_segment_size: 352
    .language:       OpenCL C
    .language_version:
      - 2
      - 0
    .max_flat_workgroup_size: 64
    .name:           _ZL9mul_mat_fIfLi32ELi4ELi2ELb0EEvPKT_PKfPKiPfiiiiiiiiiiiiiiii
    .private_segment_fixed_size: 16
    .sgpr_count:     36
    .sgpr_spill_count: 0
    .symbol:         _ZL9mul_mat_fIfLi32ELi4ELi2ELb0EEvPKT_PKfPKiPfiiiiiiiiiiiiiiii.kd
    .uniform_work_group_size: 1
    .uses_dynamic_stack: false
    .vgpr_count:     38
    .vgpr_spill_count: 0
    .wavefront_size: 32
    .workgroup_processor_mode: 1
  - .args:
      - .actual_access:  read_only
        .address_space:  global
        .offset:         0
        .size:           8
        .value_kind:     global_buffer
      - .actual_access:  read_only
        .address_space:  global
        .offset:         8
        .size:           8
        .value_kind:     global_buffer
      - .actual_access:  read_only
        .address_space:  global
        .offset:         16
        .size:           8
        .value_kind:     global_buffer
      - .actual_access:  read_only
        .address_space:  global
        .offset:         24
        .size:           8
        .value_kind:     global_buffer
      - .actual_access:  read_only
        .address_space:  global
        .offset:         32
        .size:           8
        .value_kind:     global_buffer
      - .actual_access:  read_only
        .address_space:  global
        .offset:         40
        .size:           8
        .value_kind:     global_buffer
      - .offset:         48
        .size:           4
        .value_kind:     by_value
      - .offset:         52
        .size:           4
        .value_kind:     by_value
      - .offset:         56
        .size:           4
        .value_kind:     by_value
      - .offset:         60
        .size:           4
        .value_kind:     by_value
      - .offset:         64
        .size:           4
        .value_kind:     by_value
      - .offset:         68
        .size:           4
        .value_kind:     by_value
      - .offset:         72
        .size:           4
        .value_kind:     by_value
      - .offset:         76
        .size:           4
        .value_kind:     by_value
      - .offset:         80
        .size:           4
        .value_kind:     by_value
      - .offset:         84
        .size:           4
        .value_kind:     by_value
      - .offset:         88
        .size:           4
        .value_kind:     by_value
      - .offset:         92
        .size:           4
        .value_kind:     by_value
      - .offset:         96
        .size:           4
        .value_kind:     by_value
      - .offset:         100
        .size:           4
        .value_kind:     by_value
      - .offset:         104
        .size:           12
        .value_kind:     by_value
      - .offset:         116
        .size:           12
        .value_kind:     by_value
      - .offset:         128
        .size:           4
        .value_kind:     hidden_block_count_x
      - .offset:         132
        .size:           4
        .value_kind:     hidden_block_count_y
      - .offset:         136
        .size:           4
        .value_kind:     hidden_block_count_z
      - .offset:         140
        .size:           2
        .value_kind:     hidden_group_size_x
      - .offset:         142
        .size:           2
        .value_kind:     hidden_group_size_y
      - .offset:         144
        .size:           2
        .value_kind:     hidden_group_size_z
      - .offset:         146
        .size:           2
        .value_kind:     hidden_remainder_x
      - .offset:         148
        .size:           2
        .value_kind:     hidden_remainder_y
      - .offset:         150
        .size:           2
        .value_kind:     hidden_remainder_z
      - .offset:         168
        .size:           8
        .value_kind:     hidden_global_offset_x
      - .offset:         176
        .size:           8
        .value_kind:     hidden_global_offset_y
      - .offset:         184
        .size:           8
        .value_kind:     hidden_global_offset_z
      - .offset:         192
        .size:           2
        .value_kind:     hidden_grid_dims
      - .offset:         208
        .size:           8
        .value_kind:     hidden_hostcall_buffer
    .group_segment_fixed_size: 0
    .kernarg_segment_align: 8
    .kernarg_segment_size: 384
    .language:       OpenCL C
    .language_version:
      - 2
      - 0
    .max_flat_workgroup_size: 96
    .name:           _ZL13mul_mat_f_idsIfLi32ELi4ELi3EEvPKT_PKfPKiS6_S6_Pfiiiiiiiiiiiiii15HIP_vector_typeIjLj3EES9_
    .private_segment_fixed_size: 16
    .sgpr_count:     36
    .sgpr_spill_count: 0
    .symbol:         _ZL13mul_mat_f_idsIfLi32ELi4ELi3EEvPKT_PKfPKiS6_S6_Pfiiiiiiiiiiiiii15HIP_vector_typeIjLj3EES9_.kd
    .uniform_work_group_size: 1
    .uses_dynamic_stack: false
    .vgpr_count:     38
    .vgpr_spill_count: 0
    .wavefront_size: 32
    .workgroup_processor_mode: 1
  - .args:
      - .actual_access:  read_only
        .address_space:  global
        .offset:         0
        .size:           8
        .value_kind:     global_buffer
      - .actual_access:  read_only
        .address_space:  global
        .offset:         8
        .size:           8
        .value_kind:     global_buffer
      - .actual_access:  read_only
        .address_space:  global
        .offset:         16
        .size:           8
        .value_kind:     global_buffer
      - .actual_access:  read_only
        .address_space:  global
        .offset:         24
        .size:           8
        .value_kind:     global_buffer
      - .offset:         32
        .size:           4
        .value_kind:     by_value
      - .offset:         36
        .size:           4
        .value_kind:     by_value
      - .offset:         40
        .size:           4
        .value_kind:     by_value
      - .offset:         44
        .size:           4
        .value_kind:     by_value
      - .offset:         48
        .size:           4
        .value_kind:     by_value
      - .offset:         52
        .size:           4
        .value_kind:     by_value
      - .offset:         56
        .size:           4
        .value_kind:     by_value
      - .offset:         60
        .size:           4
        .value_kind:     by_value
      - .offset:         64
        .size:           4
        .value_kind:     by_value
      - .offset:         68
        .size:           4
        .value_kind:     by_value
      - .offset:         72
        .size:           4
        .value_kind:     by_value
      - .offset:         76
        .size:           4
        .value_kind:     by_value
      - .offset:         80
        .size:           4
        .value_kind:     by_value
      - .offset:         84
        .size:           4
        .value_kind:     by_value
      - .offset:         88
        .size:           4
        .value_kind:     by_value
      - .offset:         92
        .size:           4
        .value_kind:     by_value
      - .offset:         96
        .size:           4
        .value_kind:     hidden_block_count_x
      - .offset:         100
        .size:           4
        .value_kind:     hidden_block_count_y
      - .offset:         104
        .size:           4
        .value_kind:     hidden_block_count_z
      - .offset:         108
        .size:           2
        .value_kind:     hidden_group_size_x
      - .offset:         110
        .size:           2
        .value_kind:     hidden_group_size_y
      - .offset:         112
        .size:           2
        .value_kind:     hidden_group_size_z
      - .offset:         114
        .size:           2
        .value_kind:     hidden_remainder_x
      - .offset:         116
        .size:           2
        .value_kind:     hidden_remainder_y
      - .offset:         118
        .size:           2
        .value_kind:     hidden_remainder_z
      - .offset:         136
        .size:           8
        .value_kind:     hidden_global_offset_x
      - .offset:         144
        .size:           8
        .value_kind:     hidden_global_offset_y
      - .offset:         152
        .size:           8
        .value_kind:     hidden_global_offset_z
      - .offset:         160
        .size:           2
        .value_kind:     hidden_grid_dims
      - .offset:         176
        .size:           8
        .value_kind:     hidden_hostcall_buffer
    .group_segment_fixed_size: 0
    .kernarg_segment_align: 8
    .kernarg_segment_size: 352
    .language:       OpenCL C
    .language_version:
      - 2
      - 0
    .max_flat_workgroup_size: 96
    .name:           _ZL9mul_mat_fIfLi32ELi4ELi3ELb1EEvPKT_PKfPKiPfiiiiiiiiiiiiiiii
    .private_segment_fixed_size: 16
    .sgpr_count:     36
    .sgpr_spill_count: 0
    .symbol:         _ZL9mul_mat_fIfLi32ELi4ELi3ELb1EEvPKT_PKfPKiPfiiiiiiiiiiiiiiii.kd
    .uniform_work_group_size: 1
    .uses_dynamic_stack: false
    .vgpr_count:     38
    .vgpr_spill_count: 0
    .wavefront_size: 32
    .workgroup_processor_mode: 1
  - .args:
      - .actual_access:  read_only
        .address_space:  global
        .offset:         0
        .size:           8
        .value_kind:     global_buffer
      - .actual_access:  read_only
        .address_space:  global
        .offset:         8
        .size:           8
        .value_kind:     global_buffer
      - .actual_access:  read_only
        .address_space:  global
        .offset:         16
        .size:           8
        .value_kind:     global_buffer
      - .actual_access:  read_only
        .address_space:  global
        .offset:         24
        .size:           8
        .value_kind:     global_buffer
      - .offset:         32
        .size:           4
        .value_kind:     by_value
      - .offset:         36
        .size:           4
        .value_kind:     by_value
      - .offset:         40
        .size:           4
        .value_kind:     by_value
      - .offset:         44
        .size:           4
        .value_kind:     by_value
      - .offset:         48
        .size:           4
        .value_kind:     by_value
      - .offset:         52
        .size:           4
        .value_kind:     by_value
      - .offset:         56
        .size:           4
        .value_kind:     by_value
      - .offset:         60
        .size:           4
        .value_kind:     by_value
      - .offset:         64
        .size:           4
        .value_kind:     by_value
      - .offset:         68
        .size:           4
        .value_kind:     by_value
      - .offset:         72
        .size:           4
        .value_kind:     by_value
      - .offset:         76
        .size:           4
        .value_kind:     by_value
      - .offset:         80
        .size:           4
        .value_kind:     by_value
      - .offset:         84
        .size:           4
        .value_kind:     by_value
      - .offset:         88
        .size:           4
        .value_kind:     by_value
      - .offset:         92
        .size:           4
        .value_kind:     by_value
      - .offset:         96
        .size:           4
        .value_kind:     hidden_block_count_x
      - .offset:         100
        .size:           4
        .value_kind:     hidden_block_count_y
      - .offset:         104
        .size:           4
        .value_kind:     hidden_block_count_z
      - .offset:         108
        .size:           2
        .value_kind:     hidden_group_size_x
      - .offset:         110
        .size:           2
        .value_kind:     hidden_group_size_y
      - .offset:         112
        .size:           2
        .value_kind:     hidden_group_size_z
      - .offset:         114
        .size:           2
        .value_kind:     hidden_remainder_x
      - .offset:         116
        .size:           2
        .value_kind:     hidden_remainder_y
      - .offset:         118
        .size:           2
        .value_kind:     hidden_remainder_z
      - .offset:         136
        .size:           8
        .value_kind:     hidden_global_offset_x
      - .offset:         144
        .size:           8
        .value_kind:     hidden_global_offset_y
      - .offset:         152
        .size:           8
        .value_kind:     hidden_global_offset_z
      - .offset:         160
        .size:           2
        .value_kind:     hidden_grid_dims
      - .offset:         176
        .size:           8
        .value_kind:     hidden_hostcall_buffer
    .group_segment_fixed_size: 0
    .kernarg_segment_align: 8
    .kernarg_segment_size: 352
    .language:       OpenCL C
    .language_version:
      - 2
      - 0
    .max_flat_workgroup_size: 96
    .name:           _ZL9mul_mat_fIfLi32ELi4ELi3ELb0EEvPKT_PKfPKiPfiiiiiiiiiiiiiiii
    .private_segment_fixed_size: 16
    .sgpr_count:     36
    .sgpr_spill_count: 0
    .symbol:         _ZL9mul_mat_fIfLi32ELi4ELi3ELb0EEvPKT_PKfPKiPfiiiiiiiiiiiiiiii.kd
    .uniform_work_group_size: 1
    .uses_dynamic_stack: false
    .vgpr_count:     38
    .vgpr_spill_count: 0
    .wavefront_size: 32
    .workgroup_processor_mode: 1
  - .args:
      - .actual_access:  read_only
        .address_space:  global
        .offset:         0
        .size:           8
        .value_kind:     global_buffer
      - .actual_access:  read_only
        .address_space:  global
        .offset:         8
        .size:           8
        .value_kind:     global_buffer
      - .actual_access:  read_only
        .address_space:  global
        .offset:         16
        .size:           8
        .value_kind:     global_buffer
      - .actual_access:  read_only
        .address_space:  global
        .offset:         24
        .size:           8
        .value_kind:     global_buffer
      - .actual_access:  read_only
        .address_space:  global
        .offset:         32
        .size:           8
        .value_kind:     global_buffer
      - .actual_access:  read_only
        .address_space:  global
        .offset:         40
        .size:           8
        .value_kind:     global_buffer
      - .offset:         48
        .size:           4
        .value_kind:     by_value
      - .offset:         52
        .size:           4
        .value_kind:     by_value
      - .offset:         56
        .size:           4
        .value_kind:     by_value
      - .offset:         60
        .size:           4
        .value_kind:     by_value
      - .offset:         64
        .size:           4
        .value_kind:     by_value
      - .offset:         68
        .size:           4
        .value_kind:     by_value
      - .offset:         72
        .size:           4
        .value_kind:     by_value
      - .offset:         76
        .size:           4
        .value_kind:     by_value
      - .offset:         80
        .size:           4
        .value_kind:     by_value
      - .offset:         84
        .size:           4
        .value_kind:     by_value
      - .offset:         88
        .size:           4
        .value_kind:     by_value
      - .offset:         92
        .size:           4
        .value_kind:     by_value
      - .offset:         96
        .size:           4
        .value_kind:     by_value
      - .offset:         100
        .size:           4
        .value_kind:     by_value
      - .offset:         104
        .size:           12
        .value_kind:     by_value
      - .offset:         116
        .size:           12
        .value_kind:     by_value
      - .offset:         128
        .size:           4
        .value_kind:     hidden_block_count_x
      - .offset:         132
        .size:           4
        .value_kind:     hidden_block_count_y
      - .offset:         136
        .size:           4
        .value_kind:     hidden_block_count_z
      - .offset:         140
        .size:           2
        .value_kind:     hidden_group_size_x
      - .offset:         142
        .size:           2
        .value_kind:     hidden_group_size_y
      - .offset:         144
        .size:           2
        .value_kind:     hidden_group_size_z
      - .offset:         146
        .size:           2
        .value_kind:     hidden_remainder_x
      - .offset:         148
        .size:           2
        .value_kind:     hidden_remainder_y
      - .offset:         150
        .size:           2
        .value_kind:     hidden_remainder_z
      - .offset:         168
        .size:           8
        .value_kind:     hidden_global_offset_x
      - .offset:         176
        .size:           8
        .value_kind:     hidden_global_offset_y
      - .offset:         184
        .size:           8
        .value_kind:     hidden_global_offset_z
      - .offset:         192
        .size:           2
        .value_kind:     hidden_grid_dims
      - .offset:         208
        .size:           8
        .value_kind:     hidden_hostcall_buffer
    .group_segment_fixed_size: 0
    .kernarg_segment_align: 8
    .kernarg_segment_size: 384
    .language:       OpenCL C
    .language_version:
      - 2
      - 0
    .max_flat_workgroup_size: 128
    .name:           _ZL13mul_mat_f_idsIfLi32ELi4ELi4EEvPKT_PKfPKiS6_S6_Pfiiiiiiiiiiiiii15HIP_vector_typeIjLj3EES9_
    .private_segment_fixed_size: 16
    .sgpr_count:     36
    .sgpr_spill_count: 0
    .symbol:         _ZL13mul_mat_f_idsIfLi32ELi4ELi4EEvPKT_PKfPKiS6_S6_Pfiiiiiiiiiiiiii15HIP_vector_typeIjLj3EES9_.kd
    .uniform_work_group_size: 1
    .uses_dynamic_stack: false
    .vgpr_count:     38
    .vgpr_spill_count: 0
    .wavefront_size: 32
    .workgroup_processor_mode: 1
  - .args:
      - .actual_access:  read_only
        .address_space:  global
        .offset:         0
        .size:           8
        .value_kind:     global_buffer
      - .actual_access:  read_only
        .address_space:  global
        .offset:         8
        .size:           8
        .value_kind:     global_buffer
      - .actual_access:  read_only
        .address_space:  global
        .offset:         16
        .size:           8
        .value_kind:     global_buffer
      - .actual_access:  read_only
        .address_space:  global
        .offset:         24
        .size:           8
        .value_kind:     global_buffer
      - .offset:         32
        .size:           4
        .value_kind:     by_value
      - .offset:         36
        .size:           4
        .value_kind:     by_value
      - .offset:         40
        .size:           4
        .value_kind:     by_value
      - .offset:         44
        .size:           4
        .value_kind:     by_value
      - .offset:         48
        .size:           4
        .value_kind:     by_value
      - .offset:         52
        .size:           4
        .value_kind:     by_value
      - .offset:         56
        .size:           4
        .value_kind:     by_value
      - .offset:         60
        .size:           4
        .value_kind:     by_value
      - .offset:         64
        .size:           4
        .value_kind:     by_value
      - .offset:         68
        .size:           4
        .value_kind:     by_value
      - .offset:         72
        .size:           4
        .value_kind:     by_value
      - .offset:         76
        .size:           4
        .value_kind:     by_value
      - .offset:         80
        .size:           4
        .value_kind:     by_value
      - .offset:         84
        .size:           4
        .value_kind:     by_value
      - .offset:         88
        .size:           4
        .value_kind:     by_value
      - .offset:         92
        .size:           4
        .value_kind:     by_value
      - .offset:         96
        .size:           4
        .value_kind:     hidden_block_count_x
      - .offset:         100
        .size:           4
        .value_kind:     hidden_block_count_y
      - .offset:         104
        .size:           4
        .value_kind:     hidden_block_count_z
      - .offset:         108
        .size:           2
        .value_kind:     hidden_group_size_x
      - .offset:         110
        .size:           2
        .value_kind:     hidden_group_size_y
      - .offset:         112
        .size:           2
        .value_kind:     hidden_group_size_z
      - .offset:         114
        .size:           2
        .value_kind:     hidden_remainder_x
      - .offset:         116
        .size:           2
        .value_kind:     hidden_remainder_y
      - .offset:         118
        .size:           2
        .value_kind:     hidden_remainder_z
      - .offset:         136
        .size:           8
        .value_kind:     hidden_global_offset_x
      - .offset:         144
        .size:           8
        .value_kind:     hidden_global_offset_y
      - .offset:         152
        .size:           8
        .value_kind:     hidden_global_offset_z
      - .offset:         160
        .size:           2
        .value_kind:     hidden_grid_dims
      - .offset:         176
        .size:           8
        .value_kind:     hidden_hostcall_buffer
    .group_segment_fixed_size: 0
    .kernarg_segment_align: 8
    .kernarg_segment_size: 352
    .language:       OpenCL C
    .language_version:
      - 2
      - 0
    .max_flat_workgroup_size: 128
    .name:           _ZL9mul_mat_fIfLi32ELi4ELi4ELb1EEvPKT_PKfPKiPfiiiiiiiiiiiiiiii
    .private_segment_fixed_size: 16
    .sgpr_count:     36
    .sgpr_spill_count: 0
    .symbol:         _ZL9mul_mat_fIfLi32ELi4ELi4ELb1EEvPKT_PKfPKiPfiiiiiiiiiiiiiiii.kd
    .uniform_work_group_size: 1
    .uses_dynamic_stack: false
    .vgpr_count:     38
    .vgpr_spill_count: 0
    .wavefront_size: 32
    .workgroup_processor_mode: 1
  - .args:
      - .actual_access:  read_only
        .address_space:  global
        .offset:         0
        .size:           8
        .value_kind:     global_buffer
      - .actual_access:  read_only
        .address_space:  global
        .offset:         8
        .size:           8
        .value_kind:     global_buffer
      - .actual_access:  read_only
        .address_space:  global
        .offset:         16
        .size:           8
        .value_kind:     global_buffer
      - .actual_access:  read_only
        .address_space:  global
        .offset:         24
        .size:           8
        .value_kind:     global_buffer
      - .offset:         32
        .size:           4
        .value_kind:     by_value
      - .offset:         36
        .size:           4
        .value_kind:     by_value
      - .offset:         40
        .size:           4
        .value_kind:     by_value
      - .offset:         44
        .size:           4
        .value_kind:     by_value
      - .offset:         48
        .size:           4
        .value_kind:     by_value
      - .offset:         52
        .size:           4
        .value_kind:     by_value
      - .offset:         56
        .size:           4
        .value_kind:     by_value
      - .offset:         60
        .size:           4
        .value_kind:     by_value
      - .offset:         64
        .size:           4
        .value_kind:     by_value
      - .offset:         68
        .size:           4
        .value_kind:     by_value
      - .offset:         72
        .size:           4
        .value_kind:     by_value
      - .offset:         76
        .size:           4
        .value_kind:     by_value
      - .offset:         80
        .size:           4
        .value_kind:     by_value
      - .offset:         84
        .size:           4
        .value_kind:     by_value
      - .offset:         88
        .size:           4
        .value_kind:     by_value
      - .offset:         92
        .size:           4
        .value_kind:     by_value
      - .offset:         96
        .size:           4
        .value_kind:     hidden_block_count_x
      - .offset:         100
        .size:           4
        .value_kind:     hidden_block_count_y
      - .offset:         104
        .size:           4
        .value_kind:     hidden_block_count_z
      - .offset:         108
        .size:           2
        .value_kind:     hidden_group_size_x
      - .offset:         110
        .size:           2
        .value_kind:     hidden_group_size_y
      - .offset:         112
        .size:           2
        .value_kind:     hidden_group_size_z
      - .offset:         114
        .size:           2
        .value_kind:     hidden_remainder_x
      - .offset:         116
        .size:           2
        .value_kind:     hidden_remainder_y
      - .offset:         118
        .size:           2
        .value_kind:     hidden_remainder_z
      - .offset:         136
        .size:           8
        .value_kind:     hidden_global_offset_x
      - .offset:         144
        .size:           8
        .value_kind:     hidden_global_offset_y
      - .offset:         152
        .size:           8
        .value_kind:     hidden_global_offset_z
      - .offset:         160
        .size:           2
        .value_kind:     hidden_grid_dims
      - .offset:         176
        .size:           8
        .value_kind:     hidden_hostcall_buffer
    .group_segment_fixed_size: 0
    .kernarg_segment_align: 8
    .kernarg_segment_size: 352
    .language:       OpenCL C
    .language_version:
      - 2
      - 0
    .max_flat_workgroup_size: 128
    .name:           _ZL9mul_mat_fIfLi32ELi4ELi4ELb0EEvPKT_PKfPKiPfiiiiiiiiiiiiiiii
    .private_segment_fixed_size: 16
    .sgpr_count:     36
    .sgpr_spill_count: 0
    .symbol:         _ZL9mul_mat_fIfLi32ELi4ELi4ELb0EEvPKT_PKfPKiPfiiiiiiiiiiiiiiii.kd
    .uniform_work_group_size: 1
    .uses_dynamic_stack: false
    .vgpr_count:     38
    .vgpr_spill_count: 0
    .wavefront_size: 32
    .workgroup_processor_mode: 1
  - .args:
      - .actual_access:  read_only
        .address_space:  global
        .offset:         0
        .size:           8
        .value_kind:     global_buffer
      - .actual_access:  read_only
        .address_space:  global
        .offset:         8
        .size:           8
        .value_kind:     global_buffer
      - .actual_access:  read_only
        .address_space:  global
        .offset:         16
        .size:           8
        .value_kind:     global_buffer
      - .actual_access:  read_only
        .address_space:  global
        .offset:         24
        .size:           8
        .value_kind:     global_buffer
      - .actual_access:  read_only
        .address_space:  global
        .offset:         32
        .size:           8
        .value_kind:     global_buffer
      - .actual_access:  read_only
        .address_space:  global
        .offset:         40
        .size:           8
        .value_kind:     global_buffer
      - .offset:         48
        .size:           4
        .value_kind:     by_value
      - .offset:         52
        .size:           4
        .value_kind:     by_value
      - .offset:         56
        .size:           4
        .value_kind:     by_value
      - .offset:         60
        .size:           4
        .value_kind:     by_value
      - .offset:         64
        .size:           4
        .value_kind:     by_value
      - .offset:         68
        .size:           4
        .value_kind:     by_value
      - .offset:         72
        .size:           4
        .value_kind:     by_value
      - .offset:         76
        .size:           4
        .value_kind:     by_value
      - .offset:         80
        .size:           4
        .value_kind:     by_value
      - .offset:         84
        .size:           4
        .value_kind:     by_value
      - .offset:         88
        .size:           4
        .value_kind:     by_value
      - .offset:         92
        .size:           4
        .value_kind:     by_value
      - .offset:         96
        .size:           4
        .value_kind:     by_value
      - .offset:         100
        .size:           4
        .value_kind:     by_value
      - .offset:         104
        .size:           12
        .value_kind:     by_value
      - .offset:         116
        .size:           12
        .value_kind:     by_value
      - .offset:         128
        .size:           4
        .value_kind:     hidden_block_count_x
      - .offset:         132
        .size:           4
        .value_kind:     hidden_block_count_y
      - .offset:         136
        .size:           4
        .value_kind:     hidden_block_count_z
      - .offset:         140
        .size:           2
        .value_kind:     hidden_group_size_x
      - .offset:         142
        .size:           2
        .value_kind:     hidden_group_size_y
      - .offset:         144
        .size:           2
        .value_kind:     hidden_group_size_z
      - .offset:         146
        .size:           2
        .value_kind:     hidden_remainder_x
      - .offset:         148
        .size:           2
        .value_kind:     hidden_remainder_y
      - .offset:         150
        .size:           2
        .value_kind:     hidden_remainder_z
      - .offset:         168
        .size:           8
        .value_kind:     hidden_global_offset_x
      - .offset:         176
        .size:           8
        .value_kind:     hidden_global_offset_y
      - .offset:         184
        .size:           8
        .value_kind:     hidden_global_offset_z
      - .offset:         192
        .size:           2
        .value_kind:     hidden_grid_dims
      - .offset:         208
        .size:           8
        .value_kind:     hidden_hostcall_buffer
    .group_segment_fixed_size: 0
    .kernarg_segment_align: 8
    .kernarg_segment_size: 384
    .language:       OpenCL C
    .language_version:
      - 2
      - 0
    .max_flat_workgroup_size: 160
    .name:           _ZL13mul_mat_f_idsIfLi32ELi4ELi5EEvPKT_PKfPKiS6_S6_Pfiiiiiiiiiiiiii15HIP_vector_typeIjLj3EES9_
    .private_segment_fixed_size: 16
    .sgpr_count:     36
    .sgpr_spill_count: 0
    .symbol:         _ZL13mul_mat_f_idsIfLi32ELi4ELi5EEvPKT_PKfPKiS6_S6_Pfiiiiiiiiiiiiii15HIP_vector_typeIjLj3EES9_.kd
    .uniform_work_group_size: 1
    .uses_dynamic_stack: false
    .vgpr_count:     38
    .vgpr_spill_count: 0
    .wavefront_size: 32
    .workgroup_processor_mode: 1
  - .args:
      - .actual_access:  read_only
        .address_space:  global
        .offset:         0
        .size:           8
        .value_kind:     global_buffer
      - .actual_access:  read_only
        .address_space:  global
        .offset:         8
        .size:           8
        .value_kind:     global_buffer
      - .actual_access:  read_only
        .address_space:  global
        .offset:         16
        .size:           8
        .value_kind:     global_buffer
      - .actual_access:  read_only
        .address_space:  global
        .offset:         24
        .size:           8
        .value_kind:     global_buffer
      - .offset:         32
        .size:           4
        .value_kind:     by_value
      - .offset:         36
        .size:           4
        .value_kind:     by_value
      - .offset:         40
        .size:           4
        .value_kind:     by_value
      - .offset:         44
        .size:           4
        .value_kind:     by_value
      - .offset:         48
        .size:           4
        .value_kind:     by_value
      - .offset:         52
        .size:           4
        .value_kind:     by_value
      - .offset:         56
        .size:           4
        .value_kind:     by_value
      - .offset:         60
        .size:           4
        .value_kind:     by_value
      - .offset:         64
        .size:           4
        .value_kind:     by_value
      - .offset:         68
        .size:           4
        .value_kind:     by_value
      - .offset:         72
        .size:           4
        .value_kind:     by_value
      - .offset:         76
        .size:           4
        .value_kind:     by_value
      - .offset:         80
        .size:           4
        .value_kind:     by_value
      - .offset:         84
        .size:           4
        .value_kind:     by_value
      - .offset:         88
        .size:           4
        .value_kind:     by_value
      - .offset:         92
        .size:           4
        .value_kind:     by_value
      - .offset:         96
        .size:           4
        .value_kind:     hidden_block_count_x
      - .offset:         100
        .size:           4
        .value_kind:     hidden_block_count_y
      - .offset:         104
        .size:           4
        .value_kind:     hidden_block_count_z
      - .offset:         108
        .size:           2
        .value_kind:     hidden_group_size_x
      - .offset:         110
        .size:           2
        .value_kind:     hidden_group_size_y
      - .offset:         112
        .size:           2
        .value_kind:     hidden_group_size_z
      - .offset:         114
        .size:           2
        .value_kind:     hidden_remainder_x
      - .offset:         116
        .size:           2
        .value_kind:     hidden_remainder_y
      - .offset:         118
        .size:           2
        .value_kind:     hidden_remainder_z
      - .offset:         136
        .size:           8
        .value_kind:     hidden_global_offset_x
      - .offset:         144
        .size:           8
        .value_kind:     hidden_global_offset_y
      - .offset:         152
        .size:           8
        .value_kind:     hidden_global_offset_z
      - .offset:         160
        .size:           2
        .value_kind:     hidden_grid_dims
      - .offset:         176
        .size:           8
        .value_kind:     hidden_hostcall_buffer
    .group_segment_fixed_size: 0
    .kernarg_segment_align: 8
    .kernarg_segment_size: 352
    .language:       OpenCL C
    .language_version:
      - 2
      - 0
    .max_flat_workgroup_size: 160
    .name:           _ZL9mul_mat_fIfLi32ELi4ELi5ELb1EEvPKT_PKfPKiPfiiiiiiiiiiiiiiii
    .private_segment_fixed_size: 16
    .sgpr_count:     36
    .sgpr_spill_count: 0
    .symbol:         _ZL9mul_mat_fIfLi32ELi4ELi5ELb1EEvPKT_PKfPKiPfiiiiiiiiiiiiiiii.kd
    .uniform_work_group_size: 1
    .uses_dynamic_stack: false
    .vgpr_count:     38
    .vgpr_spill_count: 0
    .wavefront_size: 32
    .workgroup_processor_mode: 1
  - .args:
      - .actual_access:  read_only
        .address_space:  global
        .offset:         0
        .size:           8
        .value_kind:     global_buffer
      - .actual_access:  read_only
        .address_space:  global
        .offset:         8
        .size:           8
        .value_kind:     global_buffer
      - .actual_access:  read_only
        .address_space:  global
        .offset:         16
        .size:           8
        .value_kind:     global_buffer
      - .actual_access:  read_only
        .address_space:  global
        .offset:         24
        .size:           8
        .value_kind:     global_buffer
      - .offset:         32
        .size:           4
        .value_kind:     by_value
      - .offset:         36
        .size:           4
        .value_kind:     by_value
      - .offset:         40
        .size:           4
        .value_kind:     by_value
      - .offset:         44
        .size:           4
        .value_kind:     by_value
      - .offset:         48
        .size:           4
        .value_kind:     by_value
      - .offset:         52
        .size:           4
        .value_kind:     by_value
      - .offset:         56
        .size:           4
        .value_kind:     by_value
      - .offset:         60
        .size:           4
        .value_kind:     by_value
      - .offset:         64
        .size:           4
        .value_kind:     by_value
      - .offset:         68
        .size:           4
        .value_kind:     by_value
      - .offset:         72
        .size:           4
        .value_kind:     by_value
      - .offset:         76
        .size:           4
        .value_kind:     by_value
      - .offset:         80
        .size:           4
        .value_kind:     by_value
      - .offset:         84
        .size:           4
        .value_kind:     by_value
      - .offset:         88
        .size:           4
        .value_kind:     by_value
      - .offset:         92
        .size:           4
        .value_kind:     by_value
      - .offset:         96
        .size:           4
        .value_kind:     hidden_block_count_x
      - .offset:         100
        .size:           4
        .value_kind:     hidden_block_count_y
      - .offset:         104
        .size:           4
        .value_kind:     hidden_block_count_z
      - .offset:         108
        .size:           2
        .value_kind:     hidden_group_size_x
      - .offset:         110
        .size:           2
        .value_kind:     hidden_group_size_y
      - .offset:         112
        .size:           2
        .value_kind:     hidden_group_size_z
      - .offset:         114
        .size:           2
        .value_kind:     hidden_remainder_x
      - .offset:         116
        .size:           2
        .value_kind:     hidden_remainder_y
      - .offset:         118
        .size:           2
        .value_kind:     hidden_remainder_z
      - .offset:         136
        .size:           8
        .value_kind:     hidden_global_offset_x
      - .offset:         144
        .size:           8
        .value_kind:     hidden_global_offset_y
      - .offset:         152
        .size:           8
        .value_kind:     hidden_global_offset_z
      - .offset:         160
        .size:           2
        .value_kind:     hidden_grid_dims
      - .offset:         176
        .size:           8
        .value_kind:     hidden_hostcall_buffer
    .group_segment_fixed_size: 0
    .kernarg_segment_align: 8
    .kernarg_segment_size: 352
    .language:       OpenCL C
    .language_version:
      - 2
      - 0
    .max_flat_workgroup_size: 160
    .name:           _ZL9mul_mat_fIfLi32ELi4ELi5ELb0EEvPKT_PKfPKiPfiiiiiiiiiiiiiiii
    .private_segment_fixed_size: 16
    .sgpr_count:     36
    .sgpr_spill_count: 0
    .symbol:         _ZL9mul_mat_fIfLi32ELi4ELi5ELb0EEvPKT_PKfPKiPfiiiiiiiiiiiiiiii.kd
    .uniform_work_group_size: 1
    .uses_dynamic_stack: false
    .vgpr_count:     38
    .vgpr_spill_count: 0
    .wavefront_size: 32
    .workgroup_processor_mode: 1
  - .args:
      - .actual_access:  read_only
        .address_space:  global
        .offset:         0
        .size:           8
        .value_kind:     global_buffer
      - .actual_access:  read_only
        .address_space:  global
        .offset:         8
        .size:           8
        .value_kind:     global_buffer
      - .actual_access:  read_only
        .address_space:  global
        .offset:         16
        .size:           8
        .value_kind:     global_buffer
      - .actual_access:  read_only
        .address_space:  global
        .offset:         24
        .size:           8
        .value_kind:     global_buffer
      - .actual_access:  read_only
        .address_space:  global
        .offset:         32
        .size:           8
        .value_kind:     global_buffer
      - .actual_access:  read_only
        .address_space:  global
        .offset:         40
        .size:           8
        .value_kind:     global_buffer
      - .offset:         48
        .size:           4
        .value_kind:     by_value
      - .offset:         52
        .size:           4
        .value_kind:     by_value
      - .offset:         56
        .size:           4
        .value_kind:     by_value
      - .offset:         60
        .size:           4
        .value_kind:     by_value
      - .offset:         64
        .size:           4
        .value_kind:     by_value
      - .offset:         68
        .size:           4
        .value_kind:     by_value
      - .offset:         72
        .size:           4
        .value_kind:     by_value
      - .offset:         76
        .size:           4
        .value_kind:     by_value
      - .offset:         80
        .size:           4
        .value_kind:     by_value
      - .offset:         84
        .size:           4
        .value_kind:     by_value
      - .offset:         88
        .size:           4
        .value_kind:     by_value
      - .offset:         92
        .size:           4
        .value_kind:     by_value
      - .offset:         96
        .size:           4
        .value_kind:     by_value
      - .offset:         100
        .size:           4
        .value_kind:     by_value
      - .offset:         104
        .size:           12
        .value_kind:     by_value
      - .offset:         116
        .size:           12
        .value_kind:     by_value
      - .offset:         128
        .size:           4
        .value_kind:     hidden_block_count_x
      - .offset:         132
        .size:           4
        .value_kind:     hidden_block_count_y
      - .offset:         136
        .size:           4
        .value_kind:     hidden_block_count_z
      - .offset:         140
        .size:           2
        .value_kind:     hidden_group_size_x
      - .offset:         142
        .size:           2
        .value_kind:     hidden_group_size_y
      - .offset:         144
        .size:           2
        .value_kind:     hidden_group_size_z
      - .offset:         146
        .size:           2
        .value_kind:     hidden_remainder_x
      - .offset:         148
        .size:           2
        .value_kind:     hidden_remainder_y
      - .offset:         150
        .size:           2
        .value_kind:     hidden_remainder_z
      - .offset:         168
        .size:           8
        .value_kind:     hidden_global_offset_x
      - .offset:         176
        .size:           8
        .value_kind:     hidden_global_offset_y
      - .offset:         184
        .size:           8
        .value_kind:     hidden_global_offset_z
      - .offset:         192
        .size:           2
        .value_kind:     hidden_grid_dims
      - .offset:         208
        .size:           8
        .value_kind:     hidden_hostcall_buffer
    .group_segment_fixed_size: 0
    .kernarg_segment_align: 8
    .kernarg_segment_size: 384
    .language:       OpenCL C
    .language_version:
      - 2
      - 0
    .max_flat_workgroup_size: 192
    .name:           _ZL13mul_mat_f_idsIfLi32ELi4ELi6EEvPKT_PKfPKiS6_S6_Pfiiiiiiiiiiiiii15HIP_vector_typeIjLj3EES9_
    .private_segment_fixed_size: 16
    .sgpr_count:     36
    .sgpr_spill_count: 0
    .symbol:         _ZL13mul_mat_f_idsIfLi32ELi4ELi6EEvPKT_PKfPKiS6_S6_Pfiiiiiiiiiiiiii15HIP_vector_typeIjLj3EES9_.kd
    .uniform_work_group_size: 1
    .uses_dynamic_stack: false
    .vgpr_count:     38
    .vgpr_spill_count: 0
    .wavefront_size: 32
    .workgroup_processor_mode: 1
  - .args:
      - .actual_access:  read_only
        .address_space:  global
        .offset:         0
        .size:           8
        .value_kind:     global_buffer
      - .actual_access:  read_only
        .address_space:  global
        .offset:         8
        .size:           8
        .value_kind:     global_buffer
      - .actual_access:  read_only
        .address_space:  global
        .offset:         16
        .size:           8
        .value_kind:     global_buffer
      - .actual_access:  read_only
        .address_space:  global
        .offset:         24
        .size:           8
        .value_kind:     global_buffer
      - .offset:         32
        .size:           4
        .value_kind:     by_value
      - .offset:         36
        .size:           4
        .value_kind:     by_value
      - .offset:         40
        .size:           4
        .value_kind:     by_value
      - .offset:         44
        .size:           4
        .value_kind:     by_value
      - .offset:         48
        .size:           4
        .value_kind:     by_value
      - .offset:         52
        .size:           4
        .value_kind:     by_value
      - .offset:         56
        .size:           4
        .value_kind:     by_value
      - .offset:         60
        .size:           4
        .value_kind:     by_value
      - .offset:         64
        .size:           4
        .value_kind:     by_value
      - .offset:         68
        .size:           4
        .value_kind:     by_value
      - .offset:         72
        .size:           4
        .value_kind:     by_value
      - .offset:         76
        .size:           4
        .value_kind:     by_value
      - .offset:         80
        .size:           4
        .value_kind:     by_value
      - .offset:         84
        .size:           4
        .value_kind:     by_value
      - .offset:         88
        .size:           4
        .value_kind:     by_value
      - .offset:         92
        .size:           4
        .value_kind:     by_value
      - .offset:         96
        .size:           4
        .value_kind:     hidden_block_count_x
      - .offset:         100
        .size:           4
        .value_kind:     hidden_block_count_y
      - .offset:         104
        .size:           4
        .value_kind:     hidden_block_count_z
      - .offset:         108
        .size:           2
        .value_kind:     hidden_group_size_x
      - .offset:         110
        .size:           2
        .value_kind:     hidden_group_size_y
      - .offset:         112
        .size:           2
        .value_kind:     hidden_group_size_z
      - .offset:         114
        .size:           2
        .value_kind:     hidden_remainder_x
      - .offset:         116
        .size:           2
        .value_kind:     hidden_remainder_y
      - .offset:         118
        .size:           2
        .value_kind:     hidden_remainder_z
      - .offset:         136
        .size:           8
        .value_kind:     hidden_global_offset_x
      - .offset:         144
        .size:           8
        .value_kind:     hidden_global_offset_y
      - .offset:         152
        .size:           8
        .value_kind:     hidden_global_offset_z
      - .offset:         160
        .size:           2
        .value_kind:     hidden_grid_dims
      - .offset:         176
        .size:           8
        .value_kind:     hidden_hostcall_buffer
    .group_segment_fixed_size: 0
    .kernarg_segment_align: 8
    .kernarg_segment_size: 352
    .language:       OpenCL C
    .language_version:
      - 2
      - 0
    .max_flat_workgroup_size: 192
    .name:           _ZL9mul_mat_fIfLi32ELi4ELi6ELb1EEvPKT_PKfPKiPfiiiiiiiiiiiiiiii
    .private_segment_fixed_size: 16
    .sgpr_count:     36
    .sgpr_spill_count: 0
    .symbol:         _ZL9mul_mat_fIfLi32ELi4ELi6ELb1EEvPKT_PKfPKiPfiiiiiiiiiiiiiiii.kd
    .uniform_work_group_size: 1
    .uses_dynamic_stack: false
    .vgpr_count:     38
    .vgpr_spill_count: 0
    .wavefront_size: 32
    .workgroup_processor_mode: 1
  - .args:
      - .actual_access:  read_only
        .address_space:  global
        .offset:         0
        .size:           8
        .value_kind:     global_buffer
      - .actual_access:  read_only
        .address_space:  global
        .offset:         8
        .size:           8
        .value_kind:     global_buffer
      - .actual_access:  read_only
        .address_space:  global
        .offset:         16
        .size:           8
        .value_kind:     global_buffer
      - .actual_access:  read_only
        .address_space:  global
        .offset:         24
        .size:           8
        .value_kind:     global_buffer
      - .offset:         32
        .size:           4
        .value_kind:     by_value
      - .offset:         36
        .size:           4
        .value_kind:     by_value
      - .offset:         40
        .size:           4
        .value_kind:     by_value
      - .offset:         44
        .size:           4
        .value_kind:     by_value
      - .offset:         48
        .size:           4
        .value_kind:     by_value
      - .offset:         52
        .size:           4
        .value_kind:     by_value
      - .offset:         56
        .size:           4
        .value_kind:     by_value
      - .offset:         60
        .size:           4
        .value_kind:     by_value
      - .offset:         64
        .size:           4
        .value_kind:     by_value
      - .offset:         68
        .size:           4
        .value_kind:     by_value
      - .offset:         72
        .size:           4
        .value_kind:     by_value
      - .offset:         76
        .size:           4
        .value_kind:     by_value
      - .offset:         80
        .size:           4
        .value_kind:     by_value
      - .offset:         84
        .size:           4
        .value_kind:     by_value
      - .offset:         88
        .size:           4
        .value_kind:     by_value
      - .offset:         92
        .size:           4
        .value_kind:     by_value
      - .offset:         96
        .size:           4
        .value_kind:     hidden_block_count_x
      - .offset:         100
        .size:           4
        .value_kind:     hidden_block_count_y
      - .offset:         104
        .size:           4
        .value_kind:     hidden_block_count_z
      - .offset:         108
        .size:           2
        .value_kind:     hidden_group_size_x
      - .offset:         110
        .size:           2
        .value_kind:     hidden_group_size_y
      - .offset:         112
        .size:           2
        .value_kind:     hidden_group_size_z
      - .offset:         114
        .size:           2
        .value_kind:     hidden_remainder_x
      - .offset:         116
        .size:           2
        .value_kind:     hidden_remainder_y
      - .offset:         118
        .size:           2
        .value_kind:     hidden_remainder_z
      - .offset:         136
        .size:           8
        .value_kind:     hidden_global_offset_x
      - .offset:         144
        .size:           8
        .value_kind:     hidden_global_offset_y
      - .offset:         152
        .size:           8
        .value_kind:     hidden_global_offset_z
      - .offset:         160
        .size:           2
        .value_kind:     hidden_grid_dims
      - .offset:         176
        .size:           8
        .value_kind:     hidden_hostcall_buffer
    .group_segment_fixed_size: 0
    .kernarg_segment_align: 8
    .kernarg_segment_size: 352
    .language:       OpenCL C
    .language_version:
      - 2
      - 0
    .max_flat_workgroup_size: 192
    .name:           _ZL9mul_mat_fIfLi32ELi4ELi6ELb0EEvPKT_PKfPKiPfiiiiiiiiiiiiiiii
    .private_segment_fixed_size: 16
    .sgpr_count:     36
    .sgpr_spill_count: 0
    .symbol:         _ZL9mul_mat_fIfLi32ELi4ELi6ELb0EEvPKT_PKfPKiPfiiiiiiiiiiiiiiii.kd
    .uniform_work_group_size: 1
    .uses_dynamic_stack: false
    .vgpr_count:     38
    .vgpr_spill_count: 0
    .wavefront_size: 32
    .workgroup_processor_mode: 1
  - .args:
      - .actual_access:  read_only
        .address_space:  global
        .offset:         0
        .size:           8
        .value_kind:     global_buffer
      - .actual_access:  read_only
        .address_space:  global
        .offset:         8
        .size:           8
        .value_kind:     global_buffer
      - .actual_access:  read_only
        .address_space:  global
        .offset:         16
        .size:           8
        .value_kind:     global_buffer
      - .actual_access:  read_only
        .address_space:  global
        .offset:         24
        .size:           8
        .value_kind:     global_buffer
      - .actual_access:  read_only
        .address_space:  global
        .offset:         32
        .size:           8
        .value_kind:     global_buffer
      - .actual_access:  read_only
        .address_space:  global
        .offset:         40
        .size:           8
        .value_kind:     global_buffer
      - .offset:         48
        .size:           4
        .value_kind:     by_value
      - .offset:         52
        .size:           4
        .value_kind:     by_value
      - .offset:         56
        .size:           4
        .value_kind:     by_value
      - .offset:         60
        .size:           4
        .value_kind:     by_value
      - .offset:         64
        .size:           4
        .value_kind:     by_value
      - .offset:         68
        .size:           4
        .value_kind:     by_value
      - .offset:         72
        .size:           4
        .value_kind:     by_value
      - .offset:         76
        .size:           4
        .value_kind:     by_value
      - .offset:         80
        .size:           4
        .value_kind:     by_value
      - .offset:         84
        .size:           4
        .value_kind:     by_value
      - .offset:         88
        .size:           4
        .value_kind:     by_value
      - .offset:         92
        .size:           4
        .value_kind:     by_value
      - .offset:         96
        .size:           4
        .value_kind:     by_value
      - .offset:         100
        .size:           4
        .value_kind:     by_value
      - .offset:         104
        .size:           12
        .value_kind:     by_value
      - .offset:         116
        .size:           12
        .value_kind:     by_value
      - .offset:         128
        .size:           4
        .value_kind:     hidden_block_count_x
      - .offset:         132
        .size:           4
        .value_kind:     hidden_block_count_y
      - .offset:         136
        .size:           4
        .value_kind:     hidden_block_count_z
      - .offset:         140
        .size:           2
        .value_kind:     hidden_group_size_x
      - .offset:         142
        .size:           2
        .value_kind:     hidden_group_size_y
      - .offset:         144
        .size:           2
        .value_kind:     hidden_group_size_z
      - .offset:         146
        .size:           2
        .value_kind:     hidden_remainder_x
      - .offset:         148
        .size:           2
        .value_kind:     hidden_remainder_y
      - .offset:         150
        .size:           2
        .value_kind:     hidden_remainder_z
      - .offset:         168
        .size:           8
        .value_kind:     hidden_global_offset_x
      - .offset:         176
        .size:           8
        .value_kind:     hidden_global_offset_y
      - .offset:         184
        .size:           8
        .value_kind:     hidden_global_offset_z
      - .offset:         192
        .size:           2
        .value_kind:     hidden_grid_dims
      - .offset:         208
        .size:           8
        .value_kind:     hidden_hostcall_buffer
    .group_segment_fixed_size: 0
    .kernarg_segment_align: 8
    .kernarg_segment_size: 384
    .language:       OpenCL C
    .language_version:
      - 2
      - 0
    .max_flat_workgroup_size: 224
    .name:           _ZL13mul_mat_f_idsIfLi32ELi4ELi7EEvPKT_PKfPKiS6_S6_Pfiiiiiiiiiiiiii15HIP_vector_typeIjLj3EES9_
    .private_segment_fixed_size: 16
    .sgpr_count:     36
    .sgpr_spill_count: 0
    .symbol:         _ZL13mul_mat_f_idsIfLi32ELi4ELi7EEvPKT_PKfPKiS6_S6_Pfiiiiiiiiiiiiii15HIP_vector_typeIjLj3EES9_.kd
    .uniform_work_group_size: 1
    .uses_dynamic_stack: false
    .vgpr_count:     38
    .vgpr_spill_count: 0
    .wavefront_size: 32
    .workgroup_processor_mode: 1
  - .args:
      - .actual_access:  read_only
        .address_space:  global
        .offset:         0
        .size:           8
        .value_kind:     global_buffer
      - .actual_access:  read_only
        .address_space:  global
        .offset:         8
        .size:           8
        .value_kind:     global_buffer
      - .actual_access:  read_only
        .address_space:  global
        .offset:         16
        .size:           8
        .value_kind:     global_buffer
      - .actual_access:  read_only
        .address_space:  global
        .offset:         24
        .size:           8
        .value_kind:     global_buffer
      - .offset:         32
        .size:           4
        .value_kind:     by_value
      - .offset:         36
        .size:           4
        .value_kind:     by_value
      - .offset:         40
        .size:           4
        .value_kind:     by_value
      - .offset:         44
        .size:           4
        .value_kind:     by_value
      - .offset:         48
        .size:           4
        .value_kind:     by_value
      - .offset:         52
        .size:           4
        .value_kind:     by_value
      - .offset:         56
        .size:           4
        .value_kind:     by_value
      - .offset:         60
        .size:           4
        .value_kind:     by_value
      - .offset:         64
        .size:           4
        .value_kind:     by_value
      - .offset:         68
        .size:           4
        .value_kind:     by_value
      - .offset:         72
        .size:           4
        .value_kind:     by_value
      - .offset:         76
        .size:           4
        .value_kind:     by_value
      - .offset:         80
        .size:           4
        .value_kind:     by_value
      - .offset:         84
        .size:           4
        .value_kind:     by_value
      - .offset:         88
        .size:           4
        .value_kind:     by_value
      - .offset:         92
        .size:           4
        .value_kind:     by_value
      - .offset:         96
        .size:           4
        .value_kind:     hidden_block_count_x
      - .offset:         100
        .size:           4
        .value_kind:     hidden_block_count_y
      - .offset:         104
        .size:           4
        .value_kind:     hidden_block_count_z
      - .offset:         108
        .size:           2
        .value_kind:     hidden_group_size_x
      - .offset:         110
        .size:           2
        .value_kind:     hidden_group_size_y
      - .offset:         112
        .size:           2
        .value_kind:     hidden_group_size_z
      - .offset:         114
        .size:           2
        .value_kind:     hidden_remainder_x
      - .offset:         116
        .size:           2
        .value_kind:     hidden_remainder_y
      - .offset:         118
        .size:           2
        .value_kind:     hidden_remainder_z
      - .offset:         136
        .size:           8
        .value_kind:     hidden_global_offset_x
      - .offset:         144
        .size:           8
        .value_kind:     hidden_global_offset_y
      - .offset:         152
        .size:           8
        .value_kind:     hidden_global_offset_z
      - .offset:         160
        .size:           2
        .value_kind:     hidden_grid_dims
      - .offset:         176
        .size:           8
        .value_kind:     hidden_hostcall_buffer
    .group_segment_fixed_size: 0
    .kernarg_segment_align: 8
    .kernarg_segment_size: 352
    .language:       OpenCL C
    .language_version:
      - 2
      - 0
    .max_flat_workgroup_size: 224
    .name:           _ZL9mul_mat_fIfLi32ELi4ELi7ELb1EEvPKT_PKfPKiPfiiiiiiiiiiiiiiii
    .private_segment_fixed_size: 16
    .sgpr_count:     36
    .sgpr_spill_count: 0
    .symbol:         _ZL9mul_mat_fIfLi32ELi4ELi7ELb1EEvPKT_PKfPKiPfiiiiiiiiiiiiiiii.kd
    .uniform_work_group_size: 1
    .uses_dynamic_stack: false
    .vgpr_count:     38
    .vgpr_spill_count: 0
    .wavefront_size: 32
    .workgroup_processor_mode: 1
  - .args:
      - .actual_access:  read_only
        .address_space:  global
        .offset:         0
        .size:           8
        .value_kind:     global_buffer
      - .actual_access:  read_only
        .address_space:  global
        .offset:         8
        .size:           8
        .value_kind:     global_buffer
      - .actual_access:  read_only
        .address_space:  global
        .offset:         16
        .size:           8
        .value_kind:     global_buffer
      - .actual_access:  read_only
        .address_space:  global
        .offset:         24
        .size:           8
        .value_kind:     global_buffer
      - .offset:         32
        .size:           4
        .value_kind:     by_value
      - .offset:         36
        .size:           4
        .value_kind:     by_value
      - .offset:         40
        .size:           4
        .value_kind:     by_value
      - .offset:         44
        .size:           4
        .value_kind:     by_value
      - .offset:         48
        .size:           4
        .value_kind:     by_value
      - .offset:         52
        .size:           4
        .value_kind:     by_value
      - .offset:         56
        .size:           4
        .value_kind:     by_value
      - .offset:         60
        .size:           4
        .value_kind:     by_value
      - .offset:         64
        .size:           4
        .value_kind:     by_value
      - .offset:         68
        .size:           4
        .value_kind:     by_value
      - .offset:         72
        .size:           4
        .value_kind:     by_value
      - .offset:         76
        .size:           4
        .value_kind:     by_value
      - .offset:         80
        .size:           4
        .value_kind:     by_value
      - .offset:         84
        .size:           4
        .value_kind:     by_value
      - .offset:         88
        .size:           4
        .value_kind:     by_value
      - .offset:         92
        .size:           4
        .value_kind:     by_value
      - .offset:         96
        .size:           4
        .value_kind:     hidden_block_count_x
      - .offset:         100
        .size:           4
        .value_kind:     hidden_block_count_y
      - .offset:         104
        .size:           4
        .value_kind:     hidden_block_count_z
      - .offset:         108
        .size:           2
        .value_kind:     hidden_group_size_x
      - .offset:         110
        .size:           2
        .value_kind:     hidden_group_size_y
      - .offset:         112
        .size:           2
        .value_kind:     hidden_group_size_z
      - .offset:         114
        .size:           2
        .value_kind:     hidden_remainder_x
      - .offset:         116
        .size:           2
        .value_kind:     hidden_remainder_y
      - .offset:         118
        .size:           2
        .value_kind:     hidden_remainder_z
      - .offset:         136
        .size:           8
        .value_kind:     hidden_global_offset_x
      - .offset:         144
        .size:           8
        .value_kind:     hidden_global_offset_y
      - .offset:         152
        .size:           8
        .value_kind:     hidden_global_offset_z
      - .offset:         160
        .size:           2
        .value_kind:     hidden_grid_dims
      - .offset:         176
        .size:           8
        .value_kind:     hidden_hostcall_buffer
    .group_segment_fixed_size: 0
    .kernarg_segment_align: 8
    .kernarg_segment_size: 352
    .language:       OpenCL C
    .language_version:
      - 2
      - 0
    .max_flat_workgroup_size: 224
    .name:           _ZL9mul_mat_fIfLi32ELi4ELi7ELb0EEvPKT_PKfPKiPfiiiiiiiiiiiiiiii
    .private_segment_fixed_size: 16
    .sgpr_count:     36
    .sgpr_spill_count: 0
    .symbol:         _ZL9mul_mat_fIfLi32ELi4ELi7ELb0EEvPKT_PKfPKiPfiiiiiiiiiiiiiiii.kd
    .uniform_work_group_size: 1
    .uses_dynamic_stack: false
    .vgpr_count:     38
    .vgpr_spill_count: 0
    .wavefront_size: 32
    .workgroup_processor_mode: 1
  - .args:
      - .actual_access:  read_only
        .address_space:  global
        .offset:         0
        .size:           8
        .value_kind:     global_buffer
      - .actual_access:  read_only
        .address_space:  global
        .offset:         8
        .size:           8
        .value_kind:     global_buffer
      - .actual_access:  read_only
        .address_space:  global
        .offset:         16
        .size:           8
        .value_kind:     global_buffer
      - .actual_access:  read_only
        .address_space:  global
        .offset:         24
        .size:           8
        .value_kind:     global_buffer
      - .actual_access:  read_only
        .address_space:  global
        .offset:         32
        .size:           8
        .value_kind:     global_buffer
      - .actual_access:  read_only
        .address_space:  global
        .offset:         40
        .size:           8
        .value_kind:     global_buffer
      - .offset:         48
        .size:           4
        .value_kind:     by_value
      - .offset:         52
        .size:           4
        .value_kind:     by_value
      - .offset:         56
        .size:           4
        .value_kind:     by_value
      - .offset:         60
        .size:           4
        .value_kind:     by_value
      - .offset:         64
        .size:           4
        .value_kind:     by_value
      - .offset:         68
        .size:           4
        .value_kind:     by_value
      - .offset:         72
        .size:           4
        .value_kind:     by_value
      - .offset:         76
        .size:           4
        .value_kind:     by_value
      - .offset:         80
        .size:           4
        .value_kind:     by_value
      - .offset:         84
        .size:           4
        .value_kind:     by_value
      - .offset:         88
        .size:           4
        .value_kind:     by_value
      - .offset:         92
        .size:           4
        .value_kind:     by_value
      - .offset:         96
        .size:           4
        .value_kind:     by_value
      - .offset:         100
        .size:           4
        .value_kind:     by_value
      - .offset:         104
        .size:           12
        .value_kind:     by_value
      - .offset:         116
        .size:           12
        .value_kind:     by_value
      - .offset:         128
        .size:           4
        .value_kind:     hidden_block_count_x
      - .offset:         132
        .size:           4
        .value_kind:     hidden_block_count_y
      - .offset:         136
        .size:           4
        .value_kind:     hidden_block_count_z
      - .offset:         140
        .size:           2
        .value_kind:     hidden_group_size_x
      - .offset:         142
        .size:           2
        .value_kind:     hidden_group_size_y
      - .offset:         144
        .size:           2
        .value_kind:     hidden_group_size_z
      - .offset:         146
        .size:           2
        .value_kind:     hidden_remainder_x
      - .offset:         148
        .size:           2
        .value_kind:     hidden_remainder_y
      - .offset:         150
        .size:           2
        .value_kind:     hidden_remainder_z
      - .offset:         168
        .size:           8
        .value_kind:     hidden_global_offset_x
      - .offset:         176
        .size:           8
        .value_kind:     hidden_global_offset_y
      - .offset:         184
        .size:           8
        .value_kind:     hidden_global_offset_z
      - .offset:         192
        .size:           2
        .value_kind:     hidden_grid_dims
      - .offset:         208
        .size:           8
        .value_kind:     hidden_hostcall_buffer
    .group_segment_fixed_size: 0
    .kernarg_segment_align: 8
    .kernarg_segment_size: 384
    .language:       OpenCL C
    .language_version:
      - 2
      - 0
    .max_flat_workgroup_size: 256
    .name:           _ZL13mul_mat_f_idsIfLi32ELi4ELi8EEvPKT_PKfPKiS6_S6_Pfiiiiiiiiiiiiii15HIP_vector_typeIjLj3EES9_
    .private_segment_fixed_size: 16
    .sgpr_count:     36
    .sgpr_spill_count: 0
    .symbol:         _ZL13mul_mat_f_idsIfLi32ELi4ELi8EEvPKT_PKfPKiS6_S6_Pfiiiiiiiiiiiiii15HIP_vector_typeIjLj3EES9_.kd
    .uniform_work_group_size: 1
    .uses_dynamic_stack: false
    .vgpr_count:     38
    .vgpr_spill_count: 0
    .wavefront_size: 32
    .workgroup_processor_mode: 1
  - .args:
      - .actual_access:  read_only
        .address_space:  global
        .offset:         0
        .size:           8
        .value_kind:     global_buffer
      - .actual_access:  read_only
        .address_space:  global
        .offset:         8
        .size:           8
        .value_kind:     global_buffer
      - .actual_access:  read_only
        .address_space:  global
        .offset:         16
        .size:           8
        .value_kind:     global_buffer
      - .actual_access:  read_only
        .address_space:  global
        .offset:         24
        .size:           8
        .value_kind:     global_buffer
      - .offset:         32
        .size:           4
        .value_kind:     by_value
      - .offset:         36
        .size:           4
        .value_kind:     by_value
      - .offset:         40
        .size:           4
        .value_kind:     by_value
      - .offset:         44
        .size:           4
        .value_kind:     by_value
      - .offset:         48
        .size:           4
        .value_kind:     by_value
      - .offset:         52
        .size:           4
        .value_kind:     by_value
      - .offset:         56
        .size:           4
        .value_kind:     by_value
      - .offset:         60
        .size:           4
        .value_kind:     by_value
      - .offset:         64
        .size:           4
        .value_kind:     by_value
      - .offset:         68
        .size:           4
        .value_kind:     by_value
      - .offset:         72
        .size:           4
        .value_kind:     by_value
      - .offset:         76
        .size:           4
        .value_kind:     by_value
      - .offset:         80
        .size:           4
        .value_kind:     by_value
      - .offset:         84
        .size:           4
        .value_kind:     by_value
      - .offset:         88
        .size:           4
        .value_kind:     by_value
      - .offset:         92
        .size:           4
        .value_kind:     by_value
      - .offset:         96
        .size:           4
        .value_kind:     hidden_block_count_x
      - .offset:         100
        .size:           4
        .value_kind:     hidden_block_count_y
      - .offset:         104
        .size:           4
        .value_kind:     hidden_block_count_z
      - .offset:         108
        .size:           2
        .value_kind:     hidden_group_size_x
      - .offset:         110
        .size:           2
        .value_kind:     hidden_group_size_y
      - .offset:         112
        .size:           2
        .value_kind:     hidden_group_size_z
      - .offset:         114
        .size:           2
        .value_kind:     hidden_remainder_x
      - .offset:         116
        .size:           2
        .value_kind:     hidden_remainder_y
      - .offset:         118
        .size:           2
        .value_kind:     hidden_remainder_z
      - .offset:         136
        .size:           8
        .value_kind:     hidden_global_offset_x
      - .offset:         144
        .size:           8
        .value_kind:     hidden_global_offset_y
      - .offset:         152
        .size:           8
        .value_kind:     hidden_global_offset_z
      - .offset:         160
        .size:           2
        .value_kind:     hidden_grid_dims
      - .offset:         176
        .size:           8
        .value_kind:     hidden_hostcall_buffer
    .group_segment_fixed_size: 0
    .kernarg_segment_align: 8
    .kernarg_segment_size: 352
    .language:       OpenCL C
    .language_version:
      - 2
      - 0
    .max_flat_workgroup_size: 256
    .name:           _ZL9mul_mat_fIfLi32ELi4ELi8ELb1EEvPKT_PKfPKiPfiiiiiiiiiiiiiiii
    .private_segment_fixed_size: 16
    .sgpr_count:     36
    .sgpr_spill_count: 0
    .symbol:         _ZL9mul_mat_fIfLi32ELi4ELi8ELb1EEvPKT_PKfPKiPfiiiiiiiiiiiiiiii.kd
    .uniform_work_group_size: 1
    .uses_dynamic_stack: false
    .vgpr_count:     38
    .vgpr_spill_count: 0
    .wavefront_size: 32
    .workgroup_processor_mode: 1
  - .args:
      - .actual_access:  read_only
        .address_space:  global
        .offset:         0
        .size:           8
        .value_kind:     global_buffer
      - .actual_access:  read_only
        .address_space:  global
        .offset:         8
        .size:           8
        .value_kind:     global_buffer
      - .actual_access:  read_only
        .address_space:  global
        .offset:         16
        .size:           8
        .value_kind:     global_buffer
      - .actual_access:  read_only
        .address_space:  global
        .offset:         24
        .size:           8
        .value_kind:     global_buffer
      - .offset:         32
        .size:           4
        .value_kind:     by_value
      - .offset:         36
        .size:           4
        .value_kind:     by_value
      - .offset:         40
        .size:           4
        .value_kind:     by_value
      - .offset:         44
        .size:           4
        .value_kind:     by_value
      - .offset:         48
        .size:           4
        .value_kind:     by_value
      - .offset:         52
        .size:           4
        .value_kind:     by_value
      - .offset:         56
        .size:           4
        .value_kind:     by_value
      - .offset:         60
        .size:           4
        .value_kind:     by_value
      - .offset:         64
        .size:           4
        .value_kind:     by_value
      - .offset:         68
        .size:           4
        .value_kind:     by_value
      - .offset:         72
        .size:           4
        .value_kind:     by_value
      - .offset:         76
        .size:           4
        .value_kind:     by_value
      - .offset:         80
        .size:           4
        .value_kind:     by_value
      - .offset:         84
        .size:           4
        .value_kind:     by_value
      - .offset:         88
        .size:           4
        .value_kind:     by_value
      - .offset:         92
        .size:           4
        .value_kind:     by_value
      - .offset:         96
        .size:           4
        .value_kind:     hidden_block_count_x
      - .offset:         100
        .size:           4
        .value_kind:     hidden_block_count_y
      - .offset:         104
        .size:           4
        .value_kind:     hidden_block_count_z
      - .offset:         108
        .size:           2
        .value_kind:     hidden_group_size_x
      - .offset:         110
        .size:           2
        .value_kind:     hidden_group_size_y
      - .offset:         112
        .size:           2
        .value_kind:     hidden_group_size_z
      - .offset:         114
        .size:           2
        .value_kind:     hidden_remainder_x
      - .offset:         116
        .size:           2
        .value_kind:     hidden_remainder_y
      - .offset:         118
        .size:           2
        .value_kind:     hidden_remainder_z
      - .offset:         136
        .size:           8
        .value_kind:     hidden_global_offset_x
      - .offset:         144
        .size:           8
        .value_kind:     hidden_global_offset_y
      - .offset:         152
        .size:           8
        .value_kind:     hidden_global_offset_z
      - .offset:         160
        .size:           2
        .value_kind:     hidden_grid_dims
      - .offset:         176
        .size:           8
        .value_kind:     hidden_hostcall_buffer
    .group_segment_fixed_size: 0
    .kernarg_segment_align: 8
    .kernarg_segment_size: 352
    .language:       OpenCL C
    .language_version:
      - 2
      - 0
    .max_flat_workgroup_size: 256
    .name:           _ZL9mul_mat_fIfLi32ELi4ELi8ELb0EEvPKT_PKfPKiPfiiiiiiiiiiiiiiii
    .private_segment_fixed_size: 16
    .sgpr_count:     36
    .sgpr_spill_count: 0
    .symbol:         _ZL9mul_mat_fIfLi32ELi4ELi8ELb0EEvPKT_PKfPKiPfiiiiiiiiiiiiiiii.kd
    .uniform_work_group_size: 1
    .uses_dynamic_stack: false
    .vgpr_count:     38
    .vgpr_spill_count: 0
    .wavefront_size: 32
    .workgroup_processor_mode: 1
  - .args:
      - .actual_access:  read_only
        .address_space:  global
        .offset:         0
        .size:           8
        .value_kind:     global_buffer
      - .actual_access:  read_only
        .address_space:  global
        .offset:         8
        .size:           8
        .value_kind:     global_buffer
      - .actual_access:  read_only
        .address_space:  global
        .offset:         16
        .size:           8
        .value_kind:     global_buffer
      - .actual_access:  read_only
        .address_space:  global
        .offset:         24
        .size:           8
        .value_kind:     global_buffer
      - .actual_access:  read_only
        .address_space:  global
        .offset:         32
        .size:           8
        .value_kind:     global_buffer
      - .actual_access:  write_only
        .address_space:  global
        .offset:         40
        .size:           8
        .value_kind:     global_buffer
      - .offset:         48
        .size:           4
        .value_kind:     by_value
      - .offset:         52
        .size:           4
        .value_kind:     by_value
      - .offset:         56
        .size:           4
        .value_kind:     by_value
      - .offset:         60
        .size:           4
        .value_kind:     by_value
      - .offset:         64
        .size:           4
        .value_kind:     by_value
      - .offset:         68
        .size:           4
        .value_kind:     by_value
      - .offset:         72
        .size:           4
        .value_kind:     by_value
      - .offset:         76
        .size:           4
        .value_kind:     by_value
      - .offset:         80
        .size:           4
        .value_kind:     by_value
      - .offset:         84
        .size:           4
        .value_kind:     by_value
      - .offset:         88
        .size:           4
        .value_kind:     by_value
      - .offset:         92
        .size:           4
        .value_kind:     by_value
      - .offset:         96
        .size:           4
        .value_kind:     by_value
      - .offset:         100
        .size:           4
        .value_kind:     by_value
      - .offset:         104
        .size:           12
        .value_kind:     by_value
      - .offset:         116
        .size:           12
        .value_kind:     by_value
    .group_segment_fixed_size: 0
    .kernarg_segment_align: 8
    .kernarg_segment_size: 128
    .language:       OpenCL C
    .language_version:
      - 2
      - 0
    .max_flat_workgroup_size: 32
    .name:           _ZL13mul_mat_f_idsI7__half2Li32ELi4ELi1EEvPKT_PKfPKiS7_S7_Pfiiiiiiiiiiiiii15HIP_vector_typeIjLj3EESA_
    .private_segment_fixed_size: 0
    .sgpr_count:     76
    .sgpr_spill_count: 0
    .symbol:         _ZL13mul_mat_f_idsI7__half2Li32ELi4ELi1EEvPKT_PKfPKiS7_S7_Pfiiiiiiiiiiiiii15HIP_vector_typeIjLj3EESA_.kd
    .uniform_work_group_size: 1
    .uses_dynamic_stack: false
    .vgpr_count:     74
    .vgpr_spill_count: 0
    .wavefront_size: 32
    .workgroup_processor_mode: 1
  - .args:
      - .actual_access:  read_only
        .address_space:  global
        .offset:         0
        .size:           8
        .value_kind:     global_buffer
      - .actual_access:  read_only
        .address_space:  global
        .offset:         8
        .size:           8
        .value_kind:     global_buffer
      - .actual_access:  read_only
        .address_space:  global
        .offset:         16
        .size:           8
        .value_kind:     global_buffer
      - .actual_access:  write_only
        .address_space:  global
        .offset:         24
        .size:           8
        .value_kind:     global_buffer
      - .offset:         32
        .size:           4
        .value_kind:     by_value
      - .offset:         36
        .size:           4
        .value_kind:     by_value
      - .offset:         40
        .size:           4
        .value_kind:     by_value
      - .offset:         44
        .size:           4
        .value_kind:     by_value
      - .offset:         48
        .size:           4
        .value_kind:     by_value
      - .offset:         52
        .size:           4
        .value_kind:     by_value
      - .offset:         56
        .size:           4
        .value_kind:     by_value
      - .offset:         60
        .size:           4
        .value_kind:     by_value
      - .offset:         64
        .size:           4
        .value_kind:     by_value
      - .offset:         68
        .size:           4
        .value_kind:     by_value
      - .offset:         72
        .size:           4
        .value_kind:     by_value
      - .offset:         76
        .size:           4
        .value_kind:     by_value
      - .offset:         80
        .size:           4
        .value_kind:     by_value
      - .offset:         84
        .size:           4
        .value_kind:     by_value
      - .offset:         88
        .size:           4
        .value_kind:     by_value
      - .offset:         92
        .size:           4
        .value_kind:     by_value
      - .offset:         96
        .size:           4
        .value_kind:     hidden_block_count_x
      - .offset:         100
        .size:           4
        .value_kind:     hidden_block_count_y
      - .offset:         104
        .size:           4
        .value_kind:     hidden_block_count_z
      - .offset:         108
        .size:           2
        .value_kind:     hidden_group_size_x
      - .offset:         110
        .size:           2
        .value_kind:     hidden_group_size_y
      - .offset:         112
        .size:           2
        .value_kind:     hidden_group_size_z
      - .offset:         114
        .size:           2
        .value_kind:     hidden_remainder_x
      - .offset:         116
        .size:           2
        .value_kind:     hidden_remainder_y
      - .offset:         118
        .size:           2
        .value_kind:     hidden_remainder_z
      - .offset:         136
        .size:           8
        .value_kind:     hidden_global_offset_x
      - .offset:         144
        .size:           8
        .value_kind:     hidden_global_offset_y
      - .offset:         152
        .size:           8
        .value_kind:     hidden_global_offset_z
      - .offset:         160
        .size:           2
        .value_kind:     hidden_grid_dims
      - .offset:         216
        .size:           4
        .value_kind:     hidden_dynamic_lds_size
    .group_segment_fixed_size: 256
    .kernarg_segment_align: 8
    .kernarg_segment_size: 352
    .language:       OpenCL C
    .language_version:
      - 2
      - 0
    .max_flat_workgroup_size: 32
    .name:           _ZL9mul_mat_fI7__half2Li32ELi4ELi1ELb1EEvPKT_PKfPKiPfiiiiiiiiiiiiiiii
    .private_segment_fixed_size: 0
    .sgpr_count:     74
    .sgpr_spill_count: 0
    .symbol:         _ZL9mul_mat_fI7__half2Li32ELi4ELi1ELb1EEvPKT_PKfPKiPfiiiiiiiiiiiiiiii.kd
    .uniform_work_group_size: 1
    .uses_dynamic_stack: false
    .vgpr_count:     84
    .vgpr_spill_count: 0
    .wavefront_size: 32
    .workgroup_processor_mode: 1
  - .args:
      - .actual_access:  read_only
        .address_space:  global
        .offset:         0
        .size:           8
        .value_kind:     global_buffer
      - .actual_access:  read_only
        .address_space:  global
        .offset:         8
        .size:           8
        .value_kind:     global_buffer
      - .actual_access:  read_only
        .address_space:  global
        .offset:         16
        .size:           8
        .value_kind:     global_buffer
      - .actual_access:  write_only
        .address_space:  global
        .offset:         24
        .size:           8
        .value_kind:     global_buffer
      - .offset:         32
        .size:           4
        .value_kind:     by_value
      - .offset:         36
        .size:           4
        .value_kind:     by_value
      - .offset:         40
        .size:           4
        .value_kind:     by_value
      - .offset:         44
        .size:           4
        .value_kind:     by_value
      - .offset:         48
        .size:           4
        .value_kind:     by_value
      - .offset:         52
        .size:           4
        .value_kind:     by_value
      - .offset:         56
        .size:           4
        .value_kind:     by_value
      - .offset:         60
        .size:           4
        .value_kind:     by_value
      - .offset:         64
        .size:           4
        .value_kind:     by_value
      - .offset:         68
        .size:           4
        .value_kind:     by_value
      - .offset:         72
        .size:           4
        .value_kind:     by_value
      - .offset:         76
        .size:           4
        .value_kind:     by_value
      - .offset:         80
        .size:           4
        .value_kind:     by_value
      - .offset:         84
        .size:           4
        .value_kind:     by_value
      - .offset:         88
        .size:           4
        .value_kind:     by_value
      - .offset:         92
        .size:           4
        .value_kind:     by_value
    .group_segment_fixed_size: 0
    .kernarg_segment_align: 8
    .kernarg_segment_size: 96
    .language:       OpenCL C
    .language_version:
      - 2
      - 0
    .max_flat_workgroup_size: 32
    .name:           _ZL9mul_mat_fI7__half2Li32ELi4ELi1ELb0EEvPKT_PKfPKiPfiiiiiiiiiiiiiiii
    .private_segment_fixed_size: 0
    .sgpr_count:     70
    .sgpr_spill_count: 0
    .symbol:         _ZL9mul_mat_fI7__half2Li32ELi4ELi1ELb0EEvPKT_PKfPKiPfiiiiiiiiiiiiiiii.kd
    .uniform_work_group_size: 1
    .uses_dynamic_stack: false
    .vgpr_count:     69
    .vgpr_spill_count: 0
    .wavefront_size: 32
    .workgroup_processor_mode: 1
  - .args:
      - .actual_access:  read_only
        .address_space:  global
        .offset:         0
        .size:           8
        .value_kind:     global_buffer
      - .actual_access:  read_only
        .address_space:  global
        .offset:         8
        .size:           8
        .value_kind:     global_buffer
      - .actual_access:  read_only
        .address_space:  global
        .offset:         16
        .size:           8
        .value_kind:     global_buffer
      - .actual_access:  read_only
        .address_space:  global
        .offset:         24
        .size:           8
        .value_kind:     global_buffer
      - .actual_access:  read_only
        .address_space:  global
        .offset:         32
        .size:           8
        .value_kind:     global_buffer
      - .actual_access:  write_only
        .address_space:  global
        .offset:         40
        .size:           8
        .value_kind:     global_buffer
      - .offset:         48
        .size:           4
        .value_kind:     by_value
      - .offset:         52
        .size:           4
        .value_kind:     by_value
      - .offset:         56
        .size:           4
        .value_kind:     by_value
      - .offset:         60
        .size:           4
        .value_kind:     by_value
      - .offset:         64
        .size:           4
        .value_kind:     by_value
      - .offset:         68
        .size:           4
        .value_kind:     by_value
      - .offset:         72
        .size:           4
        .value_kind:     by_value
      - .offset:         76
        .size:           4
        .value_kind:     by_value
      - .offset:         80
        .size:           4
        .value_kind:     by_value
      - .offset:         84
        .size:           4
        .value_kind:     by_value
      - .offset:         88
        .size:           4
        .value_kind:     by_value
      - .offset:         92
        .size:           4
        .value_kind:     by_value
      - .offset:         96
        .size:           4
        .value_kind:     by_value
      - .offset:         100
        .size:           4
        .value_kind:     by_value
      - .offset:         104
        .size:           12
        .value_kind:     by_value
      - .offset:         116
        .size:           12
        .value_kind:     by_value
    .group_segment_fixed_size: 0
    .kernarg_segment_align: 8
    .kernarg_segment_size: 128
    .language:       OpenCL C
    .language_version:
      - 2
      - 0
    .max_flat_workgroup_size: 64
    .name:           _ZL13mul_mat_f_idsI7__half2Li32ELi4ELi2EEvPKT_PKfPKiS7_S7_Pfiiiiiiiiiiiiii15HIP_vector_typeIjLj3EESA_
    .private_segment_fixed_size: 0
    .sgpr_count:     76
    .sgpr_spill_count: 0
    .symbol:         _ZL13mul_mat_f_idsI7__half2Li32ELi4ELi2EEvPKT_PKfPKiS7_S7_Pfiiiiiiiiiiiiii15HIP_vector_typeIjLj3EESA_.kd
    .uniform_work_group_size: 1
    .uses_dynamic_stack: false
    .vgpr_count:     74
    .vgpr_spill_count: 0
    .wavefront_size: 32
    .workgroup_processor_mode: 1
  - .args:
      - .actual_access:  read_only
        .address_space:  global
        .offset:         0
        .size:           8
        .value_kind:     global_buffer
      - .actual_access:  read_only
        .address_space:  global
        .offset:         8
        .size:           8
        .value_kind:     global_buffer
      - .actual_access:  read_only
        .address_space:  global
        .offset:         16
        .size:           8
        .value_kind:     global_buffer
      - .actual_access:  write_only
        .address_space:  global
        .offset:         24
        .size:           8
        .value_kind:     global_buffer
      - .offset:         32
        .size:           4
        .value_kind:     by_value
      - .offset:         36
        .size:           4
        .value_kind:     by_value
      - .offset:         40
        .size:           4
        .value_kind:     by_value
      - .offset:         44
        .size:           4
        .value_kind:     by_value
      - .offset:         48
        .size:           4
        .value_kind:     by_value
      - .offset:         52
        .size:           4
        .value_kind:     by_value
      - .offset:         56
        .size:           4
        .value_kind:     by_value
      - .offset:         60
        .size:           4
        .value_kind:     by_value
      - .offset:         64
        .size:           4
        .value_kind:     by_value
      - .offset:         68
        .size:           4
        .value_kind:     by_value
      - .offset:         72
        .size:           4
        .value_kind:     by_value
      - .offset:         76
        .size:           4
        .value_kind:     by_value
      - .offset:         80
        .size:           4
        .value_kind:     by_value
      - .offset:         84
        .size:           4
        .value_kind:     by_value
      - .offset:         88
        .size:           4
        .value_kind:     by_value
      - .offset:         92
        .size:           4
        .value_kind:     by_value
      - .offset:         96
        .size:           4
        .value_kind:     hidden_block_count_x
      - .offset:         100
        .size:           4
        .value_kind:     hidden_block_count_y
      - .offset:         104
        .size:           4
        .value_kind:     hidden_block_count_z
      - .offset:         108
        .size:           2
        .value_kind:     hidden_group_size_x
      - .offset:         110
        .size:           2
        .value_kind:     hidden_group_size_y
      - .offset:         112
        .size:           2
        .value_kind:     hidden_group_size_z
      - .offset:         114
        .size:           2
        .value_kind:     hidden_remainder_x
      - .offset:         116
        .size:           2
        .value_kind:     hidden_remainder_y
      - .offset:         118
        .size:           2
        .value_kind:     hidden_remainder_z
      - .offset:         136
        .size:           8
        .value_kind:     hidden_global_offset_x
      - .offset:         144
        .size:           8
        .value_kind:     hidden_global_offset_y
      - .offset:         152
        .size:           8
        .value_kind:     hidden_global_offset_z
      - .offset:         160
        .size:           2
        .value_kind:     hidden_grid_dims
      - .offset:         216
        .size:           4
        .value_kind:     hidden_dynamic_lds_size
    .group_segment_fixed_size: 256
    .kernarg_segment_align: 8
    .kernarg_segment_size: 352
    .language:       OpenCL C
    .language_version:
      - 2
      - 0
    .max_flat_workgroup_size: 64
    .name:           _ZL9mul_mat_fI7__half2Li32ELi4ELi2ELb1EEvPKT_PKfPKiPfiiiiiiiiiiiiiiii
    .private_segment_fixed_size: 0
    .sgpr_count:     72
    .sgpr_spill_count: 0
    .symbol:         _ZL9mul_mat_fI7__half2Li32ELi4ELi2ELb1EEvPKT_PKfPKiPfiiiiiiiiiiiiiiii.kd
    .uniform_work_group_size: 1
    .uses_dynamic_stack: false
    .vgpr_count:     81
    .vgpr_spill_count: 0
    .wavefront_size: 32
    .workgroup_processor_mode: 1
  - .args:
      - .actual_access:  read_only
        .address_space:  global
        .offset:         0
        .size:           8
        .value_kind:     global_buffer
      - .actual_access:  read_only
        .address_space:  global
        .offset:         8
        .size:           8
        .value_kind:     global_buffer
      - .actual_access:  read_only
        .address_space:  global
        .offset:         16
        .size:           8
        .value_kind:     global_buffer
      - .actual_access:  write_only
        .address_space:  global
        .offset:         24
        .size:           8
        .value_kind:     global_buffer
      - .offset:         32
        .size:           4
        .value_kind:     by_value
      - .offset:         36
        .size:           4
        .value_kind:     by_value
      - .offset:         40
        .size:           4
        .value_kind:     by_value
      - .offset:         44
        .size:           4
        .value_kind:     by_value
      - .offset:         48
        .size:           4
        .value_kind:     by_value
      - .offset:         52
        .size:           4
        .value_kind:     by_value
      - .offset:         56
        .size:           4
        .value_kind:     by_value
      - .offset:         60
        .size:           4
        .value_kind:     by_value
      - .offset:         64
        .size:           4
        .value_kind:     by_value
      - .offset:         68
        .size:           4
        .value_kind:     by_value
      - .offset:         72
        .size:           4
        .value_kind:     by_value
      - .offset:         76
        .size:           4
        .value_kind:     by_value
      - .offset:         80
        .size:           4
        .value_kind:     by_value
      - .offset:         84
        .size:           4
        .value_kind:     by_value
      - .offset:         88
        .size:           4
        .value_kind:     by_value
      - .offset:         92
        .size:           4
        .value_kind:     by_value
    .group_segment_fixed_size: 0
    .kernarg_segment_align: 8
    .kernarg_segment_size: 96
    .language:       OpenCL C
    .language_version:
      - 2
      - 0
    .max_flat_workgroup_size: 64
    .name:           _ZL9mul_mat_fI7__half2Li32ELi4ELi2ELb0EEvPKT_PKfPKiPfiiiiiiiiiiiiiiii
    .private_segment_fixed_size: 0
    .sgpr_count:     70
    .sgpr_spill_count: 0
    .symbol:         _ZL9mul_mat_fI7__half2Li32ELi4ELi2ELb0EEvPKT_PKfPKiPfiiiiiiiiiiiiiiii.kd
    .uniform_work_group_size: 1
    .uses_dynamic_stack: false
    .vgpr_count:     69
    .vgpr_spill_count: 0
    .wavefront_size: 32
    .workgroup_processor_mode: 1
  - .args:
      - .actual_access:  read_only
        .address_space:  global
        .offset:         0
        .size:           8
        .value_kind:     global_buffer
      - .actual_access:  read_only
        .address_space:  global
        .offset:         8
        .size:           8
        .value_kind:     global_buffer
      - .actual_access:  read_only
        .address_space:  global
        .offset:         16
        .size:           8
        .value_kind:     global_buffer
      - .actual_access:  read_only
        .address_space:  global
        .offset:         24
        .size:           8
        .value_kind:     global_buffer
      - .actual_access:  read_only
        .address_space:  global
        .offset:         32
        .size:           8
        .value_kind:     global_buffer
      - .actual_access:  write_only
        .address_space:  global
        .offset:         40
        .size:           8
        .value_kind:     global_buffer
      - .offset:         48
        .size:           4
        .value_kind:     by_value
      - .offset:         52
        .size:           4
        .value_kind:     by_value
      - .offset:         56
        .size:           4
        .value_kind:     by_value
      - .offset:         60
        .size:           4
        .value_kind:     by_value
      - .offset:         64
        .size:           4
        .value_kind:     by_value
      - .offset:         68
        .size:           4
        .value_kind:     by_value
      - .offset:         72
        .size:           4
        .value_kind:     by_value
      - .offset:         76
        .size:           4
        .value_kind:     by_value
      - .offset:         80
        .size:           4
        .value_kind:     by_value
      - .offset:         84
        .size:           4
        .value_kind:     by_value
      - .offset:         88
        .size:           4
        .value_kind:     by_value
      - .offset:         92
        .size:           4
        .value_kind:     by_value
      - .offset:         96
        .size:           4
        .value_kind:     by_value
      - .offset:         100
        .size:           4
        .value_kind:     by_value
      - .offset:         104
        .size:           12
        .value_kind:     by_value
      - .offset:         116
        .size:           12
        .value_kind:     by_value
    .group_segment_fixed_size: 0
    .kernarg_segment_align: 8
    .kernarg_segment_size: 128
    .language:       OpenCL C
    .language_version:
      - 2
      - 0
    .max_flat_workgroup_size: 96
    .name:           _ZL13mul_mat_f_idsI7__half2Li32ELi4ELi3EEvPKT_PKfPKiS7_S7_Pfiiiiiiiiiiiiii15HIP_vector_typeIjLj3EESA_
    .private_segment_fixed_size: 0
    .sgpr_count:     76
    .sgpr_spill_count: 0
    .symbol:         _ZL13mul_mat_f_idsI7__half2Li32ELi4ELi3EEvPKT_PKfPKiS7_S7_Pfiiiiiiiiiiiiii15HIP_vector_typeIjLj3EESA_.kd
    .uniform_work_group_size: 1
    .uses_dynamic_stack: false
    .vgpr_count:     74
    .vgpr_spill_count: 0
    .wavefront_size: 32
    .workgroup_processor_mode: 1
  - .args:
      - .actual_access:  read_only
        .address_space:  global
        .offset:         0
        .size:           8
        .value_kind:     global_buffer
      - .actual_access:  read_only
        .address_space:  global
        .offset:         8
        .size:           8
        .value_kind:     global_buffer
      - .actual_access:  read_only
        .address_space:  global
        .offset:         16
        .size:           8
        .value_kind:     global_buffer
      - .actual_access:  write_only
        .address_space:  global
        .offset:         24
        .size:           8
        .value_kind:     global_buffer
      - .offset:         32
        .size:           4
        .value_kind:     by_value
      - .offset:         36
        .size:           4
        .value_kind:     by_value
      - .offset:         40
        .size:           4
        .value_kind:     by_value
      - .offset:         44
        .size:           4
        .value_kind:     by_value
      - .offset:         48
        .size:           4
        .value_kind:     by_value
      - .offset:         52
        .size:           4
        .value_kind:     by_value
      - .offset:         56
        .size:           4
        .value_kind:     by_value
      - .offset:         60
        .size:           4
        .value_kind:     by_value
      - .offset:         64
        .size:           4
        .value_kind:     by_value
      - .offset:         68
        .size:           4
        .value_kind:     by_value
      - .offset:         72
        .size:           4
        .value_kind:     by_value
      - .offset:         76
        .size:           4
        .value_kind:     by_value
      - .offset:         80
        .size:           4
        .value_kind:     by_value
      - .offset:         84
        .size:           4
        .value_kind:     by_value
      - .offset:         88
        .size:           4
        .value_kind:     by_value
      - .offset:         92
        .size:           4
        .value_kind:     by_value
      - .offset:         96
        .size:           4
        .value_kind:     hidden_block_count_x
      - .offset:         100
        .size:           4
        .value_kind:     hidden_block_count_y
      - .offset:         104
        .size:           4
        .value_kind:     hidden_block_count_z
      - .offset:         108
        .size:           2
        .value_kind:     hidden_group_size_x
      - .offset:         110
        .size:           2
        .value_kind:     hidden_group_size_y
      - .offset:         112
        .size:           2
        .value_kind:     hidden_group_size_z
      - .offset:         114
        .size:           2
        .value_kind:     hidden_remainder_x
      - .offset:         116
        .size:           2
        .value_kind:     hidden_remainder_y
      - .offset:         118
        .size:           2
        .value_kind:     hidden_remainder_z
      - .offset:         136
        .size:           8
        .value_kind:     hidden_global_offset_x
      - .offset:         144
        .size:           8
        .value_kind:     hidden_global_offset_y
      - .offset:         152
        .size:           8
        .value_kind:     hidden_global_offset_z
      - .offset:         160
        .size:           2
        .value_kind:     hidden_grid_dims
      - .offset:         216
        .size:           4
        .value_kind:     hidden_dynamic_lds_size
    .group_segment_fixed_size: 256
    .kernarg_segment_align: 8
    .kernarg_segment_size: 352
    .language:       OpenCL C
    .language_version:
      - 2
      - 0
    .max_flat_workgroup_size: 96
    .name:           _ZL9mul_mat_fI7__half2Li32ELi4ELi3ELb1EEvPKT_PKfPKiPfiiiiiiiiiiiiiiii
    .private_segment_fixed_size: 0
    .sgpr_count:     72
    .sgpr_spill_count: 0
    .symbol:         _ZL9mul_mat_fI7__half2Li32ELi4ELi3ELb1EEvPKT_PKfPKiPfiiiiiiiiiiiiiiii.kd
    .uniform_work_group_size: 1
    .uses_dynamic_stack: false
    .vgpr_count:     80
    .vgpr_spill_count: 0
    .wavefront_size: 32
    .workgroup_processor_mode: 1
  - .args:
      - .actual_access:  read_only
        .address_space:  global
        .offset:         0
        .size:           8
        .value_kind:     global_buffer
      - .actual_access:  read_only
        .address_space:  global
        .offset:         8
        .size:           8
        .value_kind:     global_buffer
      - .actual_access:  read_only
        .address_space:  global
        .offset:         16
        .size:           8
        .value_kind:     global_buffer
      - .actual_access:  write_only
        .address_space:  global
        .offset:         24
        .size:           8
        .value_kind:     global_buffer
      - .offset:         32
        .size:           4
        .value_kind:     by_value
      - .offset:         36
        .size:           4
        .value_kind:     by_value
      - .offset:         40
        .size:           4
        .value_kind:     by_value
      - .offset:         44
        .size:           4
        .value_kind:     by_value
      - .offset:         48
        .size:           4
        .value_kind:     by_value
      - .offset:         52
        .size:           4
        .value_kind:     by_value
      - .offset:         56
        .size:           4
        .value_kind:     by_value
      - .offset:         60
        .size:           4
        .value_kind:     by_value
      - .offset:         64
        .size:           4
        .value_kind:     by_value
      - .offset:         68
        .size:           4
        .value_kind:     by_value
      - .offset:         72
        .size:           4
        .value_kind:     by_value
      - .offset:         76
        .size:           4
        .value_kind:     by_value
      - .offset:         80
        .size:           4
        .value_kind:     by_value
      - .offset:         84
        .size:           4
        .value_kind:     by_value
      - .offset:         88
        .size:           4
        .value_kind:     by_value
      - .offset:         92
        .size:           4
        .value_kind:     by_value
    .group_segment_fixed_size: 0
    .kernarg_segment_align: 8
    .kernarg_segment_size: 96
    .language:       OpenCL C
    .language_version:
      - 2
      - 0
    .max_flat_workgroup_size: 96
    .name:           _ZL9mul_mat_fI7__half2Li32ELi4ELi3ELb0EEvPKT_PKfPKiPfiiiiiiiiiiiiiiii
    .private_segment_fixed_size: 0
    .sgpr_count:     70
    .sgpr_spill_count: 0
    .symbol:         _ZL9mul_mat_fI7__half2Li32ELi4ELi3ELb0EEvPKT_PKfPKiPfiiiiiiiiiiiiiiii.kd
    .uniform_work_group_size: 1
    .uses_dynamic_stack: false
    .vgpr_count:     68
    .vgpr_spill_count: 0
    .wavefront_size: 32
    .workgroup_processor_mode: 1
  - .args:
      - .actual_access:  read_only
        .address_space:  global
        .offset:         0
        .size:           8
        .value_kind:     global_buffer
      - .actual_access:  read_only
        .address_space:  global
        .offset:         8
        .size:           8
        .value_kind:     global_buffer
      - .actual_access:  read_only
        .address_space:  global
        .offset:         16
        .size:           8
        .value_kind:     global_buffer
      - .actual_access:  read_only
        .address_space:  global
        .offset:         24
        .size:           8
        .value_kind:     global_buffer
      - .actual_access:  read_only
        .address_space:  global
        .offset:         32
        .size:           8
        .value_kind:     global_buffer
      - .actual_access:  write_only
        .address_space:  global
        .offset:         40
        .size:           8
        .value_kind:     global_buffer
      - .offset:         48
        .size:           4
        .value_kind:     by_value
      - .offset:         52
        .size:           4
        .value_kind:     by_value
      - .offset:         56
        .size:           4
        .value_kind:     by_value
      - .offset:         60
        .size:           4
        .value_kind:     by_value
      - .offset:         64
        .size:           4
        .value_kind:     by_value
      - .offset:         68
        .size:           4
        .value_kind:     by_value
      - .offset:         72
        .size:           4
        .value_kind:     by_value
      - .offset:         76
        .size:           4
        .value_kind:     by_value
      - .offset:         80
        .size:           4
        .value_kind:     by_value
      - .offset:         84
        .size:           4
        .value_kind:     by_value
      - .offset:         88
        .size:           4
        .value_kind:     by_value
      - .offset:         92
        .size:           4
        .value_kind:     by_value
      - .offset:         96
        .size:           4
        .value_kind:     by_value
      - .offset:         100
        .size:           4
        .value_kind:     by_value
      - .offset:         104
        .size:           12
        .value_kind:     by_value
      - .offset:         116
        .size:           12
        .value_kind:     by_value
    .group_segment_fixed_size: 0
    .kernarg_segment_align: 8
    .kernarg_segment_size: 128
    .language:       OpenCL C
    .language_version:
      - 2
      - 0
    .max_flat_workgroup_size: 128
    .name:           _ZL13mul_mat_f_idsI7__half2Li32ELi4ELi4EEvPKT_PKfPKiS7_S7_Pfiiiiiiiiiiiiii15HIP_vector_typeIjLj3EESA_
    .private_segment_fixed_size: 0
    .sgpr_count:     76
    .sgpr_spill_count: 0
    .symbol:         _ZL13mul_mat_f_idsI7__half2Li32ELi4ELi4EEvPKT_PKfPKiS7_S7_Pfiiiiiiiiiiiiii15HIP_vector_typeIjLj3EESA_.kd
    .uniform_work_group_size: 1
    .uses_dynamic_stack: false
    .vgpr_count:     74
    .vgpr_spill_count: 0
    .wavefront_size: 32
    .workgroup_processor_mode: 1
  - .args:
      - .actual_access:  read_only
        .address_space:  global
        .offset:         0
        .size:           8
        .value_kind:     global_buffer
      - .actual_access:  read_only
        .address_space:  global
        .offset:         8
        .size:           8
        .value_kind:     global_buffer
      - .actual_access:  read_only
        .address_space:  global
        .offset:         16
        .size:           8
        .value_kind:     global_buffer
      - .actual_access:  write_only
        .address_space:  global
        .offset:         24
        .size:           8
        .value_kind:     global_buffer
      - .offset:         32
        .size:           4
        .value_kind:     by_value
      - .offset:         36
        .size:           4
        .value_kind:     by_value
      - .offset:         40
        .size:           4
        .value_kind:     by_value
      - .offset:         44
        .size:           4
        .value_kind:     by_value
      - .offset:         48
        .size:           4
        .value_kind:     by_value
      - .offset:         52
        .size:           4
        .value_kind:     by_value
      - .offset:         56
        .size:           4
        .value_kind:     by_value
      - .offset:         60
        .size:           4
        .value_kind:     by_value
      - .offset:         64
        .size:           4
        .value_kind:     by_value
      - .offset:         68
        .size:           4
        .value_kind:     by_value
      - .offset:         72
        .size:           4
        .value_kind:     by_value
      - .offset:         76
        .size:           4
        .value_kind:     by_value
      - .offset:         80
        .size:           4
        .value_kind:     by_value
      - .offset:         84
        .size:           4
        .value_kind:     by_value
      - .offset:         88
        .size:           4
        .value_kind:     by_value
      - .offset:         92
        .size:           4
        .value_kind:     by_value
      - .offset:         96
        .size:           4
        .value_kind:     hidden_block_count_x
      - .offset:         100
        .size:           4
        .value_kind:     hidden_block_count_y
      - .offset:         104
        .size:           4
        .value_kind:     hidden_block_count_z
      - .offset:         108
        .size:           2
        .value_kind:     hidden_group_size_x
      - .offset:         110
        .size:           2
        .value_kind:     hidden_group_size_y
      - .offset:         112
        .size:           2
        .value_kind:     hidden_group_size_z
      - .offset:         114
        .size:           2
        .value_kind:     hidden_remainder_x
      - .offset:         116
        .size:           2
        .value_kind:     hidden_remainder_y
      - .offset:         118
        .size:           2
        .value_kind:     hidden_remainder_z
      - .offset:         136
        .size:           8
        .value_kind:     hidden_global_offset_x
      - .offset:         144
        .size:           8
        .value_kind:     hidden_global_offset_y
      - .offset:         152
        .size:           8
        .value_kind:     hidden_global_offset_z
      - .offset:         160
        .size:           2
        .value_kind:     hidden_grid_dims
      - .offset:         216
        .size:           4
        .value_kind:     hidden_dynamic_lds_size
    .group_segment_fixed_size: 256
    .kernarg_segment_align: 8
    .kernarg_segment_size: 352
    .language:       OpenCL C
    .language_version:
      - 2
      - 0
    .max_flat_workgroup_size: 128
    .name:           _ZL9mul_mat_fI7__half2Li32ELi4ELi4ELb1EEvPKT_PKfPKiPfiiiiiiiiiiiiiiii
    .private_segment_fixed_size: 0
    .sgpr_count:     70
    .sgpr_spill_count: 0
    .symbol:         _ZL9mul_mat_fI7__half2Li32ELi4ELi4ELb1EEvPKT_PKfPKiPfiiiiiiiiiiiiiiii.kd
    .uniform_work_group_size: 1
    .uses_dynamic_stack: false
    .vgpr_count:     83
    .vgpr_spill_count: 0
    .wavefront_size: 32
    .workgroup_processor_mode: 1
  - .args:
      - .actual_access:  read_only
        .address_space:  global
        .offset:         0
        .size:           8
        .value_kind:     global_buffer
      - .actual_access:  read_only
        .address_space:  global
        .offset:         8
        .size:           8
        .value_kind:     global_buffer
      - .actual_access:  read_only
        .address_space:  global
        .offset:         16
        .size:           8
        .value_kind:     global_buffer
      - .actual_access:  write_only
        .address_space:  global
        .offset:         24
        .size:           8
        .value_kind:     global_buffer
      - .offset:         32
        .size:           4
        .value_kind:     by_value
      - .offset:         36
        .size:           4
        .value_kind:     by_value
      - .offset:         40
        .size:           4
        .value_kind:     by_value
      - .offset:         44
        .size:           4
        .value_kind:     by_value
      - .offset:         48
        .size:           4
        .value_kind:     by_value
      - .offset:         52
        .size:           4
        .value_kind:     by_value
      - .offset:         56
        .size:           4
        .value_kind:     by_value
      - .offset:         60
        .size:           4
        .value_kind:     by_value
      - .offset:         64
        .size:           4
        .value_kind:     by_value
      - .offset:         68
        .size:           4
        .value_kind:     by_value
      - .offset:         72
        .size:           4
        .value_kind:     by_value
      - .offset:         76
        .size:           4
        .value_kind:     by_value
      - .offset:         80
        .size:           4
        .value_kind:     by_value
      - .offset:         84
        .size:           4
        .value_kind:     by_value
      - .offset:         88
        .size:           4
        .value_kind:     by_value
      - .offset:         92
        .size:           4
        .value_kind:     by_value
    .group_segment_fixed_size: 0
    .kernarg_segment_align: 8
    .kernarg_segment_size: 96
    .language:       OpenCL C
    .language_version:
      - 2
      - 0
    .max_flat_workgroup_size: 128
    .name:           _ZL9mul_mat_fI7__half2Li32ELi4ELi4ELb0EEvPKT_PKfPKiPfiiiiiiiiiiiiiiii
    .private_segment_fixed_size: 0
    .sgpr_count:     70
    .sgpr_spill_count: 0
    .symbol:         _ZL9mul_mat_fI7__half2Li32ELi4ELi4ELb0EEvPKT_PKfPKiPfiiiiiiiiiiiiiiii.kd
    .uniform_work_group_size: 1
    .uses_dynamic_stack: false
    .vgpr_count:     69
    .vgpr_spill_count: 0
    .wavefront_size: 32
    .workgroup_processor_mode: 1
  - .args:
      - .actual_access:  read_only
        .address_space:  global
        .offset:         0
        .size:           8
        .value_kind:     global_buffer
      - .actual_access:  read_only
        .address_space:  global
        .offset:         8
        .size:           8
        .value_kind:     global_buffer
      - .actual_access:  read_only
        .address_space:  global
        .offset:         16
        .size:           8
        .value_kind:     global_buffer
      - .actual_access:  read_only
        .address_space:  global
        .offset:         24
        .size:           8
        .value_kind:     global_buffer
      - .actual_access:  read_only
        .address_space:  global
        .offset:         32
        .size:           8
        .value_kind:     global_buffer
      - .actual_access:  write_only
        .address_space:  global
        .offset:         40
        .size:           8
        .value_kind:     global_buffer
      - .offset:         48
        .size:           4
        .value_kind:     by_value
      - .offset:         52
        .size:           4
        .value_kind:     by_value
      - .offset:         56
        .size:           4
        .value_kind:     by_value
      - .offset:         60
        .size:           4
        .value_kind:     by_value
      - .offset:         64
        .size:           4
        .value_kind:     by_value
      - .offset:         68
        .size:           4
        .value_kind:     by_value
      - .offset:         72
        .size:           4
        .value_kind:     by_value
      - .offset:         76
        .size:           4
        .value_kind:     by_value
      - .offset:         80
        .size:           4
        .value_kind:     by_value
      - .offset:         84
        .size:           4
        .value_kind:     by_value
      - .offset:         88
        .size:           4
        .value_kind:     by_value
      - .offset:         92
        .size:           4
        .value_kind:     by_value
      - .offset:         96
        .size:           4
        .value_kind:     by_value
      - .offset:         100
        .size:           4
        .value_kind:     by_value
      - .offset:         104
        .size:           12
        .value_kind:     by_value
      - .offset:         116
        .size:           12
        .value_kind:     by_value
    .group_segment_fixed_size: 0
    .kernarg_segment_align: 8
    .kernarg_segment_size: 128
    .language:       OpenCL C
    .language_version:
      - 2
      - 0
    .max_flat_workgroup_size: 160
    .name:           _ZL13mul_mat_f_idsI7__half2Li32ELi4ELi5EEvPKT_PKfPKiS7_S7_Pfiiiiiiiiiiiiii15HIP_vector_typeIjLj3EESA_
    .private_segment_fixed_size: 0
    .sgpr_count:     76
    .sgpr_spill_count: 0
    .symbol:         _ZL13mul_mat_f_idsI7__half2Li32ELi4ELi5EEvPKT_PKfPKiS7_S7_Pfiiiiiiiiiiiiii15HIP_vector_typeIjLj3EESA_.kd
    .uniform_work_group_size: 1
    .uses_dynamic_stack: false
    .vgpr_count:     74
    .vgpr_spill_count: 0
    .wavefront_size: 32
    .workgroup_processor_mode: 1
  - .args:
      - .actual_access:  read_only
        .address_space:  global
        .offset:         0
        .size:           8
        .value_kind:     global_buffer
      - .actual_access:  read_only
        .address_space:  global
        .offset:         8
        .size:           8
        .value_kind:     global_buffer
      - .actual_access:  read_only
        .address_space:  global
        .offset:         16
        .size:           8
        .value_kind:     global_buffer
      - .actual_access:  write_only
        .address_space:  global
        .offset:         24
        .size:           8
        .value_kind:     global_buffer
      - .offset:         32
        .size:           4
        .value_kind:     by_value
      - .offset:         36
        .size:           4
        .value_kind:     by_value
      - .offset:         40
        .size:           4
        .value_kind:     by_value
      - .offset:         44
        .size:           4
        .value_kind:     by_value
      - .offset:         48
        .size:           4
        .value_kind:     by_value
      - .offset:         52
        .size:           4
        .value_kind:     by_value
      - .offset:         56
        .size:           4
        .value_kind:     by_value
      - .offset:         60
        .size:           4
        .value_kind:     by_value
      - .offset:         64
        .size:           4
        .value_kind:     by_value
      - .offset:         68
        .size:           4
        .value_kind:     by_value
      - .offset:         72
        .size:           4
        .value_kind:     by_value
      - .offset:         76
        .size:           4
        .value_kind:     by_value
      - .offset:         80
        .size:           4
        .value_kind:     by_value
      - .offset:         84
        .size:           4
        .value_kind:     by_value
      - .offset:         88
        .size:           4
        .value_kind:     by_value
      - .offset:         92
        .size:           4
        .value_kind:     by_value
      - .offset:         96
        .size:           4
        .value_kind:     hidden_block_count_x
      - .offset:         100
        .size:           4
        .value_kind:     hidden_block_count_y
      - .offset:         104
        .size:           4
        .value_kind:     hidden_block_count_z
      - .offset:         108
        .size:           2
        .value_kind:     hidden_group_size_x
      - .offset:         110
        .size:           2
        .value_kind:     hidden_group_size_y
      - .offset:         112
        .size:           2
        .value_kind:     hidden_group_size_z
      - .offset:         114
        .size:           2
        .value_kind:     hidden_remainder_x
      - .offset:         116
        .size:           2
        .value_kind:     hidden_remainder_y
      - .offset:         118
        .size:           2
        .value_kind:     hidden_remainder_z
      - .offset:         136
        .size:           8
        .value_kind:     hidden_global_offset_x
      - .offset:         144
        .size:           8
        .value_kind:     hidden_global_offset_y
      - .offset:         152
        .size:           8
        .value_kind:     hidden_global_offset_z
      - .offset:         160
        .size:           2
        .value_kind:     hidden_grid_dims
      - .offset:         216
        .size:           4
        .value_kind:     hidden_dynamic_lds_size
    .group_segment_fixed_size: 256
    .kernarg_segment_align: 8
    .kernarg_segment_size: 352
    .language:       OpenCL C
    .language_version:
      - 2
      - 0
    .max_flat_workgroup_size: 160
    .name:           _ZL9mul_mat_fI7__half2Li32ELi4ELi5ELb1EEvPKT_PKfPKiPfiiiiiiiiiiiiiiii
    .private_segment_fixed_size: 0
    .sgpr_count:     70
    .sgpr_spill_count: 0
    .symbol:         _ZL9mul_mat_fI7__half2Li32ELi4ELi5ELb1EEvPKT_PKfPKiPfiiiiiiiiiiiiiiii.kd
    .uniform_work_group_size: 1
    .uses_dynamic_stack: false
    .vgpr_count:     80
    .vgpr_spill_count: 0
    .wavefront_size: 32
    .workgroup_processor_mode: 1
  - .args:
      - .actual_access:  read_only
        .address_space:  global
        .offset:         0
        .size:           8
        .value_kind:     global_buffer
      - .actual_access:  read_only
        .address_space:  global
        .offset:         8
        .size:           8
        .value_kind:     global_buffer
      - .actual_access:  read_only
        .address_space:  global
        .offset:         16
        .size:           8
        .value_kind:     global_buffer
      - .actual_access:  write_only
        .address_space:  global
        .offset:         24
        .size:           8
        .value_kind:     global_buffer
      - .offset:         32
        .size:           4
        .value_kind:     by_value
      - .offset:         36
        .size:           4
        .value_kind:     by_value
      - .offset:         40
        .size:           4
        .value_kind:     by_value
      - .offset:         44
        .size:           4
        .value_kind:     by_value
      - .offset:         48
        .size:           4
        .value_kind:     by_value
      - .offset:         52
        .size:           4
        .value_kind:     by_value
      - .offset:         56
        .size:           4
        .value_kind:     by_value
      - .offset:         60
        .size:           4
        .value_kind:     by_value
      - .offset:         64
        .size:           4
        .value_kind:     by_value
      - .offset:         68
        .size:           4
        .value_kind:     by_value
      - .offset:         72
        .size:           4
        .value_kind:     by_value
      - .offset:         76
        .size:           4
        .value_kind:     by_value
      - .offset:         80
        .size:           4
        .value_kind:     by_value
      - .offset:         84
        .size:           4
        .value_kind:     by_value
      - .offset:         88
        .size:           4
        .value_kind:     by_value
      - .offset:         92
        .size:           4
        .value_kind:     by_value
    .group_segment_fixed_size: 0
    .kernarg_segment_align: 8
    .kernarg_segment_size: 96
    .language:       OpenCL C
    .language_version:
      - 2
      - 0
    .max_flat_workgroup_size: 160
    .name:           _ZL9mul_mat_fI7__half2Li32ELi4ELi5ELb0EEvPKT_PKfPKiPfiiiiiiiiiiiiiiii
    .private_segment_fixed_size: 0
    .sgpr_count:     70
    .sgpr_spill_count: 0
    .symbol:         _ZL9mul_mat_fI7__half2Li32ELi4ELi5ELb0EEvPKT_PKfPKiPfiiiiiiiiiiiiiiii.kd
    .uniform_work_group_size: 1
    .uses_dynamic_stack: false
    .vgpr_count:     69
    .vgpr_spill_count: 0
    .wavefront_size: 32
    .workgroup_processor_mode: 1
  - .args:
      - .actual_access:  read_only
        .address_space:  global
        .offset:         0
        .size:           8
        .value_kind:     global_buffer
      - .actual_access:  read_only
        .address_space:  global
        .offset:         8
        .size:           8
        .value_kind:     global_buffer
      - .actual_access:  read_only
        .address_space:  global
        .offset:         16
        .size:           8
        .value_kind:     global_buffer
      - .actual_access:  read_only
        .address_space:  global
        .offset:         24
        .size:           8
        .value_kind:     global_buffer
      - .actual_access:  read_only
        .address_space:  global
        .offset:         32
        .size:           8
        .value_kind:     global_buffer
      - .actual_access:  write_only
        .address_space:  global
        .offset:         40
        .size:           8
        .value_kind:     global_buffer
      - .offset:         48
        .size:           4
        .value_kind:     by_value
      - .offset:         52
        .size:           4
        .value_kind:     by_value
      - .offset:         56
        .size:           4
        .value_kind:     by_value
      - .offset:         60
        .size:           4
        .value_kind:     by_value
      - .offset:         64
        .size:           4
        .value_kind:     by_value
      - .offset:         68
        .size:           4
        .value_kind:     by_value
      - .offset:         72
        .size:           4
        .value_kind:     by_value
      - .offset:         76
        .size:           4
        .value_kind:     by_value
      - .offset:         80
        .size:           4
        .value_kind:     by_value
      - .offset:         84
        .size:           4
        .value_kind:     by_value
      - .offset:         88
        .size:           4
        .value_kind:     by_value
      - .offset:         92
        .size:           4
        .value_kind:     by_value
      - .offset:         96
        .size:           4
        .value_kind:     by_value
      - .offset:         100
        .size:           4
        .value_kind:     by_value
      - .offset:         104
        .size:           12
        .value_kind:     by_value
      - .offset:         116
        .size:           12
        .value_kind:     by_value
    .group_segment_fixed_size: 0
    .kernarg_segment_align: 8
    .kernarg_segment_size: 128
    .language:       OpenCL C
    .language_version:
      - 2
      - 0
    .max_flat_workgroup_size: 192
    .name:           _ZL13mul_mat_f_idsI7__half2Li32ELi4ELi6EEvPKT_PKfPKiS7_S7_Pfiiiiiiiiiiiiii15HIP_vector_typeIjLj3EESA_
    .private_segment_fixed_size: 0
    .sgpr_count:     76
    .sgpr_spill_count: 0
    .symbol:         _ZL13mul_mat_f_idsI7__half2Li32ELi4ELi6EEvPKT_PKfPKiS7_S7_Pfiiiiiiiiiiiiii15HIP_vector_typeIjLj3EESA_.kd
    .uniform_work_group_size: 1
    .uses_dynamic_stack: false
    .vgpr_count:     74
    .vgpr_spill_count: 0
    .wavefront_size: 32
    .workgroup_processor_mode: 1
  - .args:
      - .actual_access:  read_only
        .address_space:  global
        .offset:         0
        .size:           8
        .value_kind:     global_buffer
      - .actual_access:  read_only
        .address_space:  global
        .offset:         8
        .size:           8
        .value_kind:     global_buffer
      - .actual_access:  read_only
        .address_space:  global
        .offset:         16
        .size:           8
        .value_kind:     global_buffer
      - .actual_access:  write_only
        .address_space:  global
        .offset:         24
        .size:           8
        .value_kind:     global_buffer
      - .offset:         32
        .size:           4
        .value_kind:     by_value
      - .offset:         36
        .size:           4
        .value_kind:     by_value
      - .offset:         40
        .size:           4
        .value_kind:     by_value
      - .offset:         44
        .size:           4
        .value_kind:     by_value
      - .offset:         48
        .size:           4
        .value_kind:     by_value
      - .offset:         52
        .size:           4
        .value_kind:     by_value
      - .offset:         56
        .size:           4
        .value_kind:     by_value
      - .offset:         60
        .size:           4
        .value_kind:     by_value
      - .offset:         64
        .size:           4
        .value_kind:     by_value
      - .offset:         68
        .size:           4
        .value_kind:     by_value
      - .offset:         72
        .size:           4
        .value_kind:     by_value
      - .offset:         76
        .size:           4
        .value_kind:     by_value
      - .offset:         80
        .size:           4
        .value_kind:     by_value
      - .offset:         84
        .size:           4
        .value_kind:     by_value
      - .offset:         88
        .size:           4
        .value_kind:     by_value
      - .offset:         92
        .size:           4
        .value_kind:     by_value
      - .offset:         96
        .size:           4
        .value_kind:     hidden_block_count_x
      - .offset:         100
        .size:           4
        .value_kind:     hidden_block_count_y
      - .offset:         104
        .size:           4
        .value_kind:     hidden_block_count_z
      - .offset:         108
        .size:           2
        .value_kind:     hidden_group_size_x
      - .offset:         110
        .size:           2
        .value_kind:     hidden_group_size_y
      - .offset:         112
        .size:           2
        .value_kind:     hidden_group_size_z
      - .offset:         114
        .size:           2
        .value_kind:     hidden_remainder_x
      - .offset:         116
        .size:           2
        .value_kind:     hidden_remainder_y
      - .offset:         118
        .size:           2
        .value_kind:     hidden_remainder_z
      - .offset:         136
        .size:           8
        .value_kind:     hidden_global_offset_x
      - .offset:         144
        .size:           8
        .value_kind:     hidden_global_offset_y
      - .offset:         152
        .size:           8
        .value_kind:     hidden_global_offset_z
      - .offset:         160
        .size:           2
        .value_kind:     hidden_grid_dims
      - .offset:         216
        .size:           4
        .value_kind:     hidden_dynamic_lds_size
    .group_segment_fixed_size: 256
    .kernarg_segment_align: 8
    .kernarg_segment_size: 352
    .language:       OpenCL C
    .language_version:
      - 2
      - 0
    .max_flat_workgroup_size: 192
    .name:           _ZL9mul_mat_fI7__half2Li32ELi4ELi6ELb1EEvPKT_PKfPKiPfiiiiiiiiiiiiiiii
    .private_segment_fixed_size: 0
    .sgpr_count:     70
    .sgpr_spill_count: 0
    .symbol:         _ZL9mul_mat_fI7__half2Li32ELi4ELi6ELb1EEvPKT_PKfPKiPfiiiiiiiiiiiiiiii.kd
    .uniform_work_group_size: 1
    .uses_dynamic_stack: false
    .vgpr_count:     80
    .vgpr_spill_count: 0
    .wavefront_size: 32
    .workgroup_processor_mode: 1
  - .args:
      - .actual_access:  read_only
        .address_space:  global
        .offset:         0
        .size:           8
        .value_kind:     global_buffer
      - .actual_access:  read_only
        .address_space:  global
        .offset:         8
        .size:           8
        .value_kind:     global_buffer
      - .actual_access:  read_only
        .address_space:  global
        .offset:         16
        .size:           8
        .value_kind:     global_buffer
      - .actual_access:  write_only
        .address_space:  global
        .offset:         24
        .size:           8
        .value_kind:     global_buffer
      - .offset:         32
        .size:           4
        .value_kind:     by_value
      - .offset:         36
        .size:           4
        .value_kind:     by_value
      - .offset:         40
        .size:           4
        .value_kind:     by_value
      - .offset:         44
        .size:           4
        .value_kind:     by_value
      - .offset:         48
        .size:           4
        .value_kind:     by_value
      - .offset:         52
        .size:           4
        .value_kind:     by_value
      - .offset:         56
        .size:           4
        .value_kind:     by_value
      - .offset:         60
        .size:           4
        .value_kind:     by_value
      - .offset:         64
        .size:           4
        .value_kind:     by_value
      - .offset:         68
        .size:           4
        .value_kind:     by_value
      - .offset:         72
        .size:           4
        .value_kind:     by_value
      - .offset:         76
        .size:           4
        .value_kind:     by_value
      - .offset:         80
        .size:           4
        .value_kind:     by_value
      - .offset:         84
        .size:           4
        .value_kind:     by_value
      - .offset:         88
        .size:           4
        .value_kind:     by_value
      - .offset:         92
        .size:           4
        .value_kind:     by_value
    .group_segment_fixed_size: 0
    .kernarg_segment_align: 8
    .kernarg_segment_size: 96
    .language:       OpenCL C
    .language_version:
      - 2
      - 0
    .max_flat_workgroup_size: 192
    .name:           _ZL9mul_mat_fI7__half2Li32ELi4ELi6ELb0EEvPKT_PKfPKiPfiiiiiiiiiiiiiiii
    .private_segment_fixed_size: 0
    .sgpr_count:     70
    .sgpr_spill_count: 0
    .symbol:         _ZL9mul_mat_fI7__half2Li32ELi4ELi6ELb0EEvPKT_PKfPKiPfiiiiiiiiiiiiiiii.kd
    .uniform_work_group_size: 1
    .uses_dynamic_stack: false
    .vgpr_count:     69
    .vgpr_spill_count: 0
    .wavefront_size: 32
    .workgroup_processor_mode: 1
  - .args:
      - .actual_access:  read_only
        .address_space:  global
        .offset:         0
        .size:           8
        .value_kind:     global_buffer
      - .actual_access:  read_only
        .address_space:  global
        .offset:         8
        .size:           8
        .value_kind:     global_buffer
      - .actual_access:  read_only
        .address_space:  global
        .offset:         16
        .size:           8
        .value_kind:     global_buffer
      - .actual_access:  read_only
        .address_space:  global
        .offset:         24
        .size:           8
        .value_kind:     global_buffer
      - .actual_access:  read_only
        .address_space:  global
        .offset:         32
        .size:           8
        .value_kind:     global_buffer
      - .actual_access:  write_only
        .address_space:  global
        .offset:         40
        .size:           8
        .value_kind:     global_buffer
      - .offset:         48
        .size:           4
        .value_kind:     by_value
      - .offset:         52
        .size:           4
        .value_kind:     by_value
      - .offset:         56
        .size:           4
        .value_kind:     by_value
      - .offset:         60
        .size:           4
        .value_kind:     by_value
      - .offset:         64
        .size:           4
        .value_kind:     by_value
      - .offset:         68
        .size:           4
        .value_kind:     by_value
      - .offset:         72
        .size:           4
        .value_kind:     by_value
      - .offset:         76
        .size:           4
        .value_kind:     by_value
      - .offset:         80
        .size:           4
        .value_kind:     by_value
      - .offset:         84
        .size:           4
        .value_kind:     by_value
      - .offset:         88
        .size:           4
        .value_kind:     by_value
      - .offset:         92
        .size:           4
        .value_kind:     by_value
      - .offset:         96
        .size:           4
        .value_kind:     by_value
      - .offset:         100
        .size:           4
        .value_kind:     by_value
      - .offset:         104
        .size:           12
        .value_kind:     by_value
      - .offset:         116
        .size:           12
        .value_kind:     by_value
    .group_segment_fixed_size: 0
    .kernarg_segment_align: 8
    .kernarg_segment_size: 128
    .language:       OpenCL C
    .language_version:
      - 2
      - 0
    .max_flat_workgroup_size: 224
    .name:           _ZL13mul_mat_f_idsI7__half2Li32ELi4ELi7EEvPKT_PKfPKiS7_S7_Pfiiiiiiiiiiiiii15HIP_vector_typeIjLj3EESA_
    .private_segment_fixed_size: 0
    .sgpr_count:     76
    .sgpr_spill_count: 0
    .symbol:         _ZL13mul_mat_f_idsI7__half2Li32ELi4ELi7EEvPKT_PKfPKiS7_S7_Pfiiiiiiiiiiiiii15HIP_vector_typeIjLj3EESA_.kd
    .uniform_work_group_size: 1
    .uses_dynamic_stack: false
    .vgpr_count:     74
    .vgpr_spill_count: 0
    .wavefront_size: 32
    .workgroup_processor_mode: 1
  - .args:
      - .actual_access:  read_only
        .address_space:  global
        .offset:         0
        .size:           8
        .value_kind:     global_buffer
      - .actual_access:  read_only
        .address_space:  global
        .offset:         8
        .size:           8
        .value_kind:     global_buffer
      - .actual_access:  read_only
        .address_space:  global
        .offset:         16
        .size:           8
        .value_kind:     global_buffer
      - .actual_access:  write_only
        .address_space:  global
        .offset:         24
        .size:           8
        .value_kind:     global_buffer
      - .offset:         32
        .size:           4
        .value_kind:     by_value
      - .offset:         36
        .size:           4
        .value_kind:     by_value
      - .offset:         40
        .size:           4
        .value_kind:     by_value
      - .offset:         44
        .size:           4
        .value_kind:     by_value
      - .offset:         48
        .size:           4
        .value_kind:     by_value
      - .offset:         52
        .size:           4
        .value_kind:     by_value
      - .offset:         56
        .size:           4
        .value_kind:     by_value
      - .offset:         60
        .size:           4
        .value_kind:     by_value
      - .offset:         64
        .size:           4
        .value_kind:     by_value
      - .offset:         68
        .size:           4
        .value_kind:     by_value
      - .offset:         72
        .size:           4
        .value_kind:     by_value
      - .offset:         76
        .size:           4
        .value_kind:     by_value
      - .offset:         80
        .size:           4
        .value_kind:     by_value
      - .offset:         84
        .size:           4
        .value_kind:     by_value
      - .offset:         88
        .size:           4
        .value_kind:     by_value
      - .offset:         92
        .size:           4
        .value_kind:     by_value
      - .offset:         96
        .size:           4
        .value_kind:     hidden_block_count_x
      - .offset:         100
        .size:           4
        .value_kind:     hidden_block_count_y
      - .offset:         104
        .size:           4
        .value_kind:     hidden_block_count_z
      - .offset:         108
        .size:           2
        .value_kind:     hidden_group_size_x
      - .offset:         110
        .size:           2
        .value_kind:     hidden_group_size_y
      - .offset:         112
        .size:           2
        .value_kind:     hidden_group_size_z
      - .offset:         114
        .size:           2
        .value_kind:     hidden_remainder_x
      - .offset:         116
        .size:           2
        .value_kind:     hidden_remainder_y
      - .offset:         118
        .size:           2
        .value_kind:     hidden_remainder_z
      - .offset:         136
        .size:           8
        .value_kind:     hidden_global_offset_x
      - .offset:         144
        .size:           8
        .value_kind:     hidden_global_offset_y
      - .offset:         152
        .size:           8
        .value_kind:     hidden_global_offset_z
      - .offset:         160
        .size:           2
        .value_kind:     hidden_grid_dims
      - .offset:         216
        .size:           4
        .value_kind:     hidden_dynamic_lds_size
    .group_segment_fixed_size: 256
    .kernarg_segment_align: 8
    .kernarg_segment_size: 352
    .language:       OpenCL C
    .language_version:
      - 2
      - 0
    .max_flat_workgroup_size: 224
    .name:           _ZL9mul_mat_fI7__half2Li32ELi4ELi7ELb1EEvPKT_PKfPKiPfiiiiiiiiiiiiiiii
    .private_segment_fixed_size: 0
    .sgpr_count:     70
    .sgpr_spill_count: 0
    .symbol:         _ZL9mul_mat_fI7__half2Li32ELi4ELi7ELb1EEvPKT_PKfPKiPfiiiiiiiiiiiiiiii.kd
    .uniform_work_group_size: 1
    .uses_dynamic_stack: false
    .vgpr_count:     80
    .vgpr_spill_count: 0
    .wavefront_size: 32
    .workgroup_processor_mode: 1
  - .args:
      - .actual_access:  read_only
        .address_space:  global
        .offset:         0
        .size:           8
        .value_kind:     global_buffer
      - .actual_access:  read_only
        .address_space:  global
        .offset:         8
        .size:           8
        .value_kind:     global_buffer
      - .actual_access:  read_only
        .address_space:  global
        .offset:         16
        .size:           8
        .value_kind:     global_buffer
      - .actual_access:  write_only
        .address_space:  global
        .offset:         24
        .size:           8
        .value_kind:     global_buffer
      - .offset:         32
        .size:           4
        .value_kind:     by_value
      - .offset:         36
        .size:           4
        .value_kind:     by_value
      - .offset:         40
        .size:           4
        .value_kind:     by_value
      - .offset:         44
        .size:           4
        .value_kind:     by_value
      - .offset:         48
        .size:           4
        .value_kind:     by_value
      - .offset:         52
        .size:           4
        .value_kind:     by_value
      - .offset:         56
        .size:           4
        .value_kind:     by_value
      - .offset:         60
        .size:           4
        .value_kind:     by_value
      - .offset:         64
        .size:           4
        .value_kind:     by_value
      - .offset:         68
        .size:           4
        .value_kind:     by_value
      - .offset:         72
        .size:           4
        .value_kind:     by_value
      - .offset:         76
        .size:           4
        .value_kind:     by_value
      - .offset:         80
        .size:           4
        .value_kind:     by_value
      - .offset:         84
        .size:           4
        .value_kind:     by_value
      - .offset:         88
        .size:           4
        .value_kind:     by_value
      - .offset:         92
        .size:           4
        .value_kind:     by_value
    .group_segment_fixed_size: 0
    .kernarg_segment_align: 8
    .kernarg_segment_size: 96
    .language:       OpenCL C
    .language_version:
      - 2
      - 0
    .max_flat_workgroup_size: 224
    .name:           _ZL9mul_mat_fI7__half2Li32ELi4ELi7ELb0EEvPKT_PKfPKiPfiiiiiiiiiiiiiiii
    .private_segment_fixed_size: 0
    .sgpr_count:     70
    .sgpr_spill_count: 0
    .symbol:         _ZL9mul_mat_fI7__half2Li32ELi4ELi7ELb0EEvPKT_PKfPKiPfiiiiiiiiiiiiiiii.kd
    .uniform_work_group_size: 1
    .uses_dynamic_stack: false
    .vgpr_count:     69
    .vgpr_spill_count: 0
    .wavefront_size: 32
    .workgroup_processor_mode: 1
  - .args:
      - .actual_access:  read_only
        .address_space:  global
        .offset:         0
        .size:           8
        .value_kind:     global_buffer
      - .actual_access:  read_only
        .address_space:  global
        .offset:         8
        .size:           8
        .value_kind:     global_buffer
      - .actual_access:  read_only
        .address_space:  global
        .offset:         16
        .size:           8
        .value_kind:     global_buffer
      - .actual_access:  read_only
        .address_space:  global
        .offset:         24
        .size:           8
        .value_kind:     global_buffer
      - .actual_access:  read_only
        .address_space:  global
        .offset:         32
        .size:           8
        .value_kind:     global_buffer
      - .actual_access:  write_only
        .address_space:  global
        .offset:         40
        .size:           8
        .value_kind:     global_buffer
      - .offset:         48
        .size:           4
        .value_kind:     by_value
      - .offset:         52
        .size:           4
        .value_kind:     by_value
      - .offset:         56
        .size:           4
        .value_kind:     by_value
      - .offset:         60
        .size:           4
        .value_kind:     by_value
      - .offset:         64
        .size:           4
        .value_kind:     by_value
      - .offset:         68
        .size:           4
        .value_kind:     by_value
      - .offset:         72
        .size:           4
        .value_kind:     by_value
      - .offset:         76
        .size:           4
        .value_kind:     by_value
      - .offset:         80
        .size:           4
        .value_kind:     by_value
      - .offset:         84
        .size:           4
        .value_kind:     by_value
      - .offset:         88
        .size:           4
        .value_kind:     by_value
      - .offset:         92
        .size:           4
        .value_kind:     by_value
      - .offset:         96
        .size:           4
        .value_kind:     by_value
      - .offset:         100
        .size:           4
        .value_kind:     by_value
      - .offset:         104
        .size:           12
        .value_kind:     by_value
      - .offset:         116
        .size:           12
        .value_kind:     by_value
    .group_segment_fixed_size: 0
    .kernarg_segment_align: 8
    .kernarg_segment_size: 128
    .language:       OpenCL C
    .language_version:
      - 2
      - 0
    .max_flat_workgroup_size: 256
    .name:           _ZL13mul_mat_f_idsI7__half2Li32ELi4ELi8EEvPKT_PKfPKiS7_S7_Pfiiiiiiiiiiiiii15HIP_vector_typeIjLj3EESA_
    .private_segment_fixed_size: 0
    .sgpr_count:     76
    .sgpr_spill_count: 0
    .symbol:         _ZL13mul_mat_f_idsI7__half2Li32ELi4ELi8EEvPKT_PKfPKiS7_S7_Pfiiiiiiiiiiiiii15HIP_vector_typeIjLj3EESA_.kd
    .uniform_work_group_size: 1
    .uses_dynamic_stack: false
    .vgpr_count:     74
    .vgpr_spill_count: 0
    .wavefront_size: 32
    .workgroup_processor_mode: 1
  - .args:
      - .actual_access:  read_only
        .address_space:  global
        .offset:         0
        .size:           8
        .value_kind:     global_buffer
      - .actual_access:  read_only
        .address_space:  global
        .offset:         8
        .size:           8
        .value_kind:     global_buffer
      - .actual_access:  read_only
        .address_space:  global
        .offset:         16
        .size:           8
        .value_kind:     global_buffer
      - .actual_access:  write_only
        .address_space:  global
        .offset:         24
        .size:           8
        .value_kind:     global_buffer
      - .offset:         32
        .size:           4
        .value_kind:     by_value
      - .offset:         36
        .size:           4
        .value_kind:     by_value
      - .offset:         40
        .size:           4
        .value_kind:     by_value
      - .offset:         44
        .size:           4
        .value_kind:     by_value
      - .offset:         48
        .size:           4
        .value_kind:     by_value
      - .offset:         52
        .size:           4
        .value_kind:     by_value
      - .offset:         56
        .size:           4
        .value_kind:     by_value
      - .offset:         60
        .size:           4
        .value_kind:     by_value
      - .offset:         64
        .size:           4
        .value_kind:     by_value
      - .offset:         68
        .size:           4
        .value_kind:     by_value
      - .offset:         72
        .size:           4
        .value_kind:     by_value
      - .offset:         76
        .size:           4
        .value_kind:     by_value
      - .offset:         80
        .size:           4
        .value_kind:     by_value
      - .offset:         84
        .size:           4
        .value_kind:     by_value
      - .offset:         88
        .size:           4
        .value_kind:     by_value
      - .offset:         92
        .size:           4
        .value_kind:     by_value
      - .offset:         96
        .size:           4
        .value_kind:     hidden_block_count_x
      - .offset:         100
        .size:           4
        .value_kind:     hidden_block_count_y
      - .offset:         104
        .size:           4
        .value_kind:     hidden_block_count_z
      - .offset:         108
        .size:           2
        .value_kind:     hidden_group_size_x
      - .offset:         110
        .size:           2
        .value_kind:     hidden_group_size_y
      - .offset:         112
        .size:           2
        .value_kind:     hidden_group_size_z
      - .offset:         114
        .size:           2
        .value_kind:     hidden_remainder_x
      - .offset:         116
        .size:           2
        .value_kind:     hidden_remainder_y
      - .offset:         118
        .size:           2
        .value_kind:     hidden_remainder_z
      - .offset:         136
        .size:           8
        .value_kind:     hidden_global_offset_x
      - .offset:         144
        .size:           8
        .value_kind:     hidden_global_offset_y
      - .offset:         152
        .size:           8
        .value_kind:     hidden_global_offset_z
      - .offset:         160
        .size:           2
        .value_kind:     hidden_grid_dims
      - .offset:         216
        .size:           4
        .value_kind:     hidden_dynamic_lds_size
    .group_segment_fixed_size: 256
    .kernarg_segment_align: 8
    .kernarg_segment_size: 352
    .language:       OpenCL C
    .language_version:
      - 2
      - 0
    .max_flat_workgroup_size: 256
    .name:           _ZL9mul_mat_fI7__half2Li32ELi4ELi8ELb1EEvPKT_PKfPKiPfiiiiiiiiiiiiiiii
    .private_segment_fixed_size: 0
    .sgpr_count:     70
    .sgpr_spill_count: 0
    .symbol:         _ZL9mul_mat_fI7__half2Li32ELi4ELi8ELb1EEvPKT_PKfPKiPfiiiiiiiiiiiiiiii.kd
    .uniform_work_group_size: 1
    .uses_dynamic_stack: false
    .vgpr_count:     82
    .vgpr_spill_count: 0
    .wavefront_size: 32
    .workgroup_processor_mode: 1
  - .args:
      - .actual_access:  read_only
        .address_space:  global
        .offset:         0
        .size:           8
        .value_kind:     global_buffer
      - .actual_access:  read_only
        .address_space:  global
        .offset:         8
        .size:           8
        .value_kind:     global_buffer
      - .actual_access:  read_only
        .address_space:  global
        .offset:         16
        .size:           8
        .value_kind:     global_buffer
      - .actual_access:  write_only
        .address_space:  global
        .offset:         24
        .size:           8
        .value_kind:     global_buffer
      - .offset:         32
        .size:           4
        .value_kind:     by_value
      - .offset:         36
        .size:           4
        .value_kind:     by_value
      - .offset:         40
        .size:           4
        .value_kind:     by_value
      - .offset:         44
        .size:           4
        .value_kind:     by_value
      - .offset:         48
        .size:           4
        .value_kind:     by_value
      - .offset:         52
        .size:           4
        .value_kind:     by_value
      - .offset:         56
        .size:           4
        .value_kind:     by_value
      - .offset:         60
        .size:           4
        .value_kind:     by_value
      - .offset:         64
        .size:           4
        .value_kind:     by_value
      - .offset:         68
        .size:           4
        .value_kind:     by_value
      - .offset:         72
        .size:           4
        .value_kind:     by_value
      - .offset:         76
        .size:           4
        .value_kind:     by_value
      - .offset:         80
        .size:           4
        .value_kind:     by_value
      - .offset:         84
        .size:           4
        .value_kind:     by_value
      - .offset:         88
        .size:           4
        .value_kind:     by_value
      - .offset:         92
        .size:           4
        .value_kind:     by_value
    .group_segment_fixed_size: 0
    .kernarg_segment_align: 8
    .kernarg_segment_size: 96
    .language:       OpenCL C
    .language_version:
      - 2
      - 0
    .max_flat_workgroup_size: 256
    .name:           _ZL9mul_mat_fI7__half2Li32ELi4ELi8ELb0EEvPKT_PKfPKiPfiiiiiiiiiiiiiiii
    .private_segment_fixed_size: 0
    .sgpr_count:     70
    .sgpr_spill_count: 0
    .symbol:         _ZL9mul_mat_fI7__half2Li32ELi4ELi8ELb0EEvPKT_PKfPKiPfiiiiiiiiiiiiiiii.kd
    .uniform_work_group_size: 1
    .uses_dynamic_stack: false
    .vgpr_count:     69
    .vgpr_spill_count: 0
    .wavefront_size: 32
    .workgroup_processor_mode: 1
  - .args:
      - .actual_access:  read_only
        .address_space:  global
        .offset:         0
        .size:           8
        .value_kind:     global_buffer
      - .actual_access:  read_only
        .address_space:  global
        .offset:         8
        .size:           8
        .value_kind:     global_buffer
      - .actual_access:  read_only
        .address_space:  global
        .offset:         16
        .size:           8
        .value_kind:     global_buffer
      - .actual_access:  read_only
        .address_space:  global
        .offset:         24
        .size:           8
        .value_kind:     global_buffer
      - .actual_access:  read_only
        .address_space:  global
        .offset:         32
        .size:           8
        .value_kind:     global_buffer
      - .actual_access:  write_only
        .address_space:  global
        .offset:         40
        .size:           8
        .value_kind:     global_buffer
      - .offset:         48
        .size:           4
        .value_kind:     by_value
      - .offset:         52
        .size:           4
        .value_kind:     by_value
      - .offset:         56
        .size:           4
        .value_kind:     by_value
      - .offset:         60
        .size:           4
        .value_kind:     by_value
      - .offset:         64
        .size:           4
        .value_kind:     by_value
      - .offset:         68
        .size:           4
        .value_kind:     by_value
      - .offset:         72
        .size:           4
        .value_kind:     by_value
      - .offset:         76
        .size:           4
        .value_kind:     by_value
      - .offset:         80
        .size:           4
        .value_kind:     by_value
      - .offset:         84
        .size:           4
        .value_kind:     by_value
      - .offset:         88
        .size:           4
        .value_kind:     by_value
      - .offset:         92
        .size:           4
        .value_kind:     by_value
      - .offset:         96
        .size:           4
        .value_kind:     by_value
      - .offset:         100
        .size:           4
        .value_kind:     by_value
      - .offset:         104
        .size:           12
        .value_kind:     by_value
      - .offset:         116
        .size:           12
        .value_kind:     by_value
    .group_segment_fixed_size: 0
    .kernarg_segment_align: 8
    .kernarg_segment_size: 128
    .language:       OpenCL C
    .language_version:
      - 2
      - 0
    .max_flat_workgroup_size: 32
    .name:           _ZL13mul_mat_f_idsI15__hip_bfloat162Li32ELi4ELi1EEvPKT_PKfPKiS7_S7_Pfiiiiiiiiiiiiii15HIP_vector_typeIjLj3EESA_
    .private_segment_fixed_size: 0
    .sgpr_count:     76
    .sgpr_spill_count: 0
    .symbol:         _ZL13mul_mat_f_idsI15__hip_bfloat162Li32ELi4ELi1EEvPKT_PKfPKiS7_S7_Pfiiiiiiiiiiiiii15HIP_vector_typeIjLj3EESA_.kd
    .uniform_work_group_size: 1
    .uses_dynamic_stack: false
    .vgpr_count:     74
    .vgpr_spill_count: 0
    .wavefront_size: 32
    .workgroup_processor_mode: 1
  - .args:
      - .actual_access:  read_only
        .address_space:  global
        .offset:         0
        .size:           8
        .value_kind:     global_buffer
      - .actual_access:  read_only
        .address_space:  global
        .offset:         8
        .size:           8
        .value_kind:     global_buffer
      - .actual_access:  read_only
        .address_space:  global
        .offset:         16
        .size:           8
        .value_kind:     global_buffer
      - .actual_access:  write_only
        .address_space:  global
        .offset:         24
        .size:           8
        .value_kind:     global_buffer
      - .offset:         32
        .size:           4
        .value_kind:     by_value
      - .offset:         36
        .size:           4
        .value_kind:     by_value
      - .offset:         40
        .size:           4
        .value_kind:     by_value
      - .offset:         44
        .size:           4
        .value_kind:     by_value
      - .offset:         48
        .size:           4
        .value_kind:     by_value
      - .offset:         52
        .size:           4
        .value_kind:     by_value
      - .offset:         56
        .size:           4
        .value_kind:     by_value
      - .offset:         60
        .size:           4
        .value_kind:     by_value
      - .offset:         64
        .size:           4
        .value_kind:     by_value
      - .offset:         68
        .size:           4
        .value_kind:     by_value
      - .offset:         72
        .size:           4
        .value_kind:     by_value
      - .offset:         76
        .size:           4
        .value_kind:     by_value
      - .offset:         80
        .size:           4
        .value_kind:     by_value
      - .offset:         84
        .size:           4
        .value_kind:     by_value
      - .offset:         88
        .size:           4
        .value_kind:     by_value
      - .offset:         92
        .size:           4
        .value_kind:     by_value
      - .offset:         96
        .size:           4
        .value_kind:     hidden_block_count_x
      - .offset:         100
        .size:           4
        .value_kind:     hidden_block_count_y
      - .offset:         104
        .size:           4
        .value_kind:     hidden_block_count_z
      - .offset:         108
        .size:           2
        .value_kind:     hidden_group_size_x
      - .offset:         110
        .size:           2
        .value_kind:     hidden_group_size_y
      - .offset:         112
        .size:           2
        .value_kind:     hidden_group_size_z
      - .offset:         114
        .size:           2
        .value_kind:     hidden_remainder_x
      - .offset:         116
        .size:           2
        .value_kind:     hidden_remainder_y
      - .offset:         118
        .size:           2
        .value_kind:     hidden_remainder_z
      - .offset:         136
        .size:           8
        .value_kind:     hidden_global_offset_x
      - .offset:         144
        .size:           8
        .value_kind:     hidden_global_offset_y
      - .offset:         152
        .size:           8
        .value_kind:     hidden_global_offset_z
      - .offset:         160
        .size:           2
        .value_kind:     hidden_grid_dims
      - .offset:         216
        .size:           4
        .value_kind:     hidden_dynamic_lds_size
    .group_segment_fixed_size: 256
    .kernarg_segment_align: 8
    .kernarg_segment_size: 352
    .language:       OpenCL C
    .language_version:
      - 2
      - 0
    .max_flat_workgroup_size: 32
    .name:           _ZL9mul_mat_fI15__hip_bfloat162Li32ELi4ELi1ELb1EEvPKT_PKfPKiPfiiiiiiiiiiiiiiii
    .private_segment_fixed_size: 0
    .sgpr_count:     74
    .sgpr_spill_count: 0
    .symbol:         _ZL9mul_mat_fI15__hip_bfloat162Li32ELi4ELi1ELb1EEvPKT_PKfPKiPfiiiiiiiiiiiiiiii.kd
    .uniform_work_group_size: 1
    .uses_dynamic_stack: false
    .vgpr_count:     84
    .vgpr_spill_count: 0
    .wavefront_size: 32
    .workgroup_processor_mode: 1
  - .args:
      - .actual_access:  read_only
        .address_space:  global
        .offset:         0
        .size:           8
        .value_kind:     global_buffer
      - .actual_access:  read_only
        .address_space:  global
        .offset:         8
        .size:           8
        .value_kind:     global_buffer
      - .actual_access:  read_only
        .address_space:  global
        .offset:         16
        .size:           8
        .value_kind:     global_buffer
      - .actual_access:  write_only
        .address_space:  global
        .offset:         24
        .size:           8
        .value_kind:     global_buffer
      - .offset:         32
        .size:           4
        .value_kind:     by_value
      - .offset:         36
        .size:           4
        .value_kind:     by_value
      - .offset:         40
        .size:           4
        .value_kind:     by_value
      - .offset:         44
        .size:           4
        .value_kind:     by_value
      - .offset:         48
        .size:           4
        .value_kind:     by_value
      - .offset:         52
        .size:           4
        .value_kind:     by_value
      - .offset:         56
        .size:           4
        .value_kind:     by_value
      - .offset:         60
        .size:           4
        .value_kind:     by_value
      - .offset:         64
        .size:           4
        .value_kind:     by_value
      - .offset:         68
        .size:           4
        .value_kind:     by_value
      - .offset:         72
        .size:           4
        .value_kind:     by_value
      - .offset:         76
        .size:           4
        .value_kind:     by_value
      - .offset:         80
        .size:           4
        .value_kind:     by_value
      - .offset:         84
        .size:           4
        .value_kind:     by_value
      - .offset:         88
        .size:           4
        .value_kind:     by_value
      - .offset:         92
        .size:           4
        .value_kind:     by_value
    .group_segment_fixed_size: 0
    .kernarg_segment_align: 8
    .kernarg_segment_size: 96
    .language:       OpenCL C
    .language_version:
      - 2
      - 0
    .max_flat_workgroup_size: 32
    .name:           _ZL9mul_mat_fI15__hip_bfloat162Li32ELi4ELi1ELb0EEvPKT_PKfPKiPfiiiiiiiiiiiiiiii
    .private_segment_fixed_size: 0
    .sgpr_count:     70
    .sgpr_spill_count: 0
    .symbol:         _ZL9mul_mat_fI15__hip_bfloat162Li32ELi4ELi1ELb0EEvPKT_PKfPKiPfiiiiiiiiiiiiiiii.kd
    .uniform_work_group_size: 1
    .uses_dynamic_stack: false
    .vgpr_count:     69
    .vgpr_spill_count: 0
    .wavefront_size: 32
    .workgroup_processor_mode: 1
  - .args:
      - .actual_access:  read_only
        .address_space:  global
        .offset:         0
        .size:           8
        .value_kind:     global_buffer
      - .actual_access:  read_only
        .address_space:  global
        .offset:         8
        .size:           8
        .value_kind:     global_buffer
      - .actual_access:  read_only
        .address_space:  global
        .offset:         16
        .size:           8
        .value_kind:     global_buffer
      - .actual_access:  read_only
        .address_space:  global
        .offset:         24
        .size:           8
        .value_kind:     global_buffer
      - .actual_access:  read_only
        .address_space:  global
        .offset:         32
        .size:           8
        .value_kind:     global_buffer
      - .actual_access:  write_only
        .address_space:  global
        .offset:         40
        .size:           8
        .value_kind:     global_buffer
      - .offset:         48
        .size:           4
        .value_kind:     by_value
      - .offset:         52
        .size:           4
        .value_kind:     by_value
      - .offset:         56
        .size:           4
        .value_kind:     by_value
      - .offset:         60
        .size:           4
        .value_kind:     by_value
      - .offset:         64
        .size:           4
        .value_kind:     by_value
      - .offset:         68
        .size:           4
        .value_kind:     by_value
      - .offset:         72
        .size:           4
        .value_kind:     by_value
      - .offset:         76
        .size:           4
        .value_kind:     by_value
      - .offset:         80
        .size:           4
        .value_kind:     by_value
      - .offset:         84
        .size:           4
        .value_kind:     by_value
      - .offset:         88
        .size:           4
        .value_kind:     by_value
      - .offset:         92
        .size:           4
        .value_kind:     by_value
      - .offset:         96
        .size:           4
        .value_kind:     by_value
      - .offset:         100
        .size:           4
        .value_kind:     by_value
      - .offset:         104
        .size:           12
        .value_kind:     by_value
      - .offset:         116
        .size:           12
        .value_kind:     by_value
    .group_segment_fixed_size: 0
    .kernarg_segment_align: 8
    .kernarg_segment_size: 128
    .language:       OpenCL C
    .language_version:
      - 2
      - 0
    .max_flat_workgroup_size: 64
    .name:           _ZL13mul_mat_f_idsI15__hip_bfloat162Li32ELi4ELi2EEvPKT_PKfPKiS7_S7_Pfiiiiiiiiiiiiii15HIP_vector_typeIjLj3EESA_
    .private_segment_fixed_size: 0
    .sgpr_count:     76
    .sgpr_spill_count: 0
    .symbol:         _ZL13mul_mat_f_idsI15__hip_bfloat162Li32ELi4ELi2EEvPKT_PKfPKiS7_S7_Pfiiiiiiiiiiiiii15HIP_vector_typeIjLj3EESA_.kd
    .uniform_work_group_size: 1
    .uses_dynamic_stack: false
    .vgpr_count:     74
    .vgpr_spill_count: 0
    .wavefront_size: 32
    .workgroup_processor_mode: 1
  - .args:
      - .actual_access:  read_only
        .address_space:  global
        .offset:         0
        .size:           8
        .value_kind:     global_buffer
      - .actual_access:  read_only
        .address_space:  global
        .offset:         8
        .size:           8
        .value_kind:     global_buffer
      - .actual_access:  read_only
        .address_space:  global
        .offset:         16
        .size:           8
        .value_kind:     global_buffer
      - .actual_access:  write_only
        .address_space:  global
        .offset:         24
        .size:           8
        .value_kind:     global_buffer
      - .offset:         32
        .size:           4
        .value_kind:     by_value
      - .offset:         36
        .size:           4
        .value_kind:     by_value
      - .offset:         40
        .size:           4
        .value_kind:     by_value
      - .offset:         44
        .size:           4
        .value_kind:     by_value
      - .offset:         48
        .size:           4
        .value_kind:     by_value
      - .offset:         52
        .size:           4
        .value_kind:     by_value
      - .offset:         56
        .size:           4
        .value_kind:     by_value
      - .offset:         60
        .size:           4
        .value_kind:     by_value
      - .offset:         64
        .size:           4
        .value_kind:     by_value
      - .offset:         68
        .size:           4
        .value_kind:     by_value
      - .offset:         72
        .size:           4
        .value_kind:     by_value
      - .offset:         76
        .size:           4
        .value_kind:     by_value
      - .offset:         80
        .size:           4
        .value_kind:     by_value
      - .offset:         84
        .size:           4
        .value_kind:     by_value
      - .offset:         88
        .size:           4
        .value_kind:     by_value
      - .offset:         92
        .size:           4
        .value_kind:     by_value
      - .offset:         96
        .size:           4
        .value_kind:     hidden_block_count_x
      - .offset:         100
        .size:           4
        .value_kind:     hidden_block_count_y
      - .offset:         104
        .size:           4
        .value_kind:     hidden_block_count_z
      - .offset:         108
        .size:           2
        .value_kind:     hidden_group_size_x
      - .offset:         110
        .size:           2
        .value_kind:     hidden_group_size_y
      - .offset:         112
        .size:           2
        .value_kind:     hidden_group_size_z
      - .offset:         114
        .size:           2
        .value_kind:     hidden_remainder_x
      - .offset:         116
        .size:           2
        .value_kind:     hidden_remainder_y
      - .offset:         118
        .size:           2
        .value_kind:     hidden_remainder_z
      - .offset:         136
        .size:           8
        .value_kind:     hidden_global_offset_x
      - .offset:         144
        .size:           8
        .value_kind:     hidden_global_offset_y
      - .offset:         152
        .size:           8
        .value_kind:     hidden_global_offset_z
      - .offset:         160
        .size:           2
        .value_kind:     hidden_grid_dims
      - .offset:         216
        .size:           4
        .value_kind:     hidden_dynamic_lds_size
    .group_segment_fixed_size: 256
    .kernarg_segment_align: 8
    .kernarg_segment_size: 352
    .language:       OpenCL C
    .language_version:
      - 2
      - 0
    .max_flat_workgroup_size: 64
    .name:           _ZL9mul_mat_fI15__hip_bfloat162Li32ELi4ELi2ELb1EEvPKT_PKfPKiPfiiiiiiiiiiiiiiii
    .private_segment_fixed_size: 0
    .sgpr_count:     72
    .sgpr_spill_count: 0
    .symbol:         _ZL9mul_mat_fI15__hip_bfloat162Li32ELi4ELi2ELb1EEvPKT_PKfPKiPfiiiiiiiiiiiiiiii.kd
    .uniform_work_group_size: 1
    .uses_dynamic_stack: false
    .vgpr_count:     81
    .vgpr_spill_count: 0
    .wavefront_size: 32
    .workgroup_processor_mode: 1
  - .args:
      - .actual_access:  read_only
        .address_space:  global
        .offset:         0
        .size:           8
        .value_kind:     global_buffer
      - .actual_access:  read_only
        .address_space:  global
        .offset:         8
        .size:           8
        .value_kind:     global_buffer
      - .actual_access:  read_only
        .address_space:  global
        .offset:         16
        .size:           8
        .value_kind:     global_buffer
      - .actual_access:  write_only
        .address_space:  global
        .offset:         24
        .size:           8
        .value_kind:     global_buffer
      - .offset:         32
        .size:           4
        .value_kind:     by_value
      - .offset:         36
        .size:           4
        .value_kind:     by_value
      - .offset:         40
        .size:           4
        .value_kind:     by_value
      - .offset:         44
        .size:           4
        .value_kind:     by_value
      - .offset:         48
        .size:           4
        .value_kind:     by_value
      - .offset:         52
        .size:           4
        .value_kind:     by_value
      - .offset:         56
        .size:           4
        .value_kind:     by_value
      - .offset:         60
        .size:           4
        .value_kind:     by_value
      - .offset:         64
        .size:           4
        .value_kind:     by_value
      - .offset:         68
        .size:           4
        .value_kind:     by_value
      - .offset:         72
        .size:           4
        .value_kind:     by_value
      - .offset:         76
        .size:           4
        .value_kind:     by_value
      - .offset:         80
        .size:           4
        .value_kind:     by_value
      - .offset:         84
        .size:           4
        .value_kind:     by_value
      - .offset:         88
        .size:           4
        .value_kind:     by_value
      - .offset:         92
        .size:           4
        .value_kind:     by_value
    .group_segment_fixed_size: 0
    .kernarg_segment_align: 8
    .kernarg_segment_size: 96
    .language:       OpenCL C
    .language_version:
      - 2
      - 0
    .max_flat_workgroup_size: 64
    .name:           _ZL9mul_mat_fI15__hip_bfloat162Li32ELi4ELi2ELb0EEvPKT_PKfPKiPfiiiiiiiiiiiiiiii
    .private_segment_fixed_size: 0
    .sgpr_count:     70
    .sgpr_spill_count: 0
    .symbol:         _ZL9mul_mat_fI15__hip_bfloat162Li32ELi4ELi2ELb0EEvPKT_PKfPKiPfiiiiiiiiiiiiiiii.kd
    .uniform_work_group_size: 1
    .uses_dynamic_stack: false
    .vgpr_count:     69
    .vgpr_spill_count: 0
    .wavefront_size: 32
    .workgroup_processor_mode: 1
  - .args:
      - .actual_access:  read_only
        .address_space:  global
        .offset:         0
        .size:           8
        .value_kind:     global_buffer
      - .actual_access:  read_only
        .address_space:  global
        .offset:         8
        .size:           8
        .value_kind:     global_buffer
      - .actual_access:  read_only
        .address_space:  global
        .offset:         16
        .size:           8
        .value_kind:     global_buffer
      - .actual_access:  read_only
        .address_space:  global
        .offset:         24
        .size:           8
        .value_kind:     global_buffer
      - .actual_access:  read_only
        .address_space:  global
        .offset:         32
        .size:           8
        .value_kind:     global_buffer
      - .actual_access:  write_only
        .address_space:  global
        .offset:         40
        .size:           8
        .value_kind:     global_buffer
      - .offset:         48
        .size:           4
        .value_kind:     by_value
      - .offset:         52
        .size:           4
        .value_kind:     by_value
      - .offset:         56
        .size:           4
        .value_kind:     by_value
      - .offset:         60
        .size:           4
        .value_kind:     by_value
      - .offset:         64
        .size:           4
        .value_kind:     by_value
      - .offset:         68
        .size:           4
        .value_kind:     by_value
      - .offset:         72
        .size:           4
        .value_kind:     by_value
      - .offset:         76
        .size:           4
        .value_kind:     by_value
      - .offset:         80
        .size:           4
        .value_kind:     by_value
      - .offset:         84
        .size:           4
        .value_kind:     by_value
      - .offset:         88
        .size:           4
        .value_kind:     by_value
      - .offset:         92
        .size:           4
        .value_kind:     by_value
      - .offset:         96
        .size:           4
        .value_kind:     by_value
      - .offset:         100
        .size:           4
        .value_kind:     by_value
      - .offset:         104
        .size:           12
        .value_kind:     by_value
      - .offset:         116
        .size:           12
        .value_kind:     by_value
    .group_segment_fixed_size: 0
    .kernarg_segment_align: 8
    .kernarg_segment_size: 128
    .language:       OpenCL C
    .language_version:
      - 2
      - 0
    .max_flat_workgroup_size: 96
    .name:           _ZL13mul_mat_f_idsI15__hip_bfloat162Li32ELi4ELi3EEvPKT_PKfPKiS7_S7_Pfiiiiiiiiiiiiii15HIP_vector_typeIjLj3EESA_
    .private_segment_fixed_size: 0
    .sgpr_count:     76
    .sgpr_spill_count: 0
    .symbol:         _ZL13mul_mat_f_idsI15__hip_bfloat162Li32ELi4ELi3EEvPKT_PKfPKiS7_S7_Pfiiiiiiiiiiiiii15HIP_vector_typeIjLj3EESA_.kd
    .uniform_work_group_size: 1
    .uses_dynamic_stack: false
    .vgpr_count:     74
    .vgpr_spill_count: 0
    .wavefront_size: 32
    .workgroup_processor_mode: 1
  - .args:
      - .actual_access:  read_only
        .address_space:  global
        .offset:         0
        .size:           8
        .value_kind:     global_buffer
      - .actual_access:  read_only
        .address_space:  global
        .offset:         8
        .size:           8
        .value_kind:     global_buffer
      - .actual_access:  read_only
        .address_space:  global
        .offset:         16
        .size:           8
        .value_kind:     global_buffer
      - .actual_access:  write_only
        .address_space:  global
        .offset:         24
        .size:           8
        .value_kind:     global_buffer
      - .offset:         32
        .size:           4
        .value_kind:     by_value
      - .offset:         36
        .size:           4
        .value_kind:     by_value
      - .offset:         40
        .size:           4
        .value_kind:     by_value
      - .offset:         44
        .size:           4
        .value_kind:     by_value
      - .offset:         48
        .size:           4
        .value_kind:     by_value
      - .offset:         52
        .size:           4
        .value_kind:     by_value
      - .offset:         56
        .size:           4
        .value_kind:     by_value
      - .offset:         60
        .size:           4
        .value_kind:     by_value
      - .offset:         64
        .size:           4
        .value_kind:     by_value
      - .offset:         68
        .size:           4
        .value_kind:     by_value
      - .offset:         72
        .size:           4
        .value_kind:     by_value
      - .offset:         76
        .size:           4
        .value_kind:     by_value
      - .offset:         80
        .size:           4
        .value_kind:     by_value
      - .offset:         84
        .size:           4
        .value_kind:     by_value
      - .offset:         88
        .size:           4
        .value_kind:     by_value
      - .offset:         92
        .size:           4
        .value_kind:     by_value
      - .offset:         96
        .size:           4
        .value_kind:     hidden_block_count_x
      - .offset:         100
        .size:           4
        .value_kind:     hidden_block_count_y
      - .offset:         104
        .size:           4
        .value_kind:     hidden_block_count_z
      - .offset:         108
        .size:           2
        .value_kind:     hidden_group_size_x
      - .offset:         110
        .size:           2
        .value_kind:     hidden_group_size_y
      - .offset:         112
        .size:           2
        .value_kind:     hidden_group_size_z
      - .offset:         114
        .size:           2
        .value_kind:     hidden_remainder_x
      - .offset:         116
        .size:           2
        .value_kind:     hidden_remainder_y
      - .offset:         118
        .size:           2
        .value_kind:     hidden_remainder_z
      - .offset:         136
        .size:           8
        .value_kind:     hidden_global_offset_x
      - .offset:         144
        .size:           8
        .value_kind:     hidden_global_offset_y
      - .offset:         152
        .size:           8
        .value_kind:     hidden_global_offset_z
      - .offset:         160
        .size:           2
        .value_kind:     hidden_grid_dims
      - .offset:         216
        .size:           4
        .value_kind:     hidden_dynamic_lds_size
    .group_segment_fixed_size: 256
    .kernarg_segment_align: 8
    .kernarg_segment_size: 352
    .language:       OpenCL C
    .language_version:
      - 2
      - 0
    .max_flat_workgroup_size: 96
    .name:           _ZL9mul_mat_fI15__hip_bfloat162Li32ELi4ELi3ELb1EEvPKT_PKfPKiPfiiiiiiiiiiiiiiii
    .private_segment_fixed_size: 0
    .sgpr_count:     72
    .sgpr_spill_count: 0
    .symbol:         _ZL9mul_mat_fI15__hip_bfloat162Li32ELi4ELi3ELb1EEvPKT_PKfPKiPfiiiiiiiiiiiiiiii.kd
    .uniform_work_group_size: 1
    .uses_dynamic_stack: false
    .vgpr_count:     80
    .vgpr_spill_count: 0
    .wavefront_size: 32
    .workgroup_processor_mode: 1
  - .args:
      - .actual_access:  read_only
        .address_space:  global
        .offset:         0
        .size:           8
        .value_kind:     global_buffer
      - .actual_access:  read_only
        .address_space:  global
        .offset:         8
        .size:           8
        .value_kind:     global_buffer
      - .actual_access:  read_only
        .address_space:  global
        .offset:         16
        .size:           8
        .value_kind:     global_buffer
      - .actual_access:  write_only
        .address_space:  global
        .offset:         24
        .size:           8
        .value_kind:     global_buffer
      - .offset:         32
        .size:           4
        .value_kind:     by_value
      - .offset:         36
        .size:           4
        .value_kind:     by_value
      - .offset:         40
        .size:           4
        .value_kind:     by_value
      - .offset:         44
        .size:           4
        .value_kind:     by_value
      - .offset:         48
        .size:           4
        .value_kind:     by_value
      - .offset:         52
        .size:           4
        .value_kind:     by_value
      - .offset:         56
        .size:           4
        .value_kind:     by_value
      - .offset:         60
        .size:           4
        .value_kind:     by_value
      - .offset:         64
        .size:           4
        .value_kind:     by_value
      - .offset:         68
        .size:           4
        .value_kind:     by_value
      - .offset:         72
        .size:           4
        .value_kind:     by_value
      - .offset:         76
        .size:           4
        .value_kind:     by_value
      - .offset:         80
        .size:           4
        .value_kind:     by_value
      - .offset:         84
        .size:           4
        .value_kind:     by_value
      - .offset:         88
        .size:           4
        .value_kind:     by_value
      - .offset:         92
        .size:           4
        .value_kind:     by_value
    .group_segment_fixed_size: 0
    .kernarg_segment_align: 8
    .kernarg_segment_size: 96
    .language:       OpenCL C
    .language_version:
      - 2
      - 0
    .max_flat_workgroup_size: 96
    .name:           _ZL9mul_mat_fI15__hip_bfloat162Li32ELi4ELi3ELb0EEvPKT_PKfPKiPfiiiiiiiiiiiiiiii
    .private_segment_fixed_size: 0
    .sgpr_count:     70
    .sgpr_spill_count: 0
    .symbol:         _ZL9mul_mat_fI15__hip_bfloat162Li32ELi4ELi3ELb0EEvPKT_PKfPKiPfiiiiiiiiiiiiiiii.kd
    .uniform_work_group_size: 1
    .uses_dynamic_stack: false
    .vgpr_count:     68
    .vgpr_spill_count: 0
    .wavefront_size: 32
    .workgroup_processor_mode: 1
  - .args:
      - .actual_access:  read_only
        .address_space:  global
        .offset:         0
        .size:           8
        .value_kind:     global_buffer
      - .actual_access:  read_only
        .address_space:  global
        .offset:         8
        .size:           8
        .value_kind:     global_buffer
      - .actual_access:  read_only
        .address_space:  global
        .offset:         16
        .size:           8
        .value_kind:     global_buffer
      - .actual_access:  read_only
        .address_space:  global
        .offset:         24
        .size:           8
        .value_kind:     global_buffer
      - .actual_access:  read_only
        .address_space:  global
        .offset:         32
        .size:           8
        .value_kind:     global_buffer
      - .actual_access:  write_only
        .address_space:  global
        .offset:         40
        .size:           8
        .value_kind:     global_buffer
      - .offset:         48
        .size:           4
        .value_kind:     by_value
      - .offset:         52
        .size:           4
        .value_kind:     by_value
      - .offset:         56
        .size:           4
        .value_kind:     by_value
      - .offset:         60
        .size:           4
        .value_kind:     by_value
      - .offset:         64
        .size:           4
        .value_kind:     by_value
      - .offset:         68
        .size:           4
        .value_kind:     by_value
      - .offset:         72
        .size:           4
        .value_kind:     by_value
      - .offset:         76
        .size:           4
        .value_kind:     by_value
      - .offset:         80
        .size:           4
        .value_kind:     by_value
      - .offset:         84
        .size:           4
        .value_kind:     by_value
      - .offset:         88
        .size:           4
        .value_kind:     by_value
      - .offset:         92
        .size:           4
        .value_kind:     by_value
      - .offset:         96
        .size:           4
        .value_kind:     by_value
      - .offset:         100
        .size:           4
        .value_kind:     by_value
      - .offset:         104
        .size:           12
        .value_kind:     by_value
      - .offset:         116
        .size:           12
        .value_kind:     by_value
    .group_segment_fixed_size: 0
    .kernarg_segment_align: 8
    .kernarg_segment_size: 128
    .language:       OpenCL C
    .language_version:
      - 2
      - 0
    .max_flat_workgroup_size: 128
    .name:           _ZL13mul_mat_f_idsI15__hip_bfloat162Li32ELi4ELi4EEvPKT_PKfPKiS7_S7_Pfiiiiiiiiiiiiii15HIP_vector_typeIjLj3EESA_
    .private_segment_fixed_size: 0
    .sgpr_count:     76
    .sgpr_spill_count: 0
    .symbol:         _ZL13mul_mat_f_idsI15__hip_bfloat162Li32ELi4ELi4EEvPKT_PKfPKiS7_S7_Pfiiiiiiiiiiiiii15HIP_vector_typeIjLj3EESA_.kd
    .uniform_work_group_size: 1
    .uses_dynamic_stack: false
    .vgpr_count:     74
    .vgpr_spill_count: 0
    .wavefront_size: 32
    .workgroup_processor_mode: 1
  - .args:
      - .actual_access:  read_only
        .address_space:  global
        .offset:         0
        .size:           8
        .value_kind:     global_buffer
      - .actual_access:  read_only
        .address_space:  global
        .offset:         8
        .size:           8
        .value_kind:     global_buffer
      - .actual_access:  read_only
        .address_space:  global
        .offset:         16
        .size:           8
        .value_kind:     global_buffer
      - .actual_access:  write_only
        .address_space:  global
        .offset:         24
        .size:           8
        .value_kind:     global_buffer
      - .offset:         32
        .size:           4
        .value_kind:     by_value
      - .offset:         36
        .size:           4
        .value_kind:     by_value
      - .offset:         40
        .size:           4
        .value_kind:     by_value
      - .offset:         44
        .size:           4
        .value_kind:     by_value
      - .offset:         48
        .size:           4
        .value_kind:     by_value
      - .offset:         52
        .size:           4
        .value_kind:     by_value
      - .offset:         56
        .size:           4
        .value_kind:     by_value
      - .offset:         60
        .size:           4
        .value_kind:     by_value
      - .offset:         64
        .size:           4
        .value_kind:     by_value
      - .offset:         68
        .size:           4
        .value_kind:     by_value
      - .offset:         72
        .size:           4
        .value_kind:     by_value
      - .offset:         76
        .size:           4
        .value_kind:     by_value
      - .offset:         80
        .size:           4
        .value_kind:     by_value
      - .offset:         84
        .size:           4
        .value_kind:     by_value
      - .offset:         88
        .size:           4
        .value_kind:     by_value
      - .offset:         92
        .size:           4
        .value_kind:     by_value
      - .offset:         96
        .size:           4
        .value_kind:     hidden_block_count_x
      - .offset:         100
        .size:           4
        .value_kind:     hidden_block_count_y
      - .offset:         104
        .size:           4
        .value_kind:     hidden_block_count_z
      - .offset:         108
        .size:           2
        .value_kind:     hidden_group_size_x
      - .offset:         110
        .size:           2
        .value_kind:     hidden_group_size_y
      - .offset:         112
        .size:           2
        .value_kind:     hidden_group_size_z
      - .offset:         114
        .size:           2
        .value_kind:     hidden_remainder_x
      - .offset:         116
        .size:           2
        .value_kind:     hidden_remainder_y
      - .offset:         118
        .size:           2
        .value_kind:     hidden_remainder_z
      - .offset:         136
        .size:           8
        .value_kind:     hidden_global_offset_x
      - .offset:         144
        .size:           8
        .value_kind:     hidden_global_offset_y
      - .offset:         152
        .size:           8
        .value_kind:     hidden_global_offset_z
      - .offset:         160
        .size:           2
        .value_kind:     hidden_grid_dims
      - .offset:         216
        .size:           4
        .value_kind:     hidden_dynamic_lds_size
    .group_segment_fixed_size: 256
    .kernarg_segment_align: 8
    .kernarg_segment_size: 352
    .language:       OpenCL C
    .language_version:
      - 2
      - 0
    .max_flat_workgroup_size: 128
    .name:           _ZL9mul_mat_fI15__hip_bfloat162Li32ELi4ELi4ELb1EEvPKT_PKfPKiPfiiiiiiiiiiiiiiii
    .private_segment_fixed_size: 0
    .sgpr_count:     70
    .sgpr_spill_count: 0
    .symbol:         _ZL9mul_mat_fI15__hip_bfloat162Li32ELi4ELi4ELb1EEvPKT_PKfPKiPfiiiiiiiiiiiiiiii.kd
    .uniform_work_group_size: 1
    .uses_dynamic_stack: false
    .vgpr_count:     83
    .vgpr_spill_count: 0
    .wavefront_size: 32
    .workgroup_processor_mode: 1
  - .args:
      - .actual_access:  read_only
        .address_space:  global
        .offset:         0
        .size:           8
        .value_kind:     global_buffer
      - .actual_access:  read_only
        .address_space:  global
        .offset:         8
        .size:           8
        .value_kind:     global_buffer
      - .actual_access:  read_only
        .address_space:  global
        .offset:         16
        .size:           8
        .value_kind:     global_buffer
      - .actual_access:  write_only
        .address_space:  global
        .offset:         24
        .size:           8
        .value_kind:     global_buffer
      - .offset:         32
        .size:           4
        .value_kind:     by_value
      - .offset:         36
        .size:           4
        .value_kind:     by_value
      - .offset:         40
        .size:           4
        .value_kind:     by_value
      - .offset:         44
        .size:           4
        .value_kind:     by_value
      - .offset:         48
        .size:           4
        .value_kind:     by_value
      - .offset:         52
        .size:           4
        .value_kind:     by_value
      - .offset:         56
        .size:           4
        .value_kind:     by_value
      - .offset:         60
        .size:           4
        .value_kind:     by_value
      - .offset:         64
        .size:           4
        .value_kind:     by_value
      - .offset:         68
        .size:           4
        .value_kind:     by_value
      - .offset:         72
        .size:           4
        .value_kind:     by_value
      - .offset:         76
        .size:           4
        .value_kind:     by_value
      - .offset:         80
        .size:           4
        .value_kind:     by_value
      - .offset:         84
        .size:           4
        .value_kind:     by_value
      - .offset:         88
        .size:           4
        .value_kind:     by_value
      - .offset:         92
        .size:           4
        .value_kind:     by_value
    .group_segment_fixed_size: 0
    .kernarg_segment_align: 8
    .kernarg_segment_size: 96
    .language:       OpenCL C
    .language_version:
      - 2
      - 0
    .max_flat_workgroup_size: 128
    .name:           _ZL9mul_mat_fI15__hip_bfloat162Li32ELi4ELi4ELb0EEvPKT_PKfPKiPfiiiiiiiiiiiiiiii
    .private_segment_fixed_size: 0
    .sgpr_count:     70
    .sgpr_spill_count: 0
    .symbol:         _ZL9mul_mat_fI15__hip_bfloat162Li32ELi4ELi4ELb0EEvPKT_PKfPKiPfiiiiiiiiiiiiiiii.kd
    .uniform_work_group_size: 1
    .uses_dynamic_stack: false
    .vgpr_count:     69
    .vgpr_spill_count: 0
    .wavefront_size: 32
    .workgroup_processor_mode: 1
  - .args:
      - .actual_access:  read_only
        .address_space:  global
        .offset:         0
        .size:           8
        .value_kind:     global_buffer
      - .actual_access:  read_only
        .address_space:  global
        .offset:         8
        .size:           8
        .value_kind:     global_buffer
      - .actual_access:  read_only
        .address_space:  global
        .offset:         16
        .size:           8
        .value_kind:     global_buffer
      - .actual_access:  read_only
        .address_space:  global
        .offset:         24
        .size:           8
        .value_kind:     global_buffer
      - .actual_access:  read_only
        .address_space:  global
        .offset:         32
        .size:           8
        .value_kind:     global_buffer
      - .actual_access:  write_only
        .address_space:  global
        .offset:         40
        .size:           8
        .value_kind:     global_buffer
      - .offset:         48
        .size:           4
        .value_kind:     by_value
      - .offset:         52
        .size:           4
        .value_kind:     by_value
      - .offset:         56
        .size:           4
        .value_kind:     by_value
      - .offset:         60
        .size:           4
        .value_kind:     by_value
      - .offset:         64
        .size:           4
        .value_kind:     by_value
      - .offset:         68
        .size:           4
        .value_kind:     by_value
      - .offset:         72
        .size:           4
        .value_kind:     by_value
      - .offset:         76
        .size:           4
        .value_kind:     by_value
      - .offset:         80
        .size:           4
        .value_kind:     by_value
      - .offset:         84
        .size:           4
        .value_kind:     by_value
      - .offset:         88
        .size:           4
        .value_kind:     by_value
      - .offset:         92
        .size:           4
        .value_kind:     by_value
      - .offset:         96
        .size:           4
        .value_kind:     by_value
      - .offset:         100
        .size:           4
        .value_kind:     by_value
      - .offset:         104
        .size:           12
        .value_kind:     by_value
      - .offset:         116
        .size:           12
        .value_kind:     by_value
    .group_segment_fixed_size: 0
    .kernarg_segment_align: 8
    .kernarg_segment_size: 128
    .language:       OpenCL C
    .language_version:
      - 2
      - 0
    .max_flat_workgroup_size: 160
    .name:           _ZL13mul_mat_f_idsI15__hip_bfloat162Li32ELi4ELi5EEvPKT_PKfPKiS7_S7_Pfiiiiiiiiiiiiii15HIP_vector_typeIjLj3EESA_
    .private_segment_fixed_size: 0
    .sgpr_count:     76
    .sgpr_spill_count: 0
    .symbol:         _ZL13mul_mat_f_idsI15__hip_bfloat162Li32ELi4ELi5EEvPKT_PKfPKiS7_S7_Pfiiiiiiiiiiiiii15HIP_vector_typeIjLj3EESA_.kd
    .uniform_work_group_size: 1
    .uses_dynamic_stack: false
    .vgpr_count:     74
    .vgpr_spill_count: 0
    .wavefront_size: 32
    .workgroup_processor_mode: 1
  - .args:
      - .actual_access:  read_only
        .address_space:  global
        .offset:         0
        .size:           8
        .value_kind:     global_buffer
      - .actual_access:  read_only
        .address_space:  global
        .offset:         8
        .size:           8
        .value_kind:     global_buffer
      - .actual_access:  read_only
        .address_space:  global
        .offset:         16
        .size:           8
        .value_kind:     global_buffer
      - .actual_access:  write_only
        .address_space:  global
        .offset:         24
        .size:           8
        .value_kind:     global_buffer
      - .offset:         32
        .size:           4
        .value_kind:     by_value
      - .offset:         36
        .size:           4
        .value_kind:     by_value
      - .offset:         40
        .size:           4
        .value_kind:     by_value
      - .offset:         44
        .size:           4
        .value_kind:     by_value
      - .offset:         48
        .size:           4
        .value_kind:     by_value
      - .offset:         52
        .size:           4
        .value_kind:     by_value
      - .offset:         56
        .size:           4
        .value_kind:     by_value
      - .offset:         60
        .size:           4
        .value_kind:     by_value
      - .offset:         64
        .size:           4
        .value_kind:     by_value
      - .offset:         68
        .size:           4
        .value_kind:     by_value
      - .offset:         72
        .size:           4
        .value_kind:     by_value
      - .offset:         76
        .size:           4
        .value_kind:     by_value
      - .offset:         80
        .size:           4
        .value_kind:     by_value
      - .offset:         84
        .size:           4
        .value_kind:     by_value
      - .offset:         88
        .size:           4
        .value_kind:     by_value
      - .offset:         92
        .size:           4
        .value_kind:     by_value
      - .offset:         96
        .size:           4
        .value_kind:     hidden_block_count_x
      - .offset:         100
        .size:           4
        .value_kind:     hidden_block_count_y
      - .offset:         104
        .size:           4
        .value_kind:     hidden_block_count_z
      - .offset:         108
        .size:           2
        .value_kind:     hidden_group_size_x
      - .offset:         110
        .size:           2
        .value_kind:     hidden_group_size_y
      - .offset:         112
        .size:           2
        .value_kind:     hidden_group_size_z
      - .offset:         114
        .size:           2
        .value_kind:     hidden_remainder_x
      - .offset:         116
        .size:           2
        .value_kind:     hidden_remainder_y
      - .offset:         118
        .size:           2
        .value_kind:     hidden_remainder_z
      - .offset:         136
        .size:           8
        .value_kind:     hidden_global_offset_x
      - .offset:         144
        .size:           8
        .value_kind:     hidden_global_offset_y
      - .offset:         152
        .size:           8
        .value_kind:     hidden_global_offset_z
      - .offset:         160
        .size:           2
        .value_kind:     hidden_grid_dims
      - .offset:         216
        .size:           4
        .value_kind:     hidden_dynamic_lds_size
    .group_segment_fixed_size: 256
    .kernarg_segment_align: 8
    .kernarg_segment_size: 352
    .language:       OpenCL C
    .language_version:
      - 2
      - 0
    .max_flat_workgroup_size: 160
    .name:           _ZL9mul_mat_fI15__hip_bfloat162Li32ELi4ELi5ELb1EEvPKT_PKfPKiPfiiiiiiiiiiiiiiii
    .private_segment_fixed_size: 0
    .sgpr_count:     70
    .sgpr_spill_count: 0
    .symbol:         _ZL9mul_mat_fI15__hip_bfloat162Li32ELi4ELi5ELb1EEvPKT_PKfPKiPfiiiiiiiiiiiiiiii.kd
    .uniform_work_group_size: 1
    .uses_dynamic_stack: false
    .vgpr_count:     80
    .vgpr_spill_count: 0
    .wavefront_size: 32
    .workgroup_processor_mode: 1
  - .args:
      - .actual_access:  read_only
        .address_space:  global
        .offset:         0
        .size:           8
        .value_kind:     global_buffer
      - .actual_access:  read_only
        .address_space:  global
        .offset:         8
        .size:           8
        .value_kind:     global_buffer
      - .actual_access:  read_only
        .address_space:  global
        .offset:         16
        .size:           8
        .value_kind:     global_buffer
      - .actual_access:  write_only
        .address_space:  global
        .offset:         24
        .size:           8
        .value_kind:     global_buffer
      - .offset:         32
        .size:           4
        .value_kind:     by_value
      - .offset:         36
        .size:           4
        .value_kind:     by_value
      - .offset:         40
        .size:           4
        .value_kind:     by_value
      - .offset:         44
        .size:           4
        .value_kind:     by_value
      - .offset:         48
        .size:           4
        .value_kind:     by_value
      - .offset:         52
        .size:           4
        .value_kind:     by_value
      - .offset:         56
        .size:           4
        .value_kind:     by_value
      - .offset:         60
        .size:           4
        .value_kind:     by_value
      - .offset:         64
        .size:           4
        .value_kind:     by_value
      - .offset:         68
        .size:           4
        .value_kind:     by_value
      - .offset:         72
        .size:           4
        .value_kind:     by_value
      - .offset:         76
        .size:           4
        .value_kind:     by_value
      - .offset:         80
        .size:           4
        .value_kind:     by_value
      - .offset:         84
        .size:           4
        .value_kind:     by_value
      - .offset:         88
        .size:           4
        .value_kind:     by_value
      - .offset:         92
        .size:           4
        .value_kind:     by_value
    .group_segment_fixed_size: 0
    .kernarg_segment_align: 8
    .kernarg_segment_size: 96
    .language:       OpenCL C
    .language_version:
      - 2
      - 0
    .max_flat_workgroup_size: 160
    .name:           _ZL9mul_mat_fI15__hip_bfloat162Li32ELi4ELi5ELb0EEvPKT_PKfPKiPfiiiiiiiiiiiiiiii
    .private_segment_fixed_size: 0
    .sgpr_count:     70
    .sgpr_spill_count: 0
    .symbol:         _ZL9mul_mat_fI15__hip_bfloat162Li32ELi4ELi5ELb0EEvPKT_PKfPKiPfiiiiiiiiiiiiiiii.kd
    .uniform_work_group_size: 1
    .uses_dynamic_stack: false
    .vgpr_count:     69
    .vgpr_spill_count: 0
    .wavefront_size: 32
    .workgroup_processor_mode: 1
  - .args:
      - .actual_access:  read_only
        .address_space:  global
        .offset:         0
        .size:           8
        .value_kind:     global_buffer
      - .actual_access:  read_only
        .address_space:  global
        .offset:         8
        .size:           8
        .value_kind:     global_buffer
      - .actual_access:  read_only
        .address_space:  global
        .offset:         16
        .size:           8
        .value_kind:     global_buffer
      - .actual_access:  read_only
        .address_space:  global
        .offset:         24
        .size:           8
        .value_kind:     global_buffer
      - .actual_access:  read_only
        .address_space:  global
        .offset:         32
        .size:           8
        .value_kind:     global_buffer
      - .actual_access:  write_only
        .address_space:  global
        .offset:         40
        .size:           8
        .value_kind:     global_buffer
      - .offset:         48
        .size:           4
        .value_kind:     by_value
      - .offset:         52
        .size:           4
        .value_kind:     by_value
      - .offset:         56
        .size:           4
        .value_kind:     by_value
      - .offset:         60
        .size:           4
        .value_kind:     by_value
      - .offset:         64
        .size:           4
        .value_kind:     by_value
      - .offset:         68
        .size:           4
        .value_kind:     by_value
      - .offset:         72
        .size:           4
        .value_kind:     by_value
      - .offset:         76
        .size:           4
        .value_kind:     by_value
      - .offset:         80
        .size:           4
        .value_kind:     by_value
      - .offset:         84
        .size:           4
        .value_kind:     by_value
      - .offset:         88
        .size:           4
        .value_kind:     by_value
      - .offset:         92
        .size:           4
        .value_kind:     by_value
      - .offset:         96
        .size:           4
        .value_kind:     by_value
      - .offset:         100
        .size:           4
        .value_kind:     by_value
      - .offset:         104
        .size:           12
        .value_kind:     by_value
      - .offset:         116
        .size:           12
        .value_kind:     by_value
    .group_segment_fixed_size: 0
    .kernarg_segment_align: 8
    .kernarg_segment_size: 128
    .language:       OpenCL C
    .language_version:
      - 2
      - 0
    .max_flat_workgroup_size: 192
    .name:           _ZL13mul_mat_f_idsI15__hip_bfloat162Li32ELi4ELi6EEvPKT_PKfPKiS7_S7_Pfiiiiiiiiiiiiii15HIP_vector_typeIjLj3EESA_
    .private_segment_fixed_size: 0
    .sgpr_count:     76
    .sgpr_spill_count: 0
    .symbol:         _ZL13mul_mat_f_idsI15__hip_bfloat162Li32ELi4ELi6EEvPKT_PKfPKiS7_S7_Pfiiiiiiiiiiiiii15HIP_vector_typeIjLj3EESA_.kd
    .uniform_work_group_size: 1
    .uses_dynamic_stack: false
    .vgpr_count:     74
    .vgpr_spill_count: 0
    .wavefront_size: 32
    .workgroup_processor_mode: 1
  - .args:
      - .actual_access:  read_only
        .address_space:  global
        .offset:         0
        .size:           8
        .value_kind:     global_buffer
      - .actual_access:  read_only
        .address_space:  global
        .offset:         8
        .size:           8
        .value_kind:     global_buffer
      - .actual_access:  read_only
        .address_space:  global
        .offset:         16
        .size:           8
        .value_kind:     global_buffer
      - .actual_access:  write_only
        .address_space:  global
        .offset:         24
        .size:           8
        .value_kind:     global_buffer
      - .offset:         32
        .size:           4
        .value_kind:     by_value
      - .offset:         36
        .size:           4
        .value_kind:     by_value
      - .offset:         40
        .size:           4
        .value_kind:     by_value
      - .offset:         44
        .size:           4
        .value_kind:     by_value
      - .offset:         48
        .size:           4
        .value_kind:     by_value
      - .offset:         52
        .size:           4
        .value_kind:     by_value
      - .offset:         56
        .size:           4
        .value_kind:     by_value
      - .offset:         60
        .size:           4
        .value_kind:     by_value
      - .offset:         64
        .size:           4
        .value_kind:     by_value
      - .offset:         68
        .size:           4
        .value_kind:     by_value
      - .offset:         72
        .size:           4
        .value_kind:     by_value
      - .offset:         76
        .size:           4
        .value_kind:     by_value
      - .offset:         80
        .size:           4
        .value_kind:     by_value
      - .offset:         84
        .size:           4
        .value_kind:     by_value
      - .offset:         88
        .size:           4
        .value_kind:     by_value
      - .offset:         92
        .size:           4
        .value_kind:     by_value
      - .offset:         96
        .size:           4
        .value_kind:     hidden_block_count_x
      - .offset:         100
        .size:           4
        .value_kind:     hidden_block_count_y
      - .offset:         104
        .size:           4
        .value_kind:     hidden_block_count_z
      - .offset:         108
        .size:           2
        .value_kind:     hidden_group_size_x
      - .offset:         110
        .size:           2
        .value_kind:     hidden_group_size_y
      - .offset:         112
        .size:           2
        .value_kind:     hidden_group_size_z
      - .offset:         114
        .size:           2
        .value_kind:     hidden_remainder_x
      - .offset:         116
        .size:           2
        .value_kind:     hidden_remainder_y
      - .offset:         118
        .size:           2
        .value_kind:     hidden_remainder_z
      - .offset:         136
        .size:           8
        .value_kind:     hidden_global_offset_x
      - .offset:         144
        .size:           8
        .value_kind:     hidden_global_offset_y
      - .offset:         152
        .size:           8
        .value_kind:     hidden_global_offset_z
      - .offset:         160
        .size:           2
        .value_kind:     hidden_grid_dims
      - .offset:         216
        .size:           4
        .value_kind:     hidden_dynamic_lds_size
    .group_segment_fixed_size: 256
    .kernarg_segment_align: 8
    .kernarg_segment_size: 352
    .language:       OpenCL C
    .language_version:
      - 2
      - 0
    .max_flat_workgroup_size: 192
    .name:           _ZL9mul_mat_fI15__hip_bfloat162Li32ELi4ELi6ELb1EEvPKT_PKfPKiPfiiiiiiiiiiiiiiii
    .private_segment_fixed_size: 0
    .sgpr_count:     70
    .sgpr_spill_count: 0
    .symbol:         _ZL9mul_mat_fI15__hip_bfloat162Li32ELi4ELi6ELb1EEvPKT_PKfPKiPfiiiiiiiiiiiiiiii.kd
    .uniform_work_group_size: 1
    .uses_dynamic_stack: false
    .vgpr_count:     80
    .vgpr_spill_count: 0
    .wavefront_size: 32
    .workgroup_processor_mode: 1
  - .args:
      - .actual_access:  read_only
        .address_space:  global
        .offset:         0
        .size:           8
        .value_kind:     global_buffer
      - .actual_access:  read_only
        .address_space:  global
        .offset:         8
        .size:           8
        .value_kind:     global_buffer
      - .actual_access:  read_only
        .address_space:  global
        .offset:         16
        .size:           8
        .value_kind:     global_buffer
      - .actual_access:  write_only
        .address_space:  global
        .offset:         24
        .size:           8
        .value_kind:     global_buffer
      - .offset:         32
        .size:           4
        .value_kind:     by_value
      - .offset:         36
        .size:           4
        .value_kind:     by_value
      - .offset:         40
        .size:           4
        .value_kind:     by_value
      - .offset:         44
        .size:           4
        .value_kind:     by_value
      - .offset:         48
        .size:           4
        .value_kind:     by_value
      - .offset:         52
        .size:           4
        .value_kind:     by_value
      - .offset:         56
        .size:           4
        .value_kind:     by_value
      - .offset:         60
        .size:           4
        .value_kind:     by_value
      - .offset:         64
        .size:           4
        .value_kind:     by_value
      - .offset:         68
        .size:           4
        .value_kind:     by_value
      - .offset:         72
        .size:           4
        .value_kind:     by_value
      - .offset:         76
        .size:           4
        .value_kind:     by_value
      - .offset:         80
        .size:           4
        .value_kind:     by_value
      - .offset:         84
        .size:           4
        .value_kind:     by_value
      - .offset:         88
        .size:           4
        .value_kind:     by_value
      - .offset:         92
        .size:           4
        .value_kind:     by_value
    .group_segment_fixed_size: 0
    .kernarg_segment_align: 8
    .kernarg_segment_size: 96
    .language:       OpenCL C
    .language_version:
      - 2
      - 0
    .max_flat_workgroup_size: 192
    .name:           _ZL9mul_mat_fI15__hip_bfloat162Li32ELi4ELi6ELb0EEvPKT_PKfPKiPfiiiiiiiiiiiiiiii
    .private_segment_fixed_size: 0
    .sgpr_count:     70
    .sgpr_spill_count: 0
    .symbol:         _ZL9mul_mat_fI15__hip_bfloat162Li32ELi4ELi6ELb0EEvPKT_PKfPKiPfiiiiiiiiiiiiiiii.kd
    .uniform_work_group_size: 1
    .uses_dynamic_stack: false
    .vgpr_count:     69
    .vgpr_spill_count: 0
    .wavefront_size: 32
    .workgroup_processor_mode: 1
  - .args:
      - .actual_access:  read_only
        .address_space:  global
        .offset:         0
        .size:           8
        .value_kind:     global_buffer
      - .actual_access:  read_only
        .address_space:  global
        .offset:         8
        .size:           8
        .value_kind:     global_buffer
      - .actual_access:  read_only
        .address_space:  global
        .offset:         16
        .size:           8
        .value_kind:     global_buffer
      - .actual_access:  read_only
        .address_space:  global
        .offset:         24
        .size:           8
        .value_kind:     global_buffer
      - .actual_access:  read_only
        .address_space:  global
        .offset:         32
        .size:           8
        .value_kind:     global_buffer
      - .actual_access:  write_only
        .address_space:  global
        .offset:         40
        .size:           8
        .value_kind:     global_buffer
      - .offset:         48
        .size:           4
        .value_kind:     by_value
      - .offset:         52
        .size:           4
        .value_kind:     by_value
      - .offset:         56
        .size:           4
        .value_kind:     by_value
      - .offset:         60
        .size:           4
        .value_kind:     by_value
      - .offset:         64
        .size:           4
        .value_kind:     by_value
      - .offset:         68
        .size:           4
        .value_kind:     by_value
      - .offset:         72
        .size:           4
        .value_kind:     by_value
      - .offset:         76
        .size:           4
        .value_kind:     by_value
      - .offset:         80
        .size:           4
        .value_kind:     by_value
      - .offset:         84
        .size:           4
        .value_kind:     by_value
      - .offset:         88
        .size:           4
        .value_kind:     by_value
      - .offset:         92
        .size:           4
        .value_kind:     by_value
      - .offset:         96
        .size:           4
        .value_kind:     by_value
      - .offset:         100
        .size:           4
        .value_kind:     by_value
      - .offset:         104
        .size:           12
        .value_kind:     by_value
      - .offset:         116
        .size:           12
        .value_kind:     by_value
    .group_segment_fixed_size: 0
    .kernarg_segment_align: 8
    .kernarg_segment_size: 128
    .language:       OpenCL C
    .language_version:
      - 2
      - 0
    .max_flat_workgroup_size: 224
    .name:           _ZL13mul_mat_f_idsI15__hip_bfloat162Li32ELi4ELi7EEvPKT_PKfPKiS7_S7_Pfiiiiiiiiiiiiii15HIP_vector_typeIjLj3EESA_
    .private_segment_fixed_size: 0
    .sgpr_count:     76
    .sgpr_spill_count: 0
    .symbol:         _ZL13mul_mat_f_idsI15__hip_bfloat162Li32ELi4ELi7EEvPKT_PKfPKiS7_S7_Pfiiiiiiiiiiiiii15HIP_vector_typeIjLj3EESA_.kd
    .uniform_work_group_size: 1
    .uses_dynamic_stack: false
    .vgpr_count:     74
    .vgpr_spill_count: 0
    .wavefront_size: 32
    .workgroup_processor_mode: 1
  - .args:
      - .actual_access:  read_only
        .address_space:  global
        .offset:         0
        .size:           8
        .value_kind:     global_buffer
      - .actual_access:  read_only
        .address_space:  global
        .offset:         8
        .size:           8
        .value_kind:     global_buffer
      - .actual_access:  read_only
        .address_space:  global
        .offset:         16
        .size:           8
        .value_kind:     global_buffer
      - .actual_access:  write_only
        .address_space:  global
        .offset:         24
        .size:           8
        .value_kind:     global_buffer
      - .offset:         32
        .size:           4
        .value_kind:     by_value
      - .offset:         36
        .size:           4
        .value_kind:     by_value
      - .offset:         40
        .size:           4
        .value_kind:     by_value
      - .offset:         44
        .size:           4
        .value_kind:     by_value
      - .offset:         48
        .size:           4
        .value_kind:     by_value
      - .offset:         52
        .size:           4
        .value_kind:     by_value
      - .offset:         56
        .size:           4
        .value_kind:     by_value
      - .offset:         60
        .size:           4
        .value_kind:     by_value
      - .offset:         64
        .size:           4
        .value_kind:     by_value
      - .offset:         68
        .size:           4
        .value_kind:     by_value
      - .offset:         72
        .size:           4
        .value_kind:     by_value
      - .offset:         76
        .size:           4
        .value_kind:     by_value
      - .offset:         80
        .size:           4
        .value_kind:     by_value
      - .offset:         84
        .size:           4
        .value_kind:     by_value
      - .offset:         88
        .size:           4
        .value_kind:     by_value
      - .offset:         92
        .size:           4
        .value_kind:     by_value
      - .offset:         96
        .size:           4
        .value_kind:     hidden_block_count_x
      - .offset:         100
        .size:           4
        .value_kind:     hidden_block_count_y
      - .offset:         104
        .size:           4
        .value_kind:     hidden_block_count_z
      - .offset:         108
        .size:           2
        .value_kind:     hidden_group_size_x
      - .offset:         110
        .size:           2
        .value_kind:     hidden_group_size_y
      - .offset:         112
        .size:           2
        .value_kind:     hidden_group_size_z
      - .offset:         114
        .size:           2
        .value_kind:     hidden_remainder_x
      - .offset:         116
        .size:           2
        .value_kind:     hidden_remainder_y
      - .offset:         118
        .size:           2
        .value_kind:     hidden_remainder_z
      - .offset:         136
        .size:           8
        .value_kind:     hidden_global_offset_x
      - .offset:         144
        .size:           8
        .value_kind:     hidden_global_offset_y
      - .offset:         152
        .size:           8
        .value_kind:     hidden_global_offset_z
      - .offset:         160
        .size:           2
        .value_kind:     hidden_grid_dims
      - .offset:         216
        .size:           4
        .value_kind:     hidden_dynamic_lds_size
    .group_segment_fixed_size: 256
    .kernarg_segment_align: 8
    .kernarg_segment_size: 352
    .language:       OpenCL C
    .language_version:
      - 2
      - 0
    .max_flat_workgroup_size: 224
    .name:           _ZL9mul_mat_fI15__hip_bfloat162Li32ELi4ELi7ELb1EEvPKT_PKfPKiPfiiiiiiiiiiiiiiii
    .private_segment_fixed_size: 0
    .sgpr_count:     70
    .sgpr_spill_count: 0
    .symbol:         _ZL9mul_mat_fI15__hip_bfloat162Li32ELi4ELi7ELb1EEvPKT_PKfPKiPfiiiiiiiiiiiiiiii.kd
    .uniform_work_group_size: 1
    .uses_dynamic_stack: false
    .vgpr_count:     80
    .vgpr_spill_count: 0
    .wavefront_size: 32
    .workgroup_processor_mode: 1
  - .args:
      - .actual_access:  read_only
        .address_space:  global
        .offset:         0
        .size:           8
        .value_kind:     global_buffer
      - .actual_access:  read_only
        .address_space:  global
        .offset:         8
        .size:           8
        .value_kind:     global_buffer
      - .actual_access:  read_only
        .address_space:  global
        .offset:         16
        .size:           8
        .value_kind:     global_buffer
      - .actual_access:  write_only
        .address_space:  global
        .offset:         24
        .size:           8
        .value_kind:     global_buffer
      - .offset:         32
        .size:           4
        .value_kind:     by_value
      - .offset:         36
        .size:           4
        .value_kind:     by_value
      - .offset:         40
        .size:           4
        .value_kind:     by_value
      - .offset:         44
        .size:           4
        .value_kind:     by_value
      - .offset:         48
        .size:           4
        .value_kind:     by_value
      - .offset:         52
        .size:           4
        .value_kind:     by_value
      - .offset:         56
        .size:           4
        .value_kind:     by_value
      - .offset:         60
        .size:           4
        .value_kind:     by_value
      - .offset:         64
        .size:           4
        .value_kind:     by_value
      - .offset:         68
        .size:           4
        .value_kind:     by_value
      - .offset:         72
        .size:           4
        .value_kind:     by_value
      - .offset:         76
        .size:           4
        .value_kind:     by_value
      - .offset:         80
        .size:           4
        .value_kind:     by_value
      - .offset:         84
        .size:           4
        .value_kind:     by_value
      - .offset:         88
        .size:           4
        .value_kind:     by_value
      - .offset:         92
        .size:           4
        .value_kind:     by_value
    .group_segment_fixed_size: 0
    .kernarg_segment_align: 8
    .kernarg_segment_size: 96
    .language:       OpenCL C
    .language_version:
      - 2
      - 0
    .max_flat_workgroup_size: 224
    .name:           _ZL9mul_mat_fI15__hip_bfloat162Li32ELi4ELi7ELb0EEvPKT_PKfPKiPfiiiiiiiiiiiiiiii
    .private_segment_fixed_size: 0
    .sgpr_count:     70
    .sgpr_spill_count: 0
    .symbol:         _ZL9mul_mat_fI15__hip_bfloat162Li32ELi4ELi7ELb0EEvPKT_PKfPKiPfiiiiiiiiiiiiiiii.kd
    .uniform_work_group_size: 1
    .uses_dynamic_stack: false
    .vgpr_count:     69
    .vgpr_spill_count: 0
    .wavefront_size: 32
    .workgroup_processor_mode: 1
  - .args:
      - .actual_access:  read_only
        .address_space:  global
        .offset:         0
        .size:           8
        .value_kind:     global_buffer
      - .actual_access:  read_only
        .address_space:  global
        .offset:         8
        .size:           8
        .value_kind:     global_buffer
      - .actual_access:  read_only
        .address_space:  global
        .offset:         16
        .size:           8
        .value_kind:     global_buffer
      - .actual_access:  read_only
        .address_space:  global
        .offset:         24
        .size:           8
        .value_kind:     global_buffer
      - .actual_access:  read_only
        .address_space:  global
        .offset:         32
        .size:           8
        .value_kind:     global_buffer
      - .actual_access:  write_only
        .address_space:  global
        .offset:         40
        .size:           8
        .value_kind:     global_buffer
      - .offset:         48
        .size:           4
        .value_kind:     by_value
      - .offset:         52
        .size:           4
        .value_kind:     by_value
      - .offset:         56
        .size:           4
        .value_kind:     by_value
      - .offset:         60
        .size:           4
        .value_kind:     by_value
      - .offset:         64
        .size:           4
        .value_kind:     by_value
      - .offset:         68
        .size:           4
        .value_kind:     by_value
      - .offset:         72
        .size:           4
        .value_kind:     by_value
      - .offset:         76
        .size:           4
        .value_kind:     by_value
      - .offset:         80
        .size:           4
        .value_kind:     by_value
      - .offset:         84
        .size:           4
        .value_kind:     by_value
      - .offset:         88
        .size:           4
        .value_kind:     by_value
      - .offset:         92
        .size:           4
        .value_kind:     by_value
      - .offset:         96
        .size:           4
        .value_kind:     by_value
      - .offset:         100
        .size:           4
        .value_kind:     by_value
      - .offset:         104
        .size:           12
        .value_kind:     by_value
      - .offset:         116
        .size:           12
        .value_kind:     by_value
    .group_segment_fixed_size: 0
    .kernarg_segment_align: 8
    .kernarg_segment_size: 128
    .language:       OpenCL C
    .language_version:
      - 2
      - 0
    .max_flat_workgroup_size: 256
    .name:           _ZL13mul_mat_f_idsI15__hip_bfloat162Li32ELi4ELi8EEvPKT_PKfPKiS7_S7_Pfiiiiiiiiiiiiii15HIP_vector_typeIjLj3EESA_
    .private_segment_fixed_size: 0
    .sgpr_count:     76
    .sgpr_spill_count: 0
    .symbol:         _ZL13mul_mat_f_idsI15__hip_bfloat162Li32ELi4ELi8EEvPKT_PKfPKiS7_S7_Pfiiiiiiiiiiiiii15HIP_vector_typeIjLj3EESA_.kd
    .uniform_work_group_size: 1
    .uses_dynamic_stack: false
    .vgpr_count:     74
    .vgpr_spill_count: 0
    .wavefront_size: 32
    .workgroup_processor_mode: 1
  - .args:
      - .actual_access:  read_only
        .address_space:  global
        .offset:         0
        .size:           8
        .value_kind:     global_buffer
      - .actual_access:  read_only
        .address_space:  global
        .offset:         8
        .size:           8
        .value_kind:     global_buffer
      - .actual_access:  read_only
        .address_space:  global
        .offset:         16
        .size:           8
        .value_kind:     global_buffer
      - .actual_access:  write_only
        .address_space:  global
        .offset:         24
        .size:           8
        .value_kind:     global_buffer
      - .offset:         32
        .size:           4
        .value_kind:     by_value
      - .offset:         36
        .size:           4
        .value_kind:     by_value
      - .offset:         40
        .size:           4
        .value_kind:     by_value
      - .offset:         44
        .size:           4
        .value_kind:     by_value
      - .offset:         48
        .size:           4
        .value_kind:     by_value
      - .offset:         52
        .size:           4
        .value_kind:     by_value
      - .offset:         56
        .size:           4
        .value_kind:     by_value
      - .offset:         60
        .size:           4
        .value_kind:     by_value
      - .offset:         64
        .size:           4
        .value_kind:     by_value
      - .offset:         68
        .size:           4
        .value_kind:     by_value
      - .offset:         72
        .size:           4
        .value_kind:     by_value
      - .offset:         76
        .size:           4
        .value_kind:     by_value
      - .offset:         80
        .size:           4
        .value_kind:     by_value
      - .offset:         84
        .size:           4
        .value_kind:     by_value
      - .offset:         88
        .size:           4
        .value_kind:     by_value
      - .offset:         92
        .size:           4
        .value_kind:     by_value
      - .offset:         96
        .size:           4
        .value_kind:     hidden_block_count_x
      - .offset:         100
        .size:           4
        .value_kind:     hidden_block_count_y
      - .offset:         104
        .size:           4
        .value_kind:     hidden_block_count_z
      - .offset:         108
        .size:           2
        .value_kind:     hidden_group_size_x
      - .offset:         110
        .size:           2
        .value_kind:     hidden_group_size_y
      - .offset:         112
        .size:           2
        .value_kind:     hidden_group_size_z
      - .offset:         114
        .size:           2
        .value_kind:     hidden_remainder_x
      - .offset:         116
        .size:           2
        .value_kind:     hidden_remainder_y
      - .offset:         118
        .size:           2
        .value_kind:     hidden_remainder_z
      - .offset:         136
        .size:           8
        .value_kind:     hidden_global_offset_x
      - .offset:         144
        .size:           8
        .value_kind:     hidden_global_offset_y
      - .offset:         152
        .size:           8
        .value_kind:     hidden_global_offset_z
      - .offset:         160
        .size:           2
        .value_kind:     hidden_grid_dims
      - .offset:         216
        .size:           4
        .value_kind:     hidden_dynamic_lds_size
    .group_segment_fixed_size: 256
    .kernarg_segment_align: 8
    .kernarg_segment_size: 352
    .language:       OpenCL C
    .language_version:
      - 2
      - 0
    .max_flat_workgroup_size: 256
    .name:           _ZL9mul_mat_fI15__hip_bfloat162Li32ELi4ELi8ELb1EEvPKT_PKfPKiPfiiiiiiiiiiiiiiii
    .private_segment_fixed_size: 0
    .sgpr_count:     70
    .sgpr_spill_count: 0
    .symbol:         _ZL9mul_mat_fI15__hip_bfloat162Li32ELi4ELi8ELb1EEvPKT_PKfPKiPfiiiiiiiiiiiiiiii.kd
    .uniform_work_group_size: 1
    .uses_dynamic_stack: false
    .vgpr_count:     82
    .vgpr_spill_count: 0
    .wavefront_size: 32
    .workgroup_processor_mode: 1
  - .args:
      - .actual_access:  read_only
        .address_space:  global
        .offset:         0
        .size:           8
        .value_kind:     global_buffer
      - .actual_access:  read_only
        .address_space:  global
        .offset:         8
        .size:           8
        .value_kind:     global_buffer
      - .actual_access:  read_only
        .address_space:  global
        .offset:         16
        .size:           8
        .value_kind:     global_buffer
      - .actual_access:  write_only
        .address_space:  global
        .offset:         24
        .size:           8
        .value_kind:     global_buffer
      - .offset:         32
        .size:           4
        .value_kind:     by_value
      - .offset:         36
        .size:           4
        .value_kind:     by_value
      - .offset:         40
        .size:           4
        .value_kind:     by_value
      - .offset:         44
        .size:           4
        .value_kind:     by_value
      - .offset:         48
        .size:           4
        .value_kind:     by_value
      - .offset:         52
        .size:           4
        .value_kind:     by_value
      - .offset:         56
        .size:           4
        .value_kind:     by_value
      - .offset:         60
        .size:           4
        .value_kind:     by_value
      - .offset:         64
        .size:           4
        .value_kind:     by_value
      - .offset:         68
        .size:           4
        .value_kind:     by_value
      - .offset:         72
        .size:           4
        .value_kind:     by_value
      - .offset:         76
        .size:           4
        .value_kind:     by_value
      - .offset:         80
        .size:           4
        .value_kind:     by_value
      - .offset:         84
        .size:           4
        .value_kind:     by_value
      - .offset:         88
        .size:           4
        .value_kind:     by_value
      - .offset:         92
        .size:           4
        .value_kind:     by_value
    .group_segment_fixed_size: 0
    .kernarg_segment_align: 8
    .kernarg_segment_size: 96
    .language:       OpenCL C
    .language_version:
      - 2
      - 0
    .max_flat_workgroup_size: 256
    .name:           _ZL9mul_mat_fI15__hip_bfloat162Li32ELi4ELi8ELb0EEvPKT_PKfPKiPfiiiiiiiiiiiiiiii
    .private_segment_fixed_size: 0
    .sgpr_count:     70
    .sgpr_spill_count: 0
    .symbol:         _ZL9mul_mat_fI15__hip_bfloat162Li32ELi4ELi8ELb0EEvPKT_PKfPKiPfiiiiiiiiiiiiiiii.kd
    .uniform_work_group_size: 1
    .uses_dynamic_stack: false
    .vgpr_count:     69
    .vgpr_spill_count: 0
    .wavefront_size: 32
    .workgroup_processor_mode: 1
  - .args:
      - .actual_access:  read_only
        .address_space:  global
        .offset:         0
        .size:           8
        .value_kind:     global_buffer
      - .actual_access:  read_only
        .address_space:  global
        .offset:         8
        .size:           8
        .value_kind:     global_buffer
      - .actual_access:  read_only
        .address_space:  global
        .offset:         16
        .size:           8
        .value_kind:     global_buffer
      - .actual_access:  read_only
        .address_space:  global
        .offset:         24
        .size:           8
        .value_kind:     global_buffer
      - .actual_access:  read_only
        .address_space:  global
        .offset:         32
        .size:           8
        .value_kind:     global_buffer
      - .actual_access:  read_only
        .address_space:  global
        .offset:         40
        .size:           8
        .value_kind:     global_buffer
      - .offset:         48
        .size:           4
        .value_kind:     by_value
      - .offset:         52
        .size:           4
        .value_kind:     by_value
      - .offset:         56
        .size:           4
        .value_kind:     by_value
      - .offset:         60
        .size:           4
        .value_kind:     by_value
      - .offset:         64
        .size:           4
        .value_kind:     by_value
      - .offset:         68
        .size:           4
        .value_kind:     by_value
      - .offset:         72
        .size:           4
        .value_kind:     by_value
      - .offset:         76
        .size:           4
        .value_kind:     by_value
      - .offset:         80
        .size:           4
        .value_kind:     by_value
      - .offset:         84
        .size:           4
        .value_kind:     by_value
      - .offset:         88
        .size:           4
        .value_kind:     by_value
      - .offset:         92
        .size:           4
        .value_kind:     by_value
      - .offset:         96
        .size:           4
        .value_kind:     by_value
      - .offset:         100
        .size:           4
        .value_kind:     by_value
      - .offset:         104
        .size:           12
        .value_kind:     by_value
      - .offset:         116
        .size:           12
        .value_kind:     by_value
      - .offset:         128
        .size:           4
        .value_kind:     hidden_block_count_x
      - .offset:         132
        .size:           4
        .value_kind:     hidden_block_count_y
      - .offset:         136
        .size:           4
        .value_kind:     hidden_block_count_z
      - .offset:         140
        .size:           2
        .value_kind:     hidden_group_size_x
      - .offset:         142
        .size:           2
        .value_kind:     hidden_group_size_y
      - .offset:         144
        .size:           2
        .value_kind:     hidden_group_size_z
      - .offset:         146
        .size:           2
        .value_kind:     hidden_remainder_x
      - .offset:         148
        .size:           2
        .value_kind:     hidden_remainder_y
      - .offset:         150
        .size:           2
        .value_kind:     hidden_remainder_z
      - .offset:         168
        .size:           8
        .value_kind:     hidden_global_offset_x
      - .offset:         176
        .size:           8
        .value_kind:     hidden_global_offset_y
      - .offset:         184
        .size:           8
        .value_kind:     hidden_global_offset_z
      - .offset:         192
        .size:           2
        .value_kind:     hidden_grid_dims
      - .offset:         208
        .size:           8
        .value_kind:     hidden_hostcall_buffer
    .group_segment_fixed_size: 0
    .kernarg_segment_align: 8
    .kernarg_segment_size: 384
    .language:       OpenCL C
    .language_version:
      - 2
      - 0
    .max_flat_workgroup_size: 32
    .name:           _ZL13mul_mat_f_idsIfLi64ELi4ELi1EEvPKT_PKfPKiS6_S6_Pfiiiiiiiiiiiiii15HIP_vector_typeIjLj3EES9_
    .private_segment_fixed_size: 16
    .sgpr_count:     36
    .sgpr_spill_count: 0
    .symbol:         _ZL13mul_mat_f_idsIfLi64ELi4ELi1EEvPKT_PKfPKiS6_S6_Pfiiiiiiiiiiiiii15HIP_vector_typeIjLj3EES9_.kd
    .uniform_work_group_size: 1
    .uses_dynamic_stack: false
    .vgpr_count:     38
    .vgpr_spill_count: 0
    .wavefront_size: 32
    .workgroup_processor_mode: 1
  - .args:
      - .actual_access:  read_only
        .address_space:  global
        .offset:         0
        .size:           8
        .value_kind:     global_buffer
      - .actual_access:  read_only
        .address_space:  global
        .offset:         8
        .size:           8
        .value_kind:     global_buffer
      - .actual_access:  read_only
        .address_space:  global
        .offset:         16
        .size:           8
        .value_kind:     global_buffer
      - .actual_access:  read_only
        .address_space:  global
        .offset:         24
        .size:           8
        .value_kind:     global_buffer
      - .offset:         32
        .size:           4
        .value_kind:     by_value
      - .offset:         36
        .size:           4
        .value_kind:     by_value
      - .offset:         40
        .size:           4
        .value_kind:     by_value
      - .offset:         44
        .size:           4
        .value_kind:     by_value
      - .offset:         48
        .size:           4
        .value_kind:     by_value
      - .offset:         52
        .size:           4
        .value_kind:     by_value
      - .offset:         56
        .size:           4
        .value_kind:     by_value
      - .offset:         60
        .size:           4
        .value_kind:     by_value
      - .offset:         64
        .size:           4
        .value_kind:     by_value
      - .offset:         68
        .size:           4
        .value_kind:     by_value
      - .offset:         72
        .size:           4
        .value_kind:     by_value
      - .offset:         76
        .size:           4
        .value_kind:     by_value
      - .offset:         80
        .size:           4
        .value_kind:     by_value
      - .offset:         84
        .size:           4
        .value_kind:     by_value
      - .offset:         88
        .size:           4
        .value_kind:     by_value
      - .offset:         92
        .size:           4
        .value_kind:     by_value
      - .offset:         96
        .size:           4
        .value_kind:     hidden_block_count_x
      - .offset:         100
        .size:           4
        .value_kind:     hidden_block_count_y
      - .offset:         104
        .size:           4
        .value_kind:     hidden_block_count_z
      - .offset:         108
        .size:           2
        .value_kind:     hidden_group_size_x
      - .offset:         110
        .size:           2
        .value_kind:     hidden_group_size_y
      - .offset:         112
        .size:           2
        .value_kind:     hidden_group_size_z
      - .offset:         114
        .size:           2
        .value_kind:     hidden_remainder_x
      - .offset:         116
        .size:           2
        .value_kind:     hidden_remainder_y
      - .offset:         118
        .size:           2
        .value_kind:     hidden_remainder_z
      - .offset:         136
        .size:           8
        .value_kind:     hidden_global_offset_x
      - .offset:         144
        .size:           8
        .value_kind:     hidden_global_offset_y
      - .offset:         152
        .size:           8
        .value_kind:     hidden_global_offset_z
      - .offset:         160
        .size:           2
        .value_kind:     hidden_grid_dims
      - .offset:         176
        .size:           8
        .value_kind:     hidden_hostcall_buffer
    .group_segment_fixed_size: 0
    .kernarg_segment_align: 8
    .kernarg_segment_size: 352
    .language:       OpenCL C
    .language_version:
      - 2
      - 0
    .max_flat_workgroup_size: 32
    .name:           _ZL9mul_mat_fIfLi64ELi4ELi1ELb1EEvPKT_PKfPKiPfiiiiiiiiiiiiiiii
    .private_segment_fixed_size: 16
    .sgpr_count:     36
    .sgpr_spill_count: 0
    .symbol:         _ZL9mul_mat_fIfLi64ELi4ELi1ELb1EEvPKT_PKfPKiPfiiiiiiiiiiiiiiii.kd
    .uniform_work_group_size: 1
    .uses_dynamic_stack: false
    .vgpr_count:     38
    .vgpr_spill_count: 0
    .wavefront_size: 32
    .workgroup_processor_mode: 1
  - .args:
      - .actual_access:  read_only
        .address_space:  global
        .offset:         0
        .size:           8
        .value_kind:     global_buffer
      - .actual_access:  read_only
        .address_space:  global
        .offset:         8
        .size:           8
        .value_kind:     global_buffer
      - .actual_access:  read_only
        .address_space:  global
        .offset:         16
        .size:           8
        .value_kind:     global_buffer
      - .actual_access:  read_only
        .address_space:  global
        .offset:         24
        .size:           8
        .value_kind:     global_buffer
      - .offset:         32
        .size:           4
        .value_kind:     by_value
      - .offset:         36
        .size:           4
        .value_kind:     by_value
      - .offset:         40
        .size:           4
        .value_kind:     by_value
      - .offset:         44
        .size:           4
        .value_kind:     by_value
      - .offset:         48
        .size:           4
        .value_kind:     by_value
      - .offset:         52
        .size:           4
        .value_kind:     by_value
      - .offset:         56
        .size:           4
        .value_kind:     by_value
      - .offset:         60
        .size:           4
        .value_kind:     by_value
      - .offset:         64
        .size:           4
        .value_kind:     by_value
      - .offset:         68
        .size:           4
        .value_kind:     by_value
      - .offset:         72
        .size:           4
        .value_kind:     by_value
      - .offset:         76
        .size:           4
        .value_kind:     by_value
      - .offset:         80
        .size:           4
        .value_kind:     by_value
      - .offset:         84
        .size:           4
        .value_kind:     by_value
      - .offset:         88
        .size:           4
        .value_kind:     by_value
      - .offset:         92
        .size:           4
        .value_kind:     by_value
      - .offset:         96
        .size:           4
        .value_kind:     hidden_block_count_x
      - .offset:         100
        .size:           4
        .value_kind:     hidden_block_count_y
      - .offset:         104
        .size:           4
        .value_kind:     hidden_block_count_z
      - .offset:         108
        .size:           2
        .value_kind:     hidden_group_size_x
      - .offset:         110
        .size:           2
        .value_kind:     hidden_group_size_y
      - .offset:         112
        .size:           2
        .value_kind:     hidden_group_size_z
      - .offset:         114
        .size:           2
        .value_kind:     hidden_remainder_x
      - .offset:         116
        .size:           2
        .value_kind:     hidden_remainder_y
      - .offset:         118
        .size:           2
        .value_kind:     hidden_remainder_z
      - .offset:         136
        .size:           8
        .value_kind:     hidden_global_offset_x
      - .offset:         144
        .size:           8
        .value_kind:     hidden_global_offset_y
      - .offset:         152
        .size:           8
        .value_kind:     hidden_global_offset_z
      - .offset:         160
        .size:           2
        .value_kind:     hidden_grid_dims
      - .offset:         176
        .size:           8
        .value_kind:     hidden_hostcall_buffer
    .group_segment_fixed_size: 0
    .kernarg_segment_align: 8
    .kernarg_segment_size: 352
    .language:       OpenCL C
    .language_version:
      - 2
      - 0
    .max_flat_workgroup_size: 32
    .name:           _ZL9mul_mat_fIfLi64ELi4ELi1ELb0EEvPKT_PKfPKiPfiiiiiiiiiiiiiiii
    .private_segment_fixed_size: 16
    .sgpr_count:     36
    .sgpr_spill_count: 0
    .symbol:         _ZL9mul_mat_fIfLi64ELi4ELi1ELb0EEvPKT_PKfPKiPfiiiiiiiiiiiiiiii.kd
    .uniform_work_group_size: 1
    .uses_dynamic_stack: false
    .vgpr_count:     38
    .vgpr_spill_count: 0
    .wavefront_size: 32
    .workgroup_processor_mode: 1
  - .args:
      - .actual_access:  read_only
        .address_space:  global
        .offset:         0
        .size:           8
        .value_kind:     global_buffer
      - .actual_access:  read_only
        .address_space:  global
        .offset:         8
        .size:           8
        .value_kind:     global_buffer
      - .actual_access:  read_only
        .address_space:  global
        .offset:         16
        .size:           8
        .value_kind:     global_buffer
      - .actual_access:  read_only
        .address_space:  global
        .offset:         24
        .size:           8
        .value_kind:     global_buffer
      - .actual_access:  read_only
        .address_space:  global
        .offset:         32
        .size:           8
        .value_kind:     global_buffer
      - .actual_access:  read_only
        .address_space:  global
        .offset:         40
        .size:           8
        .value_kind:     global_buffer
      - .offset:         48
        .size:           4
        .value_kind:     by_value
      - .offset:         52
        .size:           4
        .value_kind:     by_value
      - .offset:         56
        .size:           4
        .value_kind:     by_value
      - .offset:         60
        .size:           4
        .value_kind:     by_value
      - .offset:         64
        .size:           4
        .value_kind:     by_value
      - .offset:         68
        .size:           4
        .value_kind:     by_value
      - .offset:         72
        .size:           4
        .value_kind:     by_value
      - .offset:         76
        .size:           4
        .value_kind:     by_value
      - .offset:         80
        .size:           4
        .value_kind:     by_value
      - .offset:         84
        .size:           4
        .value_kind:     by_value
      - .offset:         88
        .size:           4
        .value_kind:     by_value
      - .offset:         92
        .size:           4
        .value_kind:     by_value
      - .offset:         96
        .size:           4
        .value_kind:     by_value
      - .offset:         100
        .size:           4
        .value_kind:     by_value
      - .offset:         104
        .size:           12
        .value_kind:     by_value
      - .offset:         116
        .size:           12
        .value_kind:     by_value
      - .offset:         128
        .size:           4
        .value_kind:     hidden_block_count_x
      - .offset:         132
        .size:           4
        .value_kind:     hidden_block_count_y
      - .offset:         136
        .size:           4
        .value_kind:     hidden_block_count_z
      - .offset:         140
        .size:           2
        .value_kind:     hidden_group_size_x
      - .offset:         142
        .size:           2
        .value_kind:     hidden_group_size_y
      - .offset:         144
        .size:           2
        .value_kind:     hidden_group_size_z
      - .offset:         146
        .size:           2
        .value_kind:     hidden_remainder_x
      - .offset:         148
        .size:           2
        .value_kind:     hidden_remainder_y
      - .offset:         150
        .size:           2
        .value_kind:     hidden_remainder_z
      - .offset:         168
        .size:           8
        .value_kind:     hidden_global_offset_x
      - .offset:         176
        .size:           8
        .value_kind:     hidden_global_offset_y
      - .offset:         184
        .size:           8
        .value_kind:     hidden_global_offset_z
      - .offset:         192
        .size:           2
        .value_kind:     hidden_grid_dims
      - .offset:         208
        .size:           8
        .value_kind:     hidden_hostcall_buffer
    .group_segment_fixed_size: 0
    .kernarg_segment_align: 8
    .kernarg_segment_size: 384
    .language:       OpenCL C
    .language_version:
      - 2
      - 0
    .max_flat_workgroup_size: 64
    .name:           _ZL13mul_mat_f_idsIfLi64ELi4ELi2EEvPKT_PKfPKiS6_S6_Pfiiiiiiiiiiiiii15HIP_vector_typeIjLj3EES9_
    .private_segment_fixed_size: 16
    .sgpr_count:     36
    .sgpr_spill_count: 0
    .symbol:         _ZL13mul_mat_f_idsIfLi64ELi4ELi2EEvPKT_PKfPKiS6_S6_Pfiiiiiiiiiiiiii15HIP_vector_typeIjLj3EES9_.kd
    .uniform_work_group_size: 1
    .uses_dynamic_stack: false
    .vgpr_count:     38
    .vgpr_spill_count: 0
    .wavefront_size: 32
    .workgroup_processor_mode: 1
  - .args:
      - .actual_access:  read_only
        .address_space:  global
        .offset:         0
        .size:           8
        .value_kind:     global_buffer
      - .actual_access:  read_only
        .address_space:  global
        .offset:         8
        .size:           8
        .value_kind:     global_buffer
      - .actual_access:  read_only
        .address_space:  global
        .offset:         16
        .size:           8
        .value_kind:     global_buffer
      - .actual_access:  read_only
        .address_space:  global
        .offset:         24
        .size:           8
        .value_kind:     global_buffer
      - .offset:         32
        .size:           4
        .value_kind:     by_value
      - .offset:         36
        .size:           4
        .value_kind:     by_value
      - .offset:         40
        .size:           4
        .value_kind:     by_value
      - .offset:         44
        .size:           4
        .value_kind:     by_value
      - .offset:         48
        .size:           4
        .value_kind:     by_value
      - .offset:         52
        .size:           4
        .value_kind:     by_value
      - .offset:         56
        .size:           4
        .value_kind:     by_value
      - .offset:         60
        .size:           4
        .value_kind:     by_value
      - .offset:         64
        .size:           4
        .value_kind:     by_value
      - .offset:         68
        .size:           4
        .value_kind:     by_value
      - .offset:         72
        .size:           4
        .value_kind:     by_value
      - .offset:         76
        .size:           4
        .value_kind:     by_value
      - .offset:         80
        .size:           4
        .value_kind:     by_value
      - .offset:         84
        .size:           4
        .value_kind:     by_value
      - .offset:         88
        .size:           4
        .value_kind:     by_value
      - .offset:         92
        .size:           4
        .value_kind:     by_value
      - .offset:         96
        .size:           4
        .value_kind:     hidden_block_count_x
      - .offset:         100
        .size:           4
        .value_kind:     hidden_block_count_y
      - .offset:         104
        .size:           4
        .value_kind:     hidden_block_count_z
      - .offset:         108
        .size:           2
        .value_kind:     hidden_group_size_x
      - .offset:         110
        .size:           2
        .value_kind:     hidden_group_size_y
      - .offset:         112
        .size:           2
        .value_kind:     hidden_group_size_z
      - .offset:         114
        .size:           2
        .value_kind:     hidden_remainder_x
      - .offset:         116
        .size:           2
        .value_kind:     hidden_remainder_y
      - .offset:         118
        .size:           2
        .value_kind:     hidden_remainder_z
      - .offset:         136
        .size:           8
        .value_kind:     hidden_global_offset_x
      - .offset:         144
        .size:           8
        .value_kind:     hidden_global_offset_y
      - .offset:         152
        .size:           8
        .value_kind:     hidden_global_offset_z
      - .offset:         160
        .size:           2
        .value_kind:     hidden_grid_dims
      - .offset:         176
        .size:           8
        .value_kind:     hidden_hostcall_buffer
    .group_segment_fixed_size: 0
    .kernarg_segment_align: 8
    .kernarg_segment_size: 352
    .language:       OpenCL C
    .language_version:
      - 2
      - 0
    .max_flat_workgroup_size: 64
    .name:           _ZL9mul_mat_fIfLi64ELi4ELi2ELb1EEvPKT_PKfPKiPfiiiiiiiiiiiiiiii
    .private_segment_fixed_size: 16
    .sgpr_count:     36
    .sgpr_spill_count: 0
    .symbol:         _ZL9mul_mat_fIfLi64ELi4ELi2ELb1EEvPKT_PKfPKiPfiiiiiiiiiiiiiiii.kd
    .uniform_work_group_size: 1
    .uses_dynamic_stack: false
    .vgpr_count:     38
    .vgpr_spill_count: 0
    .wavefront_size: 32
    .workgroup_processor_mode: 1
  - .args:
      - .actual_access:  read_only
        .address_space:  global
        .offset:         0
        .size:           8
        .value_kind:     global_buffer
      - .actual_access:  read_only
        .address_space:  global
        .offset:         8
        .size:           8
        .value_kind:     global_buffer
      - .actual_access:  read_only
        .address_space:  global
        .offset:         16
        .size:           8
        .value_kind:     global_buffer
      - .actual_access:  read_only
        .address_space:  global
        .offset:         24
        .size:           8
        .value_kind:     global_buffer
      - .offset:         32
        .size:           4
        .value_kind:     by_value
      - .offset:         36
        .size:           4
        .value_kind:     by_value
      - .offset:         40
        .size:           4
        .value_kind:     by_value
      - .offset:         44
        .size:           4
        .value_kind:     by_value
      - .offset:         48
        .size:           4
        .value_kind:     by_value
      - .offset:         52
        .size:           4
        .value_kind:     by_value
      - .offset:         56
        .size:           4
        .value_kind:     by_value
      - .offset:         60
        .size:           4
        .value_kind:     by_value
      - .offset:         64
        .size:           4
        .value_kind:     by_value
      - .offset:         68
        .size:           4
        .value_kind:     by_value
      - .offset:         72
        .size:           4
        .value_kind:     by_value
      - .offset:         76
        .size:           4
        .value_kind:     by_value
      - .offset:         80
        .size:           4
        .value_kind:     by_value
      - .offset:         84
        .size:           4
        .value_kind:     by_value
      - .offset:         88
        .size:           4
        .value_kind:     by_value
      - .offset:         92
        .size:           4
        .value_kind:     by_value
      - .offset:         96
        .size:           4
        .value_kind:     hidden_block_count_x
      - .offset:         100
        .size:           4
        .value_kind:     hidden_block_count_y
      - .offset:         104
        .size:           4
        .value_kind:     hidden_block_count_z
      - .offset:         108
        .size:           2
        .value_kind:     hidden_group_size_x
      - .offset:         110
        .size:           2
        .value_kind:     hidden_group_size_y
      - .offset:         112
        .size:           2
        .value_kind:     hidden_group_size_z
      - .offset:         114
        .size:           2
        .value_kind:     hidden_remainder_x
      - .offset:         116
        .size:           2
        .value_kind:     hidden_remainder_y
      - .offset:         118
        .size:           2
        .value_kind:     hidden_remainder_z
      - .offset:         136
        .size:           8
        .value_kind:     hidden_global_offset_x
      - .offset:         144
        .size:           8
        .value_kind:     hidden_global_offset_y
      - .offset:         152
        .size:           8
        .value_kind:     hidden_global_offset_z
      - .offset:         160
        .size:           2
        .value_kind:     hidden_grid_dims
      - .offset:         176
        .size:           8
        .value_kind:     hidden_hostcall_buffer
    .group_segment_fixed_size: 0
    .kernarg_segment_align: 8
    .kernarg_segment_size: 352
    .language:       OpenCL C
    .language_version:
      - 2
      - 0
    .max_flat_workgroup_size: 64
    .name:           _ZL9mul_mat_fIfLi64ELi4ELi2ELb0EEvPKT_PKfPKiPfiiiiiiiiiiiiiiii
    .private_segment_fixed_size: 16
    .sgpr_count:     36
    .sgpr_spill_count: 0
    .symbol:         _ZL9mul_mat_fIfLi64ELi4ELi2ELb0EEvPKT_PKfPKiPfiiiiiiiiiiiiiiii.kd
    .uniform_work_group_size: 1
    .uses_dynamic_stack: false
    .vgpr_count:     38
    .vgpr_spill_count: 0
    .wavefront_size: 32
    .workgroup_processor_mode: 1
  - .args:
      - .actual_access:  read_only
        .address_space:  global
        .offset:         0
        .size:           8
        .value_kind:     global_buffer
      - .actual_access:  read_only
        .address_space:  global
        .offset:         8
        .size:           8
        .value_kind:     global_buffer
      - .actual_access:  read_only
        .address_space:  global
        .offset:         16
        .size:           8
        .value_kind:     global_buffer
      - .actual_access:  read_only
        .address_space:  global
        .offset:         24
        .size:           8
        .value_kind:     global_buffer
      - .actual_access:  read_only
        .address_space:  global
        .offset:         32
        .size:           8
        .value_kind:     global_buffer
      - .actual_access:  read_only
        .address_space:  global
        .offset:         40
        .size:           8
        .value_kind:     global_buffer
      - .offset:         48
        .size:           4
        .value_kind:     by_value
      - .offset:         52
        .size:           4
        .value_kind:     by_value
      - .offset:         56
        .size:           4
        .value_kind:     by_value
      - .offset:         60
        .size:           4
        .value_kind:     by_value
      - .offset:         64
        .size:           4
        .value_kind:     by_value
      - .offset:         68
        .size:           4
        .value_kind:     by_value
      - .offset:         72
        .size:           4
        .value_kind:     by_value
      - .offset:         76
        .size:           4
        .value_kind:     by_value
      - .offset:         80
        .size:           4
        .value_kind:     by_value
      - .offset:         84
        .size:           4
        .value_kind:     by_value
      - .offset:         88
        .size:           4
        .value_kind:     by_value
      - .offset:         92
        .size:           4
        .value_kind:     by_value
      - .offset:         96
        .size:           4
        .value_kind:     by_value
      - .offset:         100
        .size:           4
        .value_kind:     by_value
      - .offset:         104
        .size:           12
        .value_kind:     by_value
      - .offset:         116
        .size:           12
        .value_kind:     by_value
      - .offset:         128
        .size:           4
        .value_kind:     hidden_block_count_x
      - .offset:         132
        .size:           4
        .value_kind:     hidden_block_count_y
      - .offset:         136
        .size:           4
        .value_kind:     hidden_block_count_z
      - .offset:         140
        .size:           2
        .value_kind:     hidden_group_size_x
      - .offset:         142
        .size:           2
        .value_kind:     hidden_group_size_y
      - .offset:         144
        .size:           2
        .value_kind:     hidden_group_size_z
      - .offset:         146
        .size:           2
        .value_kind:     hidden_remainder_x
      - .offset:         148
        .size:           2
        .value_kind:     hidden_remainder_y
      - .offset:         150
        .size:           2
        .value_kind:     hidden_remainder_z
      - .offset:         168
        .size:           8
        .value_kind:     hidden_global_offset_x
      - .offset:         176
        .size:           8
        .value_kind:     hidden_global_offset_y
      - .offset:         184
        .size:           8
        .value_kind:     hidden_global_offset_z
      - .offset:         192
        .size:           2
        .value_kind:     hidden_grid_dims
      - .offset:         208
        .size:           8
        .value_kind:     hidden_hostcall_buffer
    .group_segment_fixed_size: 0
    .kernarg_segment_align: 8
    .kernarg_segment_size: 384
    .language:       OpenCL C
    .language_version:
      - 2
      - 0
    .max_flat_workgroup_size: 96
    .name:           _ZL13mul_mat_f_idsIfLi64ELi4ELi3EEvPKT_PKfPKiS6_S6_Pfiiiiiiiiiiiiii15HIP_vector_typeIjLj3EES9_
    .private_segment_fixed_size: 16
    .sgpr_count:     36
    .sgpr_spill_count: 0
    .symbol:         _ZL13mul_mat_f_idsIfLi64ELi4ELi3EEvPKT_PKfPKiS6_S6_Pfiiiiiiiiiiiiii15HIP_vector_typeIjLj3EES9_.kd
    .uniform_work_group_size: 1
    .uses_dynamic_stack: false
    .vgpr_count:     38
    .vgpr_spill_count: 0
    .wavefront_size: 32
    .workgroup_processor_mode: 1
  - .args:
      - .actual_access:  read_only
        .address_space:  global
        .offset:         0
        .size:           8
        .value_kind:     global_buffer
      - .actual_access:  read_only
        .address_space:  global
        .offset:         8
        .size:           8
        .value_kind:     global_buffer
      - .actual_access:  read_only
        .address_space:  global
        .offset:         16
        .size:           8
        .value_kind:     global_buffer
      - .actual_access:  read_only
        .address_space:  global
        .offset:         24
        .size:           8
        .value_kind:     global_buffer
      - .offset:         32
        .size:           4
        .value_kind:     by_value
      - .offset:         36
        .size:           4
        .value_kind:     by_value
      - .offset:         40
        .size:           4
        .value_kind:     by_value
      - .offset:         44
        .size:           4
        .value_kind:     by_value
      - .offset:         48
        .size:           4
        .value_kind:     by_value
      - .offset:         52
        .size:           4
        .value_kind:     by_value
      - .offset:         56
        .size:           4
        .value_kind:     by_value
      - .offset:         60
        .size:           4
        .value_kind:     by_value
      - .offset:         64
        .size:           4
        .value_kind:     by_value
      - .offset:         68
        .size:           4
        .value_kind:     by_value
      - .offset:         72
        .size:           4
        .value_kind:     by_value
      - .offset:         76
        .size:           4
        .value_kind:     by_value
      - .offset:         80
        .size:           4
        .value_kind:     by_value
      - .offset:         84
        .size:           4
        .value_kind:     by_value
      - .offset:         88
        .size:           4
        .value_kind:     by_value
      - .offset:         92
        .size:           4
        .value_kind:     by_value
      - .offset:         96
        .size:           4
        .value_kind:     hidden_block_count_x
      - .offset:         100
        .size:           4
        .value_kind:     hidden_block_count_y
      - .offset:         104
        .size:           4
        .value_kind:     hidden_block_count_z
      - .offset:         108
        .size:           2
        .value_kind:     hidden_group_size_x
      - .offset:         110
        .size:           2
        .value_kind:     hidden_group_size_y
      - .offset:         112
        .size:           2
        .value_kind:     hidden_group_size_z
      - .offset:         114
        .size:           2
        .value_kind:     hidden_remainder_x
      - .offset:         116
        .size:           2
        .value_kind:     hidden_remainder_y
      - .offset:         118
        .size:           2
        .value_kind:     hidden_remainder_z
      - .offset:         136
        .size:           8
        .value_kind:     hidden_global_offset_x
      - .offset:         144
        .size:           8
        .value_kind:     hidden_global_offset_y
      - .offset:         152
        .size:           8
        .value_kind:     hidden_global_offset_z
      - .offset:         160
        .size:           2
        .value_kind:     hidden_grid_dims
      - .offset:         176
        .size:           8
        .value_kind:     hidden_hostcall_buffer
    .group_segment_fixed_size: 0
    .kernarg_segment_align: 8
    .kernarg_segment_size: 352
    .language:       OpenCL C
    .language_version:
      - 2
      - 0
    .max_flat_workgroup_size: 96
    .name:           _ZL9mul_mat_fIfLi64ELi4ELi3ELb1EEvPKT_PKfPKiPfiiiiiiiiiiiiiiii
    .private_segment_fixed_size: 16
    .sgpr_count:     36
    .sgpr_spill_count: 0
    .symbol:         _ZL9mul_mat_fIfLi64ELi4ELi3ELb1EEvPKT_PKfPKiPfiiiiiiiiiiiiiiii.kd
    .uniform_work_group_size: 1
    .uses_dynamic_stack: false
    .vgpr_count:     38
    .vgpr_spill_count: 0
    .wavefront_size: 32
    .workgroup_processor_mode: 1
  - .args:
      - .actual_access:  read_only
        .address_space:  global
        .offset:         0
        .size:           8
        .value_kind:     global_buffer
      - .actual_access:  read_only
        .address_space:  global
        .offset:         8
        .size:           8
        .value_kind:     global_buffer
      - .actual_access:  read_only
        .address_space:  global
        .offset:         16
        .size:           8
        .value_kind:     global_buffer
      - .actual_access:  read_only
        .address_space:  global
        .offset:         24
        .size:           8
        .value_kind:     global_buffer
      - .offset:         32
        .size:           4
        .value_kind:     by_value
      - .offset:         36
        .size:           4
        .value_kind:     by_value
      - .offset:         40
        .size:           4
        .value_kind:     by_value
      - .offset:         44
        .size:           4
        .value_kind:     by_value
      - .offset:         48
        .size:           4
        .value_kind:     by_value
      - .offset:         52
        .size:           4
        .value_kind:     by_value
      - .offset:         56
        .size:           4
        .value_kind:     by_value
      - .offset:         60
        .size:           4
        .value_kind:     by_value
      - .offset:         64
        .size:           4
        .value_kind:     by_value
      - .offset:         68
        .size:           4
        .value_kind:     by_value
      - .offset:         72
        .size:           4
        .value_kind:     by_value
      - .offset:         76
        .size:           4
        .value_kind:     by_value
      - .offset:         80
        .size:           4
        .value_kind:     by_value
      - .offset:         84
        .size:           4
        .value_kind:     by_value
      - .offset:         88
        .size:           4
        .value_kind:     by_value
      - .offset:         92
        .size:           4
        .value_kind:     by_value
      - .offset:         96
        .size:           4
        .value_kind:     hidden_block_count_x
      - .offset:         100
        .size:           4
        .value_kind:     hidden_block_count_y
      - .offset:         104
        .size:           4
        .value_kind:     hidden_block_count_z
      - .offset:         108
        .size:           2
        .value_kind:     hidden_group_size_x
      - .offset:         110
        .size:           2
        .value_kind:     hidden_group_size_y
      - .offset:         112
        .size:           2
        .value_kind:     hidden_group_size_z
      - .offset:         114
        .size:           2
        .value_kind:     hidden_remainder_x
      - .offset:         116
        .size:           2
        .value_kind:     hidden_remainder_y
      - .offset:         118
        .size:           2
        .value_kind:     hidden_remainder_z
      - .offset:         136
        .size:           8
        .value_kind:     hidden_global_offset_x
      - .offset:         144
        .size:           8
        .value_kind:     hidden_global_offset_y
      - .offset:         152
        .size:           8
        .value_kind:     hidden_global_offset_z
      - .offset:         160
        .size:           2
        .value_kind:     hidden_grid_dims
      - .offset:         176
        .size:           8
        .value_kind:     hidden_hostcall_buffer
    .group_segment_fixed_size: 0
    .kernarg_segment_align: 8
    .kernarg_segment_size: 352
    .language:       OpenCL C
    .language_version:
      - 2
      - 0
    .max_flat_workgroup_size: 96
    .name:           _ZL9mul_mat_fIfLi64ELi4ELi3ELb0EEvPKT_PKfPKiPfiiiiiiiiiiiiiiii
    .private_segment_fixed_size: 16
    .sgpr_count:     36
    .sgpr_spill_count: 0
    .symbol:         _ZL9mul_mat_fIfLi64ELi4ELi3ELb0EEvPKT_PKfPKiPfiiiiiiiiiiiiiiii.kd
    .uniform_work_group_size: 1
    .uses_dynamic_stack: false
    .vgpr_count:     38
    .vgpr_spill_count: 0
    .wavefront_size: 32
    .workgroup_processor_mode: 1
  - .args:
      - .actual_access:  read_only
        .address_space:  global
        .offset:         0
        .size:           8
        .value_kind:     global_buffer
      - .actual_access:  read_only
        .address_space:  global
        .offset:         8
        .size:           8
        .value_kind:     global_buffer
      - .actual_access:  read_only
        .address_space:  global
        .offset:         16
        .size:           8
        .value_kind:     global_buffer
      - .actual_access:  read_only
        .address_space:  global
        .offset:         24
        .size:           8
        .value_kind:     global_buffer
      - .actual_access:  read_only
        .address_space:  global
        .offset:         32
        .size:           8
        .value_kind:     global_buffer
      - .actual_access:  read_only
        .address_space:  global
        .offset:         40
        .size:           8
        .value_kind:     global_buffer
      - .offset:         48
        .size:           4
        .value_kind:     by_value
      - .offset:         52
        .size:           4
        .value_kind:     by_value
      - .offset:         56
        .size:           4
        .value_kind:     by_value
      - .offset:         60
        .size:           4
        .value_kind:     by_value
      - .offset:         64
        .size:           4
        .value_kind:     by_value
      - .offset:         68
        .size:           4
        .value_kind:     by_value
      - .offset:         72
        .size:           4
        .value_kind:     by_value
      - .offset:         76
        .size:           4
        .value_kind:     by_value
      - .offset:         80
        .size:           4
        .value_kind:     by_value
      - .offset:         84
        .size:           4
        .value_kind:     by_value
      - .offset:         88
        .size:           4
        .value_kind:     by_value
      - .offset:         92
        .size:           4
        .value_kind:     by_value
      - .offset:         96
        .size:           4
        .value_kind:     by_value
      - .offset:         100
        .size:           4
        .value_kind:     by_value
      - .offset:         104
        .size:           12
        .value_kind:     by_value
      - .offset:         116
        .size:           12
        .value_kind:     by_value
      - .offset:         128
        .size:           4
        .value_kind:     hidden_block_count_x
      - .offset:         132
        .size:           4
        .value_kind:     hidden_block_count_y
      - .offset:         136
        .size:           4
        .value_kind:     hidden_block_count_z
      - .offset:         140
        .size:           2
        .value_kind:     hidden_group_size_x
      - .offset:         142
        .size:           2
        .value_kind:     hidden_group_size_y
      - .offset:         144
        .size:           2
        .value_kind:     hidden_group_size_z
      - .offset:         146
        .size:           2
        .value_kind:     hidden_remainder_x
      - .offset:         148
        .size:           2
        .value_kind:     hidden_remainder_y
      - .offset:         150
        .size:           2
        .value_kind:     hidden_remainder_z
      - .offset:         168
        .size:           8
        .value_kind:     hidden_global_offset_x
      - .offset:         176
        .size:           8
        .value_kind:     hidden_global_offset_y
      - .offset:         184
        .size:           8
        .value_kind:     hidden_global_offset_z
      - .offset:         192
        .size:           2
        .value_kind:     hidden_grid_dims
      - .offset:         208
        .size:           8
        .value_kind:     hidden_hostcall_buffer
    .group_segment_fixed_size: 0
    .kernarg_segment_align: 8
    .kernarg_segment_size: 384
    .language:       OpenCL C
    .language_version:
      - 2
      - 0
    .max_flat_workgroup_size: 128
    .name:           _ZL13mul_mat_f_idsIfLi64ELi4ELi4EEvPKT_PKfPKiS6_S6_Pfiiiiiiiiiiiiii15HIP_vector_typeIjLj3EES9_
    .private_segment_fixed_size: 16
    .sgpr_count:     36
    .sgpr_spill_count: 0
    .symbol:         _ZL13mul_mat_f_idsIfLi64ELi4ELi4EEvPKT_PKfPKiS6_S6_Pfiiiiiiiiiiiiii15HIP_vector_typeIjLj3EES9_.kd
    .uniform_work_group_size: 1
    .uses_dynamic_stack: false
    .vgpr_count:     38
    .vgpr_spill_count: 0
    .wavefront_size: 32
    .workgroup_processor_mode: 1
  - .args:
      - .actual_access:  read_only
        .address_space:  global
        .offset:         0
        .size:           8
        .value_kind:     global_buffer
      - .actual_access:  read_only
        .address_space:  global
        .offset:         8
        .size:           8
        .value_kind:     global_buffer
      - .actual_access:  read_only
        .address_space:  global
        .offset:         16
        .size:           8
        .value_kind:     global_buffer
      - .actual_access:  read_only
        .address_space:  global
        .offset:         24
        .size:           8
        .value_kind:     global_buffer
      - .offset:         32
        .size:           4
        .value_kind:     by_value
      - .offset:         36
        .size:           4
        .value_kind:     by_value
      - .offset:         40
        .size:           4
        .value_kind:     by_value
      - .offset:         44
        .size:           4
        .value_kind:     by_value
      - .offset:         48
        .size:           4
        .value_kind:     by_value
      - .offset:         52
        .size:           4
        .value_kind:     by_value
      - .offset:         56
        .size:           4
        .value_kind:     by_value
      - .offset:         60
        .size:           4
        .value_kind:     by_value
      - .offset:         64
        .size:           4
        .value_kind:     by_value
      - .offset:         68
        .size:           4
        .value_kind:     by_value
      - .offset:         72
        .size:           4
        .value_kind:     by_value
      - .offset:         76
        .size:           4
        .value_kind:     by_value
      - .offset:         80
        .size:           4
        .value_kind:     by_value
      - .offset:         84
        .size:           4
        .value_kind:     by_value
      - .offset:         88
        .size:           4
        .value_kind:     by_value
      - .offset:         92
        .size:           4
        .value_kind:     by_value
      - .offset:         96
        .size:           4
        .value_kind:     hidden_block_count_x
      - .offset:         100
        .size:           4
        .value_kind:     hidden_block_count_y
      - .offset:         104
        .size:           4
        .value_kind:     hidden_block_count_z
      - .offset:         108
        .size:           2
        .value_kind:     hidden_group_size_x
      - .offset:         110
        .size:           2
        .value_kind:     hidden_group_size_y
      - .offset:         112
        .size:           2
        .value_kind:     hidden_group_size_z
      - .offset:         114
        .size:           2
        .value_kind:     hidden_remainder_x
      - .offset:         116
        .size:           2
        .value_kind:     hidden_remainder_y
      - .offset:         118
        .size:           2
        .value_kind:     hidden_remainder_z
      - .offset:         136
        .size:           8
        .value_kind:     hidden_global_offset_x
      - .offset:         144
        .size:           8
        .value_kind:     hidden_global_offset_y
      - .offset:         152
        .size:           8
        .value_kind:     hidden_global_offset_z
      - .offset:         160
        .size:           2
        .value_kind:     hidden_grid_dims
      - .offset:         176
        .size:           8
        .value_kind:     hidden_hostcall_buffer
    .group_segment_fixed_size: 0
    .kernarg_segment_align: 8
    .kernarg_segment_size: 352
    .language:       OpenCL C
    .language_version:
      - 2
      - 0
    .max_flat_workgroup_size: 128
    .name:           _ZL9mul_mat_fIfLi64ELi4ELi4ELb1EEvPKT_PKfPKiPfiiiiiiiiiiiiiiii
    .private_segment_fixed_size: 16
    .sgpr_count:     36
    .sgpr_spill_count: 0
    .symbol:         _ZL9mul_mat_fIfLi64ELi4ELi4ELb1EEvPKT_PKfPKiPfiiiiiiiiiiiiiiii.kd
    .uniform_work_group_size: 1
    .uses_dynamic_stack: false
    .vgpr_count:     38
    .vgpr_spill_count: 0
    .wavefront_size: 32
    .workgroup_processor_mode: 1
  - .args:
      - .actual_access:  read_only
        .address_space:  global
        .offset:         0
        .size:           8
        .value_kind:     global_buffer
      - .actual_access:  read_only
        .address_space:  global
        .offset:         8
        .size:           8
        .value_kind:     global_buffer
      - .actual_access:  read_only
        .address_space:  global
        .offset:         16
        .size:           8
        .value_kind:     global_buffer
      - .actual_access:  read_only
        .address_space:  global
        .offset:         24
        .size:           8
        .value_kind:     global_buffer
      - .offset:         32
        .size:           4
        .value_kind:     by_value
      - .offset:         36
        .size:           4
        .value_kind:     by_value
      - .offset:         40
        .size:           4
        .value_kind:     by_value
      - .offset:         44
        .size:           4
        .value_kind:     by_value
      - .offset:         48
        .size:           4
        .value_kind:     by_value
      - .offset:         52
        .size:           4
        .value_kind:     by_value
      - .offset:         56
        .size:           4
        .value_kind:     by_value
      - .offset:         60
        .size:           4
        .value_kind:     by_value
      - .offset:         64
        .size:           4
        .value_kind:     by_value
      - .offset:         68
        .size:           4
        .value_kind:     by_value
      - .offset:         72
        .size:           4
        .value_kind:     by_value
      - .offset:         76
        .size:           4
        .value_kind:     by_value
      - .offset:         80
        .size:           4
        .value_kind:     by_value
      - .offset:         84
        .size:           4
        .value_kind:     by_value
      - .offset:         88
        .size:           4
        .value_kind:     by_value
      - .offset:         92
        .size:           4
        .value_kind:     by_value
      - .offset:         96
        .size:           4
        .value_kind:     hidden_block_count_x
      - .offset:         100
        .size:           4
        .value_kind:     hidden_block_count_y
      - .offset:         104
        .size:           4
        .value_kind:     hidden_block_count_z
      - .offset:         108
        .size:           2
        .value_kind:     hidden_group_size_x
      - .offset:         110
        .size:           2
        .value_kind:     hidden_group_size_y
      - .offset:         112
        .size:           2
        .value_kind:     hidden_group_size_z
      - .offset:         114
        .size:           2
        .value_kind:     hidden_remainder_x
      - .offset:         116
        .size:           2
        .value_kind:     hidden_remainder_y
      - .offset:         118
        .size:           2
        .value_kind:     hidden_remainder_z
      - .offset:         136
        .size:           8
        .value_kind:     hidden_global_offset_x
      - .offset:         144
        .size:           8
        .value_kind:     hidden_global_offset_y
      - .offset:         152
        .size:           8
        .value_kind:     hidden_global_offset_z
      - .offset:         160
        .size:           2
        .value_kind:     hidden_grid_dims
      - .offset:         176
        .size:           8
        .value_kind:     hidden_hostcall_buffer
    .group_segment_fixed_size: 0
    .kernarg_segment_align: 8
    .kernarg_segment_size: 352
    .language:       OpenCL C
    .language_version:
      - 2
      - 0
    .max_flat_workgroup_size: 128
    .name:           _ZL9mul_mat_fIfLi64ELi4ELi4ELb0EEvPKT_PKfPKiPfiiiiiiiiiiiiiiii
    .private_segment_fixed_size: 16
    .sgpr_count:     36
    .sgpr_spill_count: 0
    .symbol:         _ZL9mul_mat_fIfLi64ELi4ELi4ELb0EEvPKT_PKfPKiPfiiiiiiiiiiiiiiii.kd
    .uniform_work_group_size: 1
    .uses_dynamic_stack: false
    .vgpr_count:     38
    .vgpr_spill_count: 0
    .wavefront_size: 32
    .workgroup_processor_mode: 1
  - .args:
      - .actual_access:  read_only
        .address_space:  global
        .offset:         0
        .size:           8
        .value_kind:     global_buffer
      - .actual_access:  read_only
        .address_space:  global
        .offset:         8
        .size:           8
        .value_kind:     global_buffer
      - .actual_access:  read_only
        .address_space:  global
        .offset:         16
        .size:           8
        .value_kind:     global_buffer
      - .actual_access:  read_only
        .address_space:  global
        .offset:         24
        .size:           8
        .value_kind:     global_buffer
      - .actual_access:  read_only
        .address_space:  global
        .offset:         32
        .size:           8
        .value_kind:     global_buffer
      - .actual_access:  read_only
        .address_space:  global
        .offset:         40
        .size:           8
        .value_kind:     global_buffer
      - .offset:         48
        .size:           4
        .value_kind:     by_value
      - .offset:         52
        .size:           4
        .value_kind:     by_value
      - .offset:         56
        .size:           4
        .value_kind:     by_value
      - .offset:         60
        .size:           4
        .value_kind:     by_value
      - .offset:         64
        .size:           4
        .value_kind:     by_value
      - .offset:         68
        .size:           4
        .value_kind:     by_value
      - .offset:         72
        .size:           4
        .value_kind:     by_value
      - .offset:         76
        .size:           4
        .value_kind:     by_value
      - .offset:         80
        .size:           4
        .value_kind:     by_value
      - .offset:         84
        .size:           4
        .value_kind:     by_value
      - .offset:         88
        .size:           4
        .value_kind:     by_value
      - .offset:         92
        .size:           4
        .value_kind:     by_value
      - .offset:         96
        .size:           4
        .value_kind:     by_value
      - .offset:         100
        .size:           4
        .value_kind:     by_value
      - .offset:         104
        .size:           12
        .value_kind:     by_value
      - .offset:         116
        .size:           12
        .value_kind:     by_value
      - .offset:         128
        .size:           4
        .value_kind:     hidden_block_count_x
      - .offset:         132
        .size:           4
        .value_kind:     hidden_block_count_y
      - .offset:         136
        .size:           4
        .value_kind:     hidden_block_count_z
      - .offset:         140
        .size:           2
        .value_kind:     hidden_group_size_x
      - .offset:         142
        .size:           2
        .value_kind:     hidden_group_size_y
      - .offset:         144
        .size:           2
        .value_kind:     hidden_group_size_z
      - .offset:         146
        .size:           2
        .value_kind:     hidden_remainder_x
      - .offset:         148
        .size:           2
        .value_kind:     hidden_remainder_y
      - .offset:         150
        .size:           2
        .value_kind:     hidden_remainder_z
      - .offset:         168
        .size:           8
        .value_kind:     hidden_global_offset_x
      - .offset:         176
        .size:           8
        .value_kind:     hidden_global_offset_y
      - .offset:         184
        .size:           8
        .value_kind:     hidden_global_offset_z
      - .offset:         192
        .size:           2
        .value_kind:     hidden_grid_dims
      - .offset:         208
        .size:           8
        .value_kind:     hidden_hostcall_buffer
    .group_segment_fixed_size: 0
    .kernarg_segment_align: 8
    .kernarg_segment_size: 384
    .language:       OpenCL C
    .language_version:
      - 2
      - 0
    .max_flat_workgroup_size: 160
    .name:           _ZL13mul_mat_f_idsIfLi64ELi4ELi5EEvPKT_PKfPKiS6_S6_Pfiiiiiiiiiiiiii15HIP_vector_typeIjLj3EES9_
    .private_segment_fixed_size: 16
    .sgpr_count:     36
    .sgpr_spill_count: 0
    .symbol:         _ZL13mul_mat_f_idsIfLi64ELi4ELi5EEvPKT_PKfPKiS6_S6_Pfiiiiiiiiiiiiii15HIP_vector_typeIjLj3EES9_.kd
    .uniform_work_group_size: 1
    .uses_dynamic_stack: false
    .vgpr_count:     38
    .vgpr_spill_count: 0
    .wavefront_size: 32
    .workgroup_processor_mode: 1
  - .args:
      - .actual_access:  read_only
        .address_space:  global
        .offset:         0
        .size:           8
        .value_kind:     global_buffer
      - .actual_access:  read_only
        .address_space:  global
        .offset:         8
        .size:           8
        .value_kind:     global_buffer
      - .actual_access:  read_only
        .address_space:  global
        .offset:         16
        .size:           8
        .value_kind:     global_buffer
      - .actual_access:  read_only
        .address_space:  global
        .offset:         24
        .size:           8
        .value_kind:     global_buffer
      - .offset:         32
        .size:           4
        .value_kind:     by_value
      - .offset:         36
        .size:           4
        .value_kind:     by_value
      - .offset:         40
        .size:           4
        .value_kind:     by_value
      - .offset:         44
        .size:           4
        .value_kind:     by_value
      - .offset:         48
        .size:           4
        .value_kind:     by_value
      - .offset:         52
        .size:           4
        .value_kind:     by_value
      - .offset:         56
        .size:           4
        .value_kind:     by_value
      - .offset:         60
        .size:           4
        .value_kind:     by_value
      - .offset:         64
        .size:           4
        .value_kind:     by_value
      - .offset:         68
        .size:           4
        .value_kind:     by_value
      - .offset:         72
        .size:           4
        .value_kind:     by_value
      - .offset:         76
        .size:           4
        .value_kind:     by_value
      - .offset:         80
        .size:           4
        .value_kind:     by_value
      - .offset:         84
        .size:           4
        .value_kind:     by_value
      - .offset:         88
        .size:           4
        .value_kind:     by_value
      - .offset:         92
        .size:           4
        .value_kind:     by_value
      - .offset:         96
        .size:           4
        .value_kind:     hidden_block_count_x
      - .offset:         100
        .size:           4
        .value_kind:     hidden_block_count_y
      - .offset:         104
        .size:           4
        .value_kind:     hidden_block_count_z
      - .offset:         108
        .size:           2
        .value_kind:     hidden_group_size_x
      - .offset:         110
        .size:           2
        .value_kind:     hidden_group_size_y
      - .offset:         112
        .size:           2
        .value_kind:     hidden_group_size_z
      - .offset:         114
        .size:           2
        .value_kind:     hidden_remainder_x
      - .offset:         116
        .size:           2
        .value_kind:     hidden_remainder_y
      - .offset:         118
        .size:           2
        .value_kind:     hidden_remainder_z
      - .offset:         136
        .size:           8
        .value_kind:     hidden_global_offset_x
      - .offset:         144
        .size:           8
        .value_kind:     hidden_global_offset_y
      - .offset:         152
        .size:           8
        .value_kind:     hidden_global_offset_z
      - .offset:         160
        .size:           2
        .value_kind:     hidden_grid_dims
      - .offset:         176
        .size:           8
        .value_kind:     hidden_hostcall_buffer
    .group_segment_fixed_size: 0
    .kernarg_segment_align: 8
    .kernarg_segment_size: 352
    .language:       OpenCL C
    .language_version:
      - 2
      - 0
    .max_flat_workgroup_size: 160
    .name:           _ZL9mul_mat_fIfLi64ELi4ELi5ELb1EEvPKT_PKfPKiPfiiiiiiiiiiiiiiii
    .private_segment_fixed_size: 16
    .sgpr_count:     36
    .sgpr_spill_count: 0
    .symbol:         _ZL9mul_mat_fIfLi64ELi4ELi5ELb1EEvPKT_PKfPKiPfiiiiiiiiiiiiiiii.kd
    .uniform_work_group_size: 1
    .uses_dynamic_stack: false
    .vgpr_count:     38
    .vgpr_spill_count: 0
    .wavefront_size: 32
    .workgroup_processor_mode: 1
  - .args:
      - .actual_access:  read_only
        .address_space:  global
        .offset:         0
        .size:           8
        .value_kind:     global_buffer
      - .actual_access:  read_only
        .address_space:  global
        .offset:         8
        .size:           8
        .value_kind:     global_buffer
      - .actual_access:  read_only
        .address_space:  global
        .offset:         16
        .size:           8
        .value_kind:     global_buffer
      - .actual_access:  read_only
        .address_space:  global
        .offset:         24
        .size:           8
        .value_kind:     global_buffer
      - .offset:         32
        .size:           4
        .value_kind:     by_value
      - .offset:         36
        .size:           4
        .value_kind:     by_value
      - .offset:         40
        .size:           4
        .value_kind:     by_value
      - .offset:         44
        .size:           4
        .value_kind:     by_value
      - .offset:         48
        .size:           4
        .value_kind:     by_value
      - .offset:         52
        .size:           4
        .value_kind:     by_value
      - .offset:         56
        .size:           4
        .value_kind:     by_value
      - .offset:         60
        .size:           4
        .value_kind:     by_value
      - .offset:         64
        .size:           4
        .value_kind:     by_value
      - .offset:         68
        .size:           4
        .value_kind:     by_value
      - .offset:         72
        .size:           4
        .value_kind:     by_value
      - .offset:         76
        .size:           4
        .value_kind:     by_value
      - .offset:         80
        .size:           4
        .value_kind:     by_value
      - .offset:         84
        .size:           4
        .value_kind:     by_value
      - .offset:         88
        .size:           4
        .value_kind:     by_value
      - .offset:         92
        .size:           4
        .value_kind:     by_value
      - .offset:         96
        .size:           4
        .value_kind:     hidden_block_count_x
      - .offset:         100
        .size:           4
        .value_kind:     hidden_block_count_y
      - .offset:         104
        .size:           4
        .value_kind:     hidden_block_count_z
      - .offset:         108
        .size:           2
        .value_kind:     hidden_group_size_x
      - .offset:         110
        .size:           2
        .value_kind:     hidden_group_size_y
      - .offset:         112
        .size:           2
        .value_kind:     hidden_group_size_z
      - .offset:         114
        .size:           2
        .value_kind:     hidden_remainder_x
      - .offset:         116
        .size:           2
        .value_kind:     hidden_remainder_y
      - .offset:         118
        .size:           2
        .value_kind:     hidden_remainder_z
      - .offset:         136
        .size:           8
        .value_kind:     hidden_global_offset_x
      - .offset:         144
        .size:           8
        .value_kind:     hidden_global_offset_y
      - .offset:         152
        .size:           8
        .value_kind:     hidden_global_offset_z
      - .offset:         160
        .size:           2
        .value_kind:     hidden_grid_dims
      - .offset:         176
        .size:           8
        .value_kind:     hidden_hostcall_buffer
    .group_segment_fixed_size: 0
    .kernarg_segment_align: 8
    .kernarg_segment_size: 352
    .language:       OpenCL C
    .language_version:
      - 2
      - 0
    .max_flat_workgroup_size: 160
    .name:           _ZL9mul_mat_fIfLi64ELi4ELi5ELb0EEvPKT_PKfPKiPfiiiiiiiiiiiiiiii
    .private_segment_fixed_size: 16
    .sgpr_count:     36
    .sgpr_spill_count: 0
    .symbol:         _ZL9mul_mat_fIfLi64ELi4ELi5ELb0EEvPKT_PKfPKiPfiiiiiiiiiiiiiiii.kd
    .uniform_work_group_size: 1
    .uses_dynamic_stack: false
    .vgpr_count:     38
    .vgpr_spill_count: 0
    .wavefront_size: 32
    .workgroup_processor_mode: 1
  - .args:
      - .actual_access:  read_only
        .address_space:  global
        .offset:         0
        .size:           8
        .value_kind:     global_buffer
      - .actual_access:  read_only
        .address_space:  global
        .offset:         8
        .size:           8
        .value_kind:     global_buffer
      - .actual_access:  read_only
        .address_space:  global
        .offset:         16
        .size:           8
        .value_kind:     global_buffer
      - .actual_access:  read_only
        .address_space:  global
        .offset:         24
        .size:           8
        .value_kind:     global_buffer
      - .actual_access:  read_only
        .address_space:  global
        .offset:         32
        .size:           8
        .value_kind:     global_buffer
      - .actual_access:  read_only
        .address_space:  global
        .offset:         40
        .size:           8
        .value_kind:     global_buffer
      - .offset:         48
        .size:           4
        .value_kind:     by_value
      - .offset:         52
        .size:           4
        .value_kind:     by_value
      - .offset:         56
        .size:           4
        .value_kind:     by_value
      - .offset:         60
        .size:           4
        .value_kind:     by_value
      - .offset:         64
        .size:           4
        .value_kind:     by_value
      - .offset:         68
        .size:           4
        .value_kind:     by_value
      - .offset:         72
        .size:           4
        .value_kind:     by_value
      - .offset:         76
        .size:           4
        .value_kind:     by_value
      - .offset:         80
        .size:           4
        .value_kind:     by_value
      - .offset:         84
        .size:           4
        .value_kind:     by_value
      - .offset:         88
        .size:           4
        .value_kind:     by_value
      - .offset:         92
        .size:           4
        .value_kind:     by_value
      - .offset:         96
        .size:           4
        .value_kind:     by_value
      - .offset:         100
        .size:           4
        .value_kind:     by_value
      - .offset:         104
        .size:           12
        .value_kind:     by_value
      - .offset:         116
        .size:           12
        .value_kind:     by_value
      - .offset:         128
        .size:           4
        .value_kind:     hidden_block_count_x
      - .offset:         132
        .size:           4
        .value_kind:     hidden_block_count_y
      - .offset:         136
        .size:           4
        .value_kind:     hidden_block_count_z
      - .offset:         140
        .size:           2
        .value_kind:     hidden_group_size_x
      - .offset:         142
        .size:           2
        .value_kind:     hidden_group_size_y
      - .offset:         144
        .size:           2
        .value_kind:     hidden_group_size_z
      - .offset:         146
        .size:           2
        .value_kind:     hidden_remainder_x
      - .offset:         148
        .size:           2
        .value_kind:     hidden_remainder_y
      - .offset:         150
        .size:           2
        .value_kind:     hidden_remainder_z
      - .offset:         168
        .size:           8
        .value_kind:     hidden_global_offset_x
      - .offset:         176
        .size:           8
        .value_kind:     hidden_global_offset_y
      - .offset:         184
        .size:           8
        .value_kind:     hidden_global_offset_z
      - .offset:         192
        .size:           2
        .value_kind:     hidden_grid_dims
      - .offset:         208
        .size:           8
        .value_kind:     hidden_hostcall_buffer
    .group_segment_fixed_size: 0
    .kernarg_segment_align: 8
    .kernarg_segment_size: 384
    .language:       OpenCL C
    .language_version:
      - 2
      - 0
    .max_flat_workgroup_size: 192
    .name:           _ZL13mul_mat_f_idsIfLi64ELi4ELi6EEvPKT_PKfPKiS6_S6_Pfiiiiiiiiiiiiii15HIP_vector_typeIjLj3EES9_
    .private_segment_fixed_size: 16
    .sgpr_count:     36
    .sgpr_spill_count: 0
    .symbol:         _ZL13mul_mat_f_idsIfLi64ELi4ELi6EEvPKT_PKfPKiS6_S6_Pfiiiiiiiiiiiiii15HIP_vector_typeIjLj3EES9_.kd
    .uniform_work_group_size: 1
    .uses_dynamic_stack: false
    .vgpr_count:     38
    .vgpr_spill_count: 0
    .wavefront_size: 32
    .workgroup_processor_mode: 1
  - .args:
      - .actual_access:  read_only
        .address_space:  global
        .offset:         0
        .size:           8
        .value_kind:     global_buffer
      - .actual_access:  read_only
        .address_space:  global
        .offset:         8
        .size:           8
        .value_kind:     global_buffer
      - .actual_access:  read_only
        .address_space:  global
        .offset:         16
        .size:           8
        .value_kind:     global_buffer
      - .actual_access:  read_only
        .address_space:  global
        .offset:         24
        .size:           8
        .value_kind:     global_buffer
      - .offset:         32
        .size:           4
        .value_kind:     by_value
      - .offset:         36
        .size:           4
        .value_kind:     by_value
      - .offset:         40
        .size:           4
        .value_kind:     by_value
      - .offset:         44
        .size:           4
        .value_kind:     by_value
      - .offset:         48
        .size:           4
        .value_kind:     by_value
      - .offset:         52
        .size:           4
        .value_kind:     by_value
      - .offset:         56
        .size:           4
        .value_kind:     by_value
      - .offset:         60
        .size:           4
        .value_kind:     by_value
      - .offset:         64
        .size:           4
        .value_kind:     by_value
      - .offset:         68
        .size:           4
        .value_kind:     by_value
      - .offset:         72
        .size:           4
        .value_kind:     by_value
      - .offset:         76
        .size:           4
        .value_kind:     by_value
      - .offset:         80
        .size:           4
        .value_kind:     by_value
      - .offset:         84
        .size:           4
        .value_kind:     by_value
      - .offset:         88
        .size:           4
        .value_kind:     by_value
      - .offset:         92
        .size:           4
        .value_kind:     by_value
      - .offset:         96
        .size:           4
        .value_kind:     hidden_block_count_x
      - .offset:         100
        .size:           4
        .value_kind:     hidden_block_count_y
      - .offset:         104
        .size:           4
        .value_kind:     hidden_block_count_z
      - .offset:         108
        .size:           2
        .value_kind:     hidden_group_size_x
      - .offset:         110
        .size:           2
        .value_kind:     hidden_group_size_y
      - .offset:         112
        .size:           2
        .value_kind:     hidden_group_size_z
      - .offset:         114
        .size:           2
        .value_kind:     hidden_remainder_x
      - .offset:         116
        .size:           2
        .value_kind:     hidden_remainder_y
      - .offset:         118
        .size:           2
        .value_kind:     hidden_remainder_z
      - .offset:         136
        .size:           8
        .value_kind:     hidden_global_offset_x
      - .offset:         144
        .size:           8
        .value_kind:     hidden_global_offset_y
      - .offset:         152
        .size:           8
        .value_kind:     hidden_global_offset_z
      - .offset:         160
        .size:           2
        .value_kind:     hidden_grid_dims
      - .offset:         176
        .size:           8
        .value_kind:     hidden_hostcall_buffer
    .group_segment_fixed_size: 0
    .kernarg_segment_align: 8
    .kernarg_segment_size: 352
    .language:       OpenCL C
    .language_version:
      - 2
      - 0
    .max_flat_workgroup_size: 192
    .name:           _ZL9mul_mat_fIfLi64ELi4ELi6ELb1EEvPKT_PKfPKiPfiiiiiiiiiiiiiiii
    .private_segment_fixed_size: 16
    .sgpr_count:     36
    .sgpr_spill_count: 0
    .symbol:         _ZL9mul_mat_fIfLi64ELi4ELi6ELb1EEvPKT_PKfPKiPfiiiiiiiiiiiiiiii.kd
    .uniform_work_group_size: 1
    .uses_dynamic_stack: false
    .vgpr_count:     38
    .vgpr_spill_count: 0
    .wavefront_size: 32
    .workgroup_processor_mode: 1
  - .args:
      - .actual_access:  read_only
        .address_space:  global
        .offset:         0
        .size:           8
        .value_kind:     global_buffer
      - .actual_access:  read_only
        .address_space:  global
        .offset:         8
        .size:           8
        .value_kind:     global_buffer
      - .actual_access:  read_only
        .address_space:  global
        .offset:         16
        .size:           8
        .value_kind:     global_buffer
      - .actual_access:  read_only
        .address_space:  global
        .offset:         24
        .size:           8
        .value_kind:     global_buffer
      - .offset:         32
        .size:           4
        .value_kind:     by_value
      - .offset:         36
        .size:           4
        .value_kind:     by_value
      - .offset:         40
        .size:           4
        .value_kind:     by_value
      - .offset:         44
        .size:           4
        .value_kind:     by_value
      - .offset:         48
        .size:           4
        .value_kind:     by_value
      - .offset:         52
        .size:           4
        .value_kind:     by_value
      - .offset:         56
        .size:           4
        .value_kind:     by_value
      - .offset:         60
        .size:           4
        .value_kind:     by_value
      - .offset:         64
        .size:           4
        .value_kind:     by_value
      - .offset:         68
        .size:           4
        .value_kind:     by_value
      - .offset:         72
        .size:           4
        .value_kind:     by_value
      - .offset:         76
        .size:           4
        .value_kind:     by_value
      - .offset:         80
        .size:           4
        .value_kind:     by_value
      - .offset:         84
        .size:           4
        .value_kind:     by_value
      - .offset:         88
        .size:           4
        .value_kind:     by_value
      - .offset:         92
        .size:           4
        .value_kind:     by_value
      - .offset:         96
        .size:           4
        .value_kind:     hidden_block_count_x
      - .offset:         100
        .size:           4
        .value_kind:     hidden_block_count_y
      - .offset:         104
        .size:           4
        .value_kind:     hidden_block_count_z
      - .offset:         108
        .size:           2
        .value_kind:     hidden_group_size_x
      - .offset:         110
        .size:           2
        .value_kind:     hidden_group_size_y
      - .offset:         112
        .size:           2
        .value_kind:     hidden_group_size_z
      - .offset:         114
        .size:           2
        .value_kind:     hidden_remainder_x
      - .offset:         116
        .size:           2
        .value_kind:     hidden_remainder_y
      - .offset:         118
        .size:           2
        .value_kind:     hidden_remainder_z
      - .offset:         136
        .size:           8
        .value_kind:     hidden_global_offset_x
      - .offset:         144
        .size:           8
        .value_kind:     hidden_global_offset_y
      - .offset:         152
        .size:           8
        .value_kind:     hidden_global_offset_z
      - .offset:         160
        .size:           2
        .value_kind:     hidden_grid_dims
      - .offset:         176
        .size:           8
        .value_kind:     hidden_hostcall_buffer
    .group_segment_fixed_size: 0
    .kernarg_segment_align: 8
    .kernarg_segment_size: 352
    .language:       OpenCL C
    .language_version:
      - 2
      - 0
    .max_flat_workgroup_size: 192
    .name:           _ZL9mul_mat_fIfLi64ELi4ELi6ELb0EEvPKT_PKfPKiPfiiiiiiiiiiiiiiii
    .private_segment_fixed_size: 16
    .sgpr_count:     36
    .sgpr_spill_count: 0
    .symbol:         _ZL9mul_mat_fIfLi64ELi4ELi6ELb0EEvPKT_PKfPKiPfiiiiiiiiiiiiiiii.kd
    .uniform_work_group_size: 1
    .uses_dynamic_stack: false
    .vgpr_count:     38
    .vgpr_spill_count: 0
    .wavefront_size: 32
    .workgroup_processor_mode: 1
  - .args:
      - .actual_access:  read_only
        .address_space:  global
        .offset:         0
        .size:           8
        .value_kind:     global_buffer
      - .actual_access:  read_only
        .address_space:  global
        .offset:         8
        .size:           8
        .value_kind:     global_buffer
      - .actual_access:  read_only
        .address_space:  global
        .offset:         16
        .size:           8
        .value_kind:     global_buffer
      - .actual_access:  read_only
        .address_space:  global
        .offset:         24
        .size:           8
        .value_kind:     global_buffer
      - .actual_access:  read_only
        .address_space:  global
        .offset:         32
        .size:           8
        .value_kind:     global_buffer
      - .actual_access:  read_only
        .address_space:  global
        .offset:         40
        .size:           8
        .value_kind:     global_buffer
      - .offset:         48
        .size:           4
        .value_kind:     by_value
      - .offset:         52
        .size:           4
        .value_kind:     by_value
      - .offset:         56
        .size:           4
        .value_kind:     by_value
      - .offset:         60
        .size:           4
        .value_kind:     by_value
      - .offset:         64
        .size:           4
        .value_kind:     by_value
      - .offset:         68
        .size:           4
        .value_kind:     by_value
      - .offset:         72
        .size:           4
        .value_kind:     by_value
      - .offset:         76
        .size:           4
        .value_kind:     by_value
      - .offset:         80
        .size:           4
        .value_kind:     by_value
      - .offset:         84
        .size:           4
        .value_kind:     by_value
      - .offset:         88
        .size:           4
        .value_kind:     by_value
      - .offset:         92
        .size:           4
        .value_kind:     by_value
      - .offset:         96
        .size:           4
        .value_kind:     by_value
      - .offset:         100
        .size:           4
        .value_kind:     by_value
      - .offset:         104
        .size:           12
        .value_kind:     by_value
      - .offset:         116
        .size:           12
        .value_kind:     by_value
      - .offset:         128
        .size:           4
        .value_kind:     hidden_block_count_x
      - .offset:         132
        .size:           4
        .value_kind:     hidden_block_count_y
      - .offset:         136
        .size:           4
        .value_kind:     hidden_block_count_z
      - .offset:         140
        .size:           2
        .value_kind:     hidden_group_size_x
      - .offset:         142
        .size:           2
        .value_kind:     hidden_group_size_y
      - .offset:         144
        .size:           2
        .value_kind:     hidden_group_size_z
      - .offset:         146
        .size:           2
        .value_kind:     hidden_remainder_x
      - .offset:         148
        .size:           2
        .value_kind:     hidden_remainder_y
      - .offset:         150
        .size:           2
        .value_kind:     hidden_remainder_z
      - .offset:         168
        .size:           8
        .value_kind:     hidden_global_offset_x
      - .offset:         176
        .size:           8
        .value_kind:     hidden_global_offset_y
      - .offset:         184
        .size:           8
        .value_kind:     hidden_global_offset_z
      - .offset:         192
        .size:           2
        .value_kind:     hidden_grid_dims
      - .offset:         208
        .size:           8
        .value_kind:     hidden_hostcall_buffer
    .group_segment_fixed_size: 0
    .kernarg_segment_align: 8
    .kernarg_segment_size: 384
    .language:       OpenCL C
    .language_version:
      - 2
      - 0
    .max_flat_workgroup_size: 224
    .name:           _ZL13mul_mat_f_idsIfLi64ELi4ELi7EEvPKT_PKfPKiS6_S6_Pfiiiiiiiiiiiiii15HIP_vector_typeIjLj3EES9_
    .private_segment_fixed_size: 16
    .sgpr_count:     36
    .sgpr_spill_count: 0
    .symbol:         _ZL13mul_mat_f_idsIfLi64ELi4ELi7EEvPKT_PKfPKiS6_S6_Pfiiiiiiiiiiiiii15HIP_vector_typeIjLj3EES9_.kd
    .uniform_work_group_size: 1
    .uses_dynamic_stack: false
    .vgpr_count:     38
    .vgpr_spill_count: 0
    .wavefront_size: 32
    .workgroup_processor_mode: 1
  - .args:
      - .actual_access:  read_only
        .address_space:  global
        .offset:         0
        .size:           8
        .value_kind:     global_buffer
      - .actual_access:  read_only
        .address_space:  global
        .offset:         8
        .size:           8
        .value_kind:     global_buffer
      - .actual_access:  read_only
        .address_space:  global
        .offset:         16
        .size:           8
        .value_kind:     global_buffer
      - .actual_access:  read_only
        .address_space:  global
        .offset:         24
        .size:           8
        .value_kind:     global_buffer
      - .offset:         32
        .size:           4
        .value_kind:     by_value
      - .offset:         36
        .size:           4
        .value_kind:     by_value
      - .offset:         40
        .size:           4
        .value_kind:     by_value
      - .offset:         44
        .size:           4
        .value_kind:     by_value
      - .offset:         48
        .size:           4
        .value_kind:     by_value
      - .offset:         52
        .size:           4
        .value_kind:     by_value
      - .offset:         56
        .size:           4
        .value_kind:     by_value
      - .offset:         60
        .size:           4
        .value_kind:     by_value
      - .offset:         64
        .size:           4
        .value_kind:     by_value
      - .offset:         68
        .size:           4
        .value_kind:     by_value
      - .offset:         72
        .size:           4
        .value_kind:     by_value
      - .offset:         76
        .size:           4
        .value_kind:     by_value
      - .offset:         80
        .size:           4
        .value_kind:     by_value
      - .offset:         84
        .size:           4
        .value_kind:     by_value
      - .offset:         88
        .size:           4
        .value_kind:     by_value
      - .offset:         92
        .size:           4
        .value_kind:     by_value
      - .offset:         96
        .size:           4
        .value_kind:     hidden_block_count_x
      - .offset:         100
        .size:           4
        .value_kind:     hidden_block_count_y
      - .offset:         104
        .size:           4
        .value_kind:     hidden_block_count_z
      - .offset:         108
        .size:           2
        .value_kind:     hidden_group_size_x
      - .offset:         110
        .size:           2
        .value_kind:     hidden_group_size_y
      - .offset:         112
        .size:           2
        .value_kind:     hidden_group_size_z
      - .offset:         114
        .size:           2
        .value_kind:     hidden_remainder_x
      - .offset:         116
        .size:           2
        .value_kind:     hidden_remainder_y
      - .offset:         118
        .size:           2
        .value_kind:     hidden_remainder_z
      - .offset:         136
        .size:           8
        .value_kind:     hidden_global_offset_x
      - .offset:         144
        .size:           8
        .value_kind:     hidden_global_offset_y
      - .offset:         152
        .size:           8
        .value_kind:     hidden_global_offset_z
      - .offset:         160
        .size:           2
        .value_kind:     hidden_grid_dims
      - .offset:         176
        .size:           8
        .value_kind:     hidden_hostcall_buffer
    .group_segment_fixed_size: 0
    .kernarg_segment_align: 8
    .kernarg_segment_size: 352
    .language:       OpenCL C
    .language_version:
      - 2
      - 0
    .max_flat_workgroup_size: 224
    .name:           _ZL9mul_mat_fIfLi64ELi4ELi7ELb1EEvPKT_PKfPKiPfiiiiiiiiiiiiiiii
    .private_segment_fixed_size: 16
    .sgpr_count:     36
    .sgpr_spill_count: 0
    .symbol:         _ZL9mul_mat_fIfLi64ELi4ELi7ELb1EEvPKT_PKfPKiPfiiiiiiiiiiiiiiii.kd
    .uniform_work_group_size: 1
    .uses_dynamic_stack: false
    .vgpr_count:     38
    .vgpr_spill_count: 0
    .wavefront_size: 32
    .workgroup_processor_mode: 1
  - .args:
      - .actual_access:  read_only
        .address_space:  global
        .offset:         0
        .size:           8
        .value_kind:     global_buffer
      - .actual_access:  read_only
        .address_space:  global
        .offset:         8
        .size:           8
        .value_kind:     global_buffer
      - .actual_access:  read_only
        .address_space:  global
        .offset:         16
        .size:           8
        .value_kind:     global_buffer
      - .actual_access:  read_only
        .address_space:  global
        .offset:         24
        .size:           8
        .value_kind:     global_buffer
      - .offset:         32
        .size:           4
        .value_kind:     by_value
      - .offset:         36
        .size:           4
        .value_kind:     by_value
      - .offset:         40
        .size:           4
        .value_kind:     by_value
      - .offset:         44
        .size:           4
        .value_kind:     by_value
      - .offset:         48
        .size:           4
        .value_kind:     by_value
      - .offset:         52
        .size:           4
        .value_kind:     by_value
      - .offset:         56
        .size:           4
        .value_kind:     by_value
      - .offset:         60
        .size:           4
        .value_kind:     by_value
      - .offset:         64
        .size:           4
        .value_kind:     by_value
      - .offset:         68
        .size:           4
        .value_kind:     by_value
      - .offset:         72
        .size:           4
        .value_kind:     by_value
      - .offset:         76
        .size:           4
        .value_kind:     by_value
      - .offset:         80
        .size:           4
        .value_kind:     by_value
      - .offset:         84
        .size:           4
        .value_kind:     by_value
      - .offset:         88
        .size:           4
        .value_kind:     by_value
      - .offset:         92
        .size:           4
        .value_kind:     by_value
      - .offset:         96
        .size:           4
        .value_kind:     hidden_block_count_x
      - .offset:         100
        .size:           4
        .value_kind:     hidden_block_count_y
      - .offset:         104
        .size:           4
        .value_kind:     hidden_block_count_z
      - .offset:         108
        .size:           2
        .value_kind:     hidden_group_size_x
      - .offset:         110
        .size:           2
        .value_kind:     hidden_group_size_y
      - .offset:         112
        .size:           2
        .value_kind:     hidden_group_size_z
      - .offset:         114
        .size:           2
        .value_kind:     hidden_remainder_x
      - .offset:         116
        .size:           2
        .value_kind:     hidden_remainder_y
      - .offset:         118
        .size:           2
        .value_kind:     hidden_remainder_z
      - .offset:         136
        .size:           8
        .value_kind:     hidden_global_offset_x
      - .offset:         144
        .size:           8
        .value_kind:     hidden_global_offset_y
      - .offset:         152
        .size:           8
        .value_kind:     hidden_global_offset_z
      - .offset:         160
        .size:           2
        .value_kind:     hidden_grid_dims
      - .offset:         176
        .size:           8
        .value_kind:     hidden_hostcall_buffer
    .group_segment_fixed_size: 0
    .kernarg_segment_align: 8
    .kernarg_segment_size: 352
    .language:       OpenCL C
    .language_version:
      - 2
      - 0
    .max_flat_workgroup_size: 224
    .name:           _ZL9mul_mat_fIfLi64ELi4ELi7ELb0EEvPKT_PKfPKiPfiiiiiiiiiiiiiiii
    .private_segment_fixed_size: 16
    .sgpr_count:     36
    .sgpr_spill_count: 0
    .symbol:         _ZL9mul_mat_fIfLi64ELi4ELi7ELb0EEvPKT_PKfPKiPfiiiiiiiiiiiiiiii.kd
    .uniform_work_group_size: 1
    .uses_dynamic_stack: false
    .vgpr_count:     38
    .vgpr_spill_count: 0
    .wavefront_size: 32
    .workgroup_processor_mode: 1
  - .args:
      - .actual_access:  read_only
        .address_space:  global
        .offset:         0
        .size:           8
        .value_kind:     global_buffer
      - .actual_access:  read_only
        .address_space:  global
        .offset:         8
        .size:           8
        .value_kind:     global_buffer
      - .actual_access:  read_only
        .address_space:  global
        .offset:         16
        .size:           8
        .value_kind:     global_buffer
      - .actual_access:  read_only
        .address_space:  global
        .offset:         24
        .size:           8
        .value_kind:     global_buffer
      - .actual_access:  read_only
        .address_space:  global
        .offset:         32
        .size:           8
        .value_kind:     global_buffer
      - .actual_access:  read_only
        .address_space:  global
        .offset:         40
        .size:           8
        .value_kind:     global_buffer
      - .offset:         48
        .size:           4
        .value_kind:     by_value
      - .offset:         52
        .size:           4
        .value_kind:     by_value
      - .offset:         56
        .size:           4
        .value_kind:     by_value
      - .offset:         60
        .size:           4
        .value_kind:     by_value
      - .offset:         64
        .size:           4
        .value_kind:     by_value
      - .offset:         68
        .size:           4
        .value_kind:     by_value
      - .offset:         72
        .size:           4
        .value_kind:     by_value
      - .offset:         76
        .size:           4
        .value_kind:     by_value
      - .offset:         80
        .size:           4
        .value_kind:     by_value
      - .offset:         84
        .size:           4
        .value_kind:     by_value
      - .offset:         88
        .size:           4
        .value_kind:     by_value
      - .offset:         92
        .size:           4
        .value_kind:     by_value
      - .offset:         96
        .size:           4
        .value_kind:     by_value
      - .offset:         100
        .size:           4
        .value_kind:     by_value
      - .offset:         104
        .size:           12
        .value_kind:     by_value
      - .offset:         116
        .size:           12
        .value_kind:     by_value
      - .offset:         128
        .size:           4
        .value_kind:     hidden_block_count_x
      - .offset:         132
        .size:           4
        .value_kind:     hidden_block_count_y
      - .offset:         136
        .size:           4
        .value_kind:     hidden_block_count_z
      - .offset:         140
        .size:           2
        .value_kind:     hidden_group_size_x
      - .offset:         142
        .size:           2
        .value_kind:     hidden_group_size_y
      - .offset:         144
        .size:           2
        .value_kind:     hidden_group_size_z
      - .offset:         146
        .size:           2
        .value_kind:     hidden_remainder_x
      - .offset:         148
        .size:           2
        .value_kind:     hidden_remainder_y
      - .offset:         150
        .size:           2
        .value_kind:     hidden_remainder_z
      - .offset:         168
        .size:           8
        .value_kind:     hidden_global_offset_x
      - .offset:         176
        .size:           8
        .value_kind:     hidden_global_offset_y
      - .offset:         184
        .size:           8
        .value_kind:     hidden_global_offset_z
      - .offset:         192
        .size:           2
        .value_kind:     hidden_grid_dims
      - .offset:         208
        .size:           8
        .value_kind:     hidden_hostcall_buffer
    .group_segment_fixed_size: 0
    .kernarg_segment_align: 8
    .kernarg_segment_size: 384
    .language:       OpenCL C
    .language_version:
      - 2
      - 0
    .max_flat_workgroup_size: 256
    .name:           _ZL13mul_mat_f_idsIfLi64ELi4ELi8EEvPKT_PKfPKiS6_S6_Pfiiiiiiiiiiiiii15HIP_vector_typeIjLj3EES9_
    .private_segment_fixed_size: 16
    .sgpr_count:     36
    .sgpr_spill_count: 0
    .symbol:         _ZL13mul_mat_f_idsIfLi64ELi4ELi8EEvPKT_PKfPKiS6_S6_Pfiiiiiiiiiiiiii15HIP_vector_typeIjLj3EES9_.kd
    .uniform_work_group_size: 1
    .uses_dynamic_stack: false
    .vgpr_count:     38
    .vgpr_spill_count: 0
    .wavefront_size: 32
    .workgroup_processor_mode: 1
  - .args:
      - .actual_access:  read_only
        .address_space:  global
        .offset:         0
        .size:           8
        .value_kind:     global_buffer
      - .actual_access:  read_only
        .address_space:  global
        .offset:         8
        .size:           8
        .value_kind:     global_buffer
      - .actual_access:  read_only
        .address_space:  global
        .offset:         16
        .size:           8
        .value_kind:     global_buffer
      - .actual_access:  read_only
        .address_space:  global
        .offset:         24
        .size:           8
        .value_kind:     global_buffer
      - .offset:         32
        .size:           4
        .value_kind:     by_value
      - .offset:         36
        .size:           4
        .value_kind:     by_value
      - .offset:         40
        .size:           4
        .value_kind:     by_value
      - .offset:         44
        .size:           4
        .value_kind:     by_value
      - .offset:         48
        .size:           4
        .value_kind:     by_value
      - .offset:         52
        .size:           4
        .value_kind:     by_value
      - .offset:         56
        .size:           4
        .value_kind:     by_value
      - .offset:         60
        .size:           4
        .value_kind:     by_value
      - .offset:         64
        .size:           4
        .value_kind:     by_value
      - .offset:         68
        .size:           4
        .value_kind:     by_value
      - .offset:         72
        .size:           4
        .value_kind:     by_value
      - .offset:         76
        .size:           4
        .value_kind:     by_value
      - .offset:         80
        .size:           4
        .value_kind:     by_value
      - .offset:         84
        .size:           4
        .value_kind:     by_value
      - .offset:         88
        .size:           4
        .value_kind:     by_value
      - .offset:         92
        .size:           4
        .value_kind:     by_value
      - .offset:         96
        .size:           4
        .value_kind:     hidden_block_count_x
      - .offset:         100
        .size:           4
        .value_kind:     hidden_block_count_y
      - .offset:         104
        .size:           4
        .value_kind:     hidden_block_count_z
      - .offset:         108
        .size:           2
        .value_kind:     hidden_group_size_x
      - .offset:         110
        .size:           2
        .value_kind:     hidden_group_size_y
      - .offset:         112
        .size:           2
        .value_kind:     hidden_group_size_z
      - .offset:         114
        .size:           2
        .value_kind:     hidden_remainder_x
      - .offset:         116
        .size:           2
        .value_kind:     hidden_remainder_y
      - .offset:         118
        .size:           2
        .value_kind:     hidden_remainder_z
      - .offset:         136
        .size:           8
        .value_kind:     hidden_global_offset_x
      - .offset:         144
        .size:           8
        .value_kind:     hidden_global_offset_y
      - .offset:         152
        .size:           8
        .value_kind:     hidden_global_offset_z
      - .offset:         160
        .size:           2
        .value_kind:     hidden_grid_dims
      - .offset:         176
        .size:           8
        .value_kind:     hidden_hostcall_buffer
    .group_segment_fixed_size: 0
    .kernarg_segment_align: 8
    .kernarg_segment_size: 352
    .language:       OpenCL C
    .language_version:
      - 2
      - 0
    .max_flat_workgroup_size: 256
    .name:           _ZL9mul_mat_fIfLi64ELi4ELi8ELb1EEvPKT_PKfPKiPfiiiiiiiiiiiiiiii
    .private_segment_fixed_size: 16
    .sgpr_count:     36
    .sgpr_spill_count: 0
    .symbol:         _ZL9mul_mat_fIfLi64ELi4ELi8ELb1EEvPKT_PKfPKiPfiiiiiiiiiiiiiiii.kd
    .uniform_work_group_size: 1
    .uses_dynamic_stack: false
    .vgpr_count:     38
    .vgpr_spill_count: 0
    .wavefront_size: 32
    .workgroup_processor_mode: 1
  - .args:
      - .actual_access:  read_only
        .address_space:  global
        .offset:         0
        .size:           8
        .value_kind:     global_buffer
      - .actual_access:  read_only
        .address_space:  global
        .offset:         8
        .size:           8
        .value_kind:     global_buffer
      - .actual_access:  read_only
        .address_space:  global
        .offset:         16
        .size:           8
        .value_kind:     global_buffer
      - .actual_access:  read_only
        .address_space:  global
        .offset:         24
        .size:           8
        .value_kind:     global_buffer
      - .offset:         32
        .size:           4
        .value_kind:     by_value
      - .offset:         36
        .size:           4
        .value_kind:     by_value
      - .offset:         40
        .size:           4
        .value_kind:     by_value
      - .offset:         44
        .size:           4
        .value_kind:     by_value
      - .offset:         48
        .size:           4
        .value_kind:     by_value
      - .offset:         52
        .size:           4
        .value_kind:     by_value
      - .offset:         56
        .size:           4
        .value_kind:     by_value
      - .offset:         60
        .size:           4
        .value_kind:     by_value
      - .offset:         64
        .size:           4
        .value_kind:     by_value
      - .offset:         68
        .size:           4
        .value_kind:     by_value
      - .offset:         72
        .size:           4
        .value_kind:     by_value
      - .offset:         76
        .size:           4
        .value_kind:     by_value
      - .offset:         80
        .size:           4
        .value_kind:     by_value
      - .offset:         84
        .size:           4
        .value_kind:     by_value
      - .offset:         88
        .size:           4
        .value_kind:     by_value
      - .offset:         92
        .size:           4
        .value_kind:     by_value
      - .offset:         96
        .size:           4
        .value_kind:     hidden_block_count_x
      - .offset:         100
        .size:           4
        .value_kind:     hidden_block_count_y
      - .offset:         104
        .size:           4
        .value_kind:     hidden_block_count_z
      - .offset:         108
        .size:           2
        .value_kind:     hidden_group_size_x
      - .offset:         110
        .size:           2
        .value_kind:     hidden_group_size_y
      - .offset:         112
        .size:           2
        .value_kind:     hidden_group_size_z
      - .offset:         114
        .size:           2
        .value_kind:     hidden_remainder_x
      - .offset:         116
        .size:           2
        .value_kind:     hidden_remainder_y
      - .offset:         118
        .size:           2
        .value_kind:     hidden_remainder_z
      - .offset:         136
        .size:           8
        .value_kind:     hidden_global_offset_x
      - .offset:         144
        .size:           8
        .value_kind:     hidden_global_offset_y
      - .offset:         152
        .size:           8
        .value_kind:     hidden_global_offset_z
      - .offset:         160
        .size:           2
        .value_kind:     hidden_grid_dims
      - .offset:         176
        .size:           8
        .value_kind:     hidden_hostcall_buffer
    .group_segment_fixed_size: 0
    .kernarg_segment_align: 8
    .kernarg_segment_size: 352
    .language:       OpenCL C
    .language_version:
      - 2
      - 0
    .max_flat_workgroup_size: 256
    .name:           _ZL9mul_mat_fIfLi64ELi4ELi8ELb0EEvPKT_PKfPKiPfiiiiiiiiiiiiiiii
    .private_segment_fixed_size: 16
    .sgpr_count:     36
    .sgpr_spill_count: 0
    .symbol:         _ZL9mul_mat_fIfLi64ELi4ELi8ELb0EEvPKT_PKfPKiPfiiiiiiiiiiiiiiii.kd
    .uniform_work_group_size: 1
    .uses_dynamic_stack: false
    .vgpr_count:     38
    .vgpr_spill_count: 0
    .wavefront_size: 32
    .workgroup_processor_mode: 1
  - .args:
      - .actual_access:  read_only
        .address_space:  global
        .offset:         0
        .size:           8
        .value_kind:     global_buffer
      - .actual_access:  read_only
        .address_space:  global
        .offset:         8
        .size:           8
        .value_kind:     global_buffer
      - .actual_access:  read_only
        .address_space:  global
        .offset:         16
        .size:           8
        .value_kind:     global_buffer
      - .actual_access:  read_only
        .address_space:  global
        .offset:         24
        .size:           8
        .value_kind:     global_buffer
      - .actual_access:  read_only
        .address_space:  global
        .offset:         32
        .size:           8
        .value_kind:     global_buffer
      - .actual_access:  read_only
        .address_space:  global
        .offset:         40
        .size:           8
        .value_kind:     global_buffer
      - .offset:         48
        .size:           4
        .value_kind:     by_value
      - .offset:         52
        .size:           4
        .value_kind:     by_value
      - .offset:         56
        .size:           4
        .value_kind:     by_value
      - .offset:         60
        .size:           4
        .value_kind:     by_value
      - .offset:         64
        .size:           4
        .value_kind:     by_value
      - .offset:         68
        .size:           4
        .value_kind:     by_value
      - .offset:         72
        .size:           4
        .value_kind:     by_value
      - .offset:         76
        .size:           4
        .value_kind:     by_value
      - .offset:         80
        .size:           4
        .value_kind:     by_value
      - .offset:         84
        .size:           4
        .value_kind:     by_value
      - .offset:         88
        .size:           4
        .value_kind:     by_value
      - .offset:         92
        .size:           4
        .value_kind:     by_value
      - .offset:         96
        .size:           4
        .value_kind:     by_value
      - .offset:         100
        .size:           4
        .value_kind:     by_value
      - .offset:         104
        .size:           12
        .value_kind:     by_value
      - .offset:         116
        .size:           12
        .value_kind:     by_value
      - .offset:         128
        .size:           4
        .value_kind:     hidden_block_count_x
      - .offset:         132
        .size:           4
        .value_kind:     hidden_block_count_y
      - .offset:         136
        .size:           4
        .value_kind:     hidden_block_count_z
      - .offset:         140
        .size:           2
        .value_kind:     hidden_group_size_x
      - .offset:         142
        .size:           2
        .value_kind:     hidden_group_size_y
      - .offset:         144
        .size:           2
        .value_kind:     hidden_group_size_z
      - .offset:         146
        .size:           2
        .value_kind:     hidden_remainder_x
      - .offset:         148
        .size:           2
        .value_kind:     hidden_remainder_y
      - .offset:         150
        .size:           2
        .value_kind:     hidden_remainder_z
      - .offset:         168
        .size:           8
        .value_kind:     hidden_global_offset_x
      - .offset:         176
        .size:           8
        .value_kind:     hidden_global_offset_y
      - .offset:         184
        .size:           8
        .value_kind:     hidden_global_offset_z
      - .offset:         192
        .size:           2
        .value_kind:     hidden_grid_dims
      - .offset:         208
        .size:           8
        .value_kind:     hidden_hostcall_buffer
    .group_segment_fixed_size: 0
    .kernarg_segment_align: 8
    .kernarg_segment_size: 384
    .language:       OpenCL C
    .language_version:
      - 2
      - 0
    .max_flat_workgroup_size: 32
    .name:           _ZL13mul_mat_f_idsI7__half2Li64ELi4ELi1EEvPKT_PKfPKiS7_S7_Pfiiiiiiiiiiiiii15HIP_vector_typeIjLj3EESA_
    .private_segment_fixed_size: 16
    .sgpr_count:     36
    .sgpr_spill_count: 0
    .symbol:         _ZL13mul_mat_f_idsI7__half2Li64ELi4ELi1EEvPKT_PKfPKiS7_S7_Pfiiiiiiiiiiiiii15HIP_vector_typeIjLj3EESA_.kd
    .uniform_work_group_size: 1
    .uses_dynamic_stack: false
    .vgpr_count:     38
    .vgpr_spill_count: 0
    .wavefront_size: 32
    .workgroup_processor_mode: 1
  - .args:
      - .actual_access:  read_only
        .address_space:  global
        .offset:         0
        .size:           8
        .value_kind:     global_buffer
      - .actual_access:  read_only
        .address_space:  global
        .offset:         8
        .size:           8
        .value_kind:     global_buffer
      - .actual_access:  read_only
        .address_space:  global
        .offset:         16
        .size:           8
        .value_kind:     global_buffer
      - .actual_access:  read_only
        .address_space:  global
        .offset:         24
        .size:           8
        .value_kind:     global_buffer
      - .offset:         32
        .size:           4
        .value_kind:     by_value
      - .offset:         36
        .size:           4
        .value_kind:     by_value
      - .offset:         40
        .size:           4
        .value_kind:     by_value
      - .offset:         44
        .size:           4
        .value_kind:     by_value
      - .offset:         48
        .size:           4
        .value_kind:     by_value
      - .offset:         52
        .size:           4
        .value_kind:     by_value
      - .offset:         56
        .size:           4
        .value_kind:     by_value
      - .offset:         60
        .size:           4
        .value_kind:     by_value
      - .offset:         64
        .size:           4
        .value_kind:     by_value
      - .offset:         68
        .size:           4
        .value_kind:     by_value
      - .offset:         72
        .size:           4
        .value_kind:     by_value
      - .offset:         76
        .size:           4
        .value_kind:     by_value
      - .offset:         80
        .size:           4
        .value_kind:     by_value
      - .offset:         84
        .size:           4
        .value_kind:     by_value
      - .offset:         88
        .size:           4
        .value_kind:     by_value
      - .offset:         92
        .size:           4
        .value_kind:     by_value
      - .offset:         96
        .size:           4
        .value_kind:     hidden_block_count_x
      - .offset:         100
        .size:           4
        .value_kind:     hidden_block_count_y
      - .offset:         104
        .size:           4
        .value_kind:     hidden_block_count_z
      - .offset:         108
        .size:           2
        .value_kind:     hidden_group_size_x
      - .offset:         110
        .size:           2
        .value_kind:     hidden_group_size_y
      - .offset:         112
        .size:           2
        .value_kind:     hidden_group_size_z
      - .offset:         114
        .size:           2
        .value_kind:     hidden_remainder_x
      - .offset:         116
        .size:           2
        .value_kind:     hidden_remainder_y
      - .offset:         118
        .size:           2
        .value_kind:     hidden_remainder_z
      - .offset:         136
        .size:           8
        .value_kind:     hidden_global_offset_x
      - .offset:         144
        .size:           8
        .value_kind:     hidden_global_offset_y
      - .offset:         152
        .size:           8
        .value_kind:     hidden_global_offset_z
      - .offset:         160
        .size:           2
        .value_kind:     hidden_grid_dims
      - .offset:         176
        .size:           8
        .value_kind:     hidden_hostcall_buffer
    .group_segment_fixed_size: 0
    .kernarg_segment_align: 8
    .kernarg_segment_size: 352
    .language:       OpenCL C
    .language_version:
      - 2
      - 0
    .max_flat_workgroup_size: 32
    .name:           _ZL9mul_mat_fI7__half2Li64ELi4ELi1ELb1EEvPKT_PKfPKiPfiiiiiiiiiiiiiiii
    .private_segment_fixed_size: 16
    .sgpr_count:     36
    .sgpr_spill_count: 0
    .symbol:         _ZL9mul_mat_fI7__half2Li64ELi4ELi1ELb1EEvPKT_PKfPKiPfiiiiiiiiiiiiiiii.kd
    .uniform_work_group_size: 1
    .uses_dynamic_stack: false
    .vgpr_count:     38
    .vgpr_spill_count: 0
    .wavefront_size: 32
    .workgroup_processor_mode: 1
  - .args:
      - .actual_access:  read_only
        .address_space:  global
        .offset:         0
        .size:           8
        .value_kind:     global_buffer
      - .actual_access:  read_only
        .address_space:  global
        .offset:         8
        .size:           8
        .value_kind:     global_buffer
      - .actual_access:  read_only
        .address_space:  global
        .offset:         16
        .size:           8
        .value_kind:     global_buffer
      - .actual_access:  read_only
        .address_space:  global
        .offset:         24
        .size:           8
        .value_kind:     global_buffer
      - .offset:         32
        .size:           4
        .value_kind:     by_value
      - .offset:         36
        .size:           4
        .value_kind:     by_value
      - .offset:         40
        .size:           4
        .value_kind:     by_value
      - .offset:         44
        .size:           4
        .value_kind:     by_value
      - .offset:         48
        .size:           4
        .value_kind:     by_value
      - .offset:         52
        .size:           4
        .value_kind:     by_value
      - .offset:         56
        .size:           4
        .value_kind:     by_value
      - .offset:         60
        .size:           4
        .value_kind:     by_value
      - .offset:         64
        .size:           4
        .value_kind:     by_value
      - .offset:         68
        .size:           4
        .value_kind:     by_value
      - .offset:         72
        .size:           4
        .value_kind:     by_value
      - .offset:         76
        .size:           4
        .value_kind:     by_value
      - .offset:         80
        .size:           4
        .value_kind:     by_value
      - .offset:         84
        .size:           4
        .value_kind:     by_value
      - .offset:         88
        .size:           4
        .value_kind:     by_value
      - .offset:         92
        .size:           4
        .value_kind:     by_value
      - .offset:         96
        .size:           4
        .value_kind:     hidden_block_count_x
      - .offset:         100
        .size:           4
        .value_kind:     hidden_block_count_y
      - .offset:         104
        .size:           4
        .value_kind:     hidden_block_count_z
      - .offset:         108
        .size:           2
        .value_kind:     hidden_group_size_x
      - .offset:         110
        .size:           2
        .value_kind:     hidden_group_size_y
      - .offset:         112
        .size:           2
        .value_kind:     hidden_group_size_z
      - .offset:         114
        .size:           2
        .value_kind:     hidden_remainder_x
      - .offset:         116
        .size:           2
        .value_kind:     hidden_remainder_y
      - .offset:         118
        .size:           2
        .value_kind:     hidden_remainder_z
      - .offset:         136
        .size:           8
        .value_kind:     hidden_global_offset_x
      - .offset:         144
        .size:           8
        .value_kind:     hidden_global_offset_y
      - .offset:         152
        .size:           8
        .value_kind:     hidden_global_offset_z
      - .offset:         160
        .size:           2
        .value_kind:     hidden_grid_dims
      - .offset:         176
        .size:           8
        .value_kind:     hidden_hostcall_buffer
    .group_segment_fixed_size: 0
    .kernarg_segment_align: 8
    .kernarg_segment_size: 352
    .language:       OpenCL C
    .language_version:
      - 2
      - 0
    .max_flat_workgroup_size: 32
    .name:           _ZL9mul_mat_fI7__half2Li64ELi4ELi1ELb0EEvPKT_PKfPKiPfiiiiiiiiiiiiiiii
    .private_segment_fixed_size: 16
    .sgpr_count:     36
    .sgpr_spill_count: 0
    .symbol:         _ZL9mul_mat_fI7__half2Li64ELi4ELi1ELb0EEvPKT_PKfPKiPfiiiiiiiiiiiiiiii.kd
    .uniform_work_group_size: 1
    .uses_dynamic_stack: false
    .vgpr_count:     38
    .vgpr_spill_count: 0
    .wavefront_size: 32
    .workgroup_processor_mode: 1
  - .args:
      - .actual_access:  read_only
        .address_space:  global
        .offset:         0
        .size:           8
        .value_kind:     global_buffer
      - .actual_access:  read_only
        .address_space:  global
        .offset:         8
        .size:           8
        .value_kind:     global_buffer
      - .actual_access:  read_only
        .address_space:  global
        .offset:         16
        .size:           8
        .value_kind:     global_buffer
      - .actual_access:  read_only
        .address_space:  global
        .offset:         24
        .size:           8
        .value_kind:     global_buffer
      - .actual_access:  read_only
        .address_space:  global
        .offset:         32
        .size:           8
        .value_kind:     global_buffer
      - .actual_access:  read_only
        .address_space:  global
        .offset:         40
        .size:           8
        .value_kind:     global_buffer
      - .offset:         48
        .size:           4
        .value_kind:     by_value
      - .offset:         52
        .size:           4
        .value_kind:     by_value
      - .offset:         56
        .size:           4
        .value_kind:     by_value
      - .offset:         60
        .size:           4
        .value_kind:     by_value
      - .offset:         64
        .size:           4
        .value_kind:     by_value
      - .offset:         68
        .size:           4
        .value_kind:     by_value
      - .offset:         72
        .size:           4
        .value_kind:     by_value
      - .offset:         76
        .size:           4
        .value_kind:     by_value
      - .offset:         80
        .size:           4
        .value_kind:     by_value
      - .offset:         84
        .size:           4
        .value_kind:     by_value
      - .offset:         88
        .size:           4
        .value_kind:     by_value
      - .offset:         92
        .size:           4
        .value_kind:     by_value
      - .offset:         96
        .size:           4
        .value_kind:     by_value
      - .offset:         100
        .size:           4
        .value_kind:     by_value
      - .offset:         104
        .size:           12
        .value_kind:     by_value
      - .offset:         116
        .size:           12
        .value_kind:     by_value
      - .offset:         128
        .size:           4
        .value_kind:     hidden_block_count_x
      - .offset:         132
        .size:           4
        .value_kind:     hidden_block_count_y
      - .offset:         136
        .size:           4
        .value_kind:     hidden_block_count_z
      - .offset:         140
        .size:           2
        .value_kind:     hidden_group_size_x
      - .offset:         142
        .size:           2
        .value_kind:     hidden_group_size_y
      - .offset:         144
        .size:           2
        .value_kind:     hidden_group_size_z
      - .offset:         146
        .size:           2
        .value_kind:     hidden_remainder_x
      - .offset:         148
        .size:           2
        .value_kind:     hidden_remainder_y
      - .offset:         150
        .size:           2
        .value_kind:     hidden_remainder_z
      - .offset:         168
        .size:           8
        .value_kind:     hidden_global_offset_x
      - .offset:         176
        .size:           8
        .value_kind:     hidden_global_offset_y
      - .offset:         184
        .size:           8
        .value_kind:     hidden_global_offset_z
      - .offset:         192
        .size:           2
        .value_kind:     hidden_grid_dims
      - .offset:         208
        .size:           8
        .value_kind:     hidden_hostcall_buffer
    .group_segment_fixed_size: 0
    .kernarg_segment_align: 8
    .kernarg_segment_size: 384
    .language:       OpenCL C
    .language_version:
      - 2
      - 0
    .max_flat_workgroup_size: 64
    .name:           _ZL13mul_mat_f_idsI7__half2Li64ELi4ELi2EEvPKT_PKfPKiS7_S7_Pfiiiiiiiiiiiiii15HIP_vector_typeIjLj3EESA_
    .private_segment_fixed_size: 16
    .sgpr_count:     36
    .sgpr_spill_count: 0
    .symbol:         _ZL13mul_mat_f_idsI7__half2Li64ELi4ELi2EEvPKT_PKfPKiS7_S7_Pfiiiiiiiiiiiiii15HIP_vector_typeIjLj3EESA_.kd
    .uniform_work_group_size: 1
    .uses_dynamic_stack: false
    .vgpr_count:     38
    .vgpr_spill_count: 0
    .wavefront_size: 32
    .workgroup_processor_mode: 1
  - .args:
      - .actual_access:  read_only
        .address_space:  global
        .offset:         0
        .size:           8
        .value_kind:     global_buffer
      - .actual_access:  read_only
        .address_space:  global
        .offset:         8
        .size:           8
        .value_kind:     global_buffer
      - .actual_access:  read_only
        .address_space:  global
        .offset:         16
        .size:           8
        .value_kind:     global_buffer
      - .actual_access:  read_only
        .address_space:  global
        .offset:         24
        .size:           8
        .value_kind:     global_buffer
      - .offset:         32
        .size:           4
        .value_kind:     by_value
      - .offset:         36
        .size:           4
        .value_kind:     by_value
      - .offset:         40
        .size:           4
        .value_kind:     by_value
      - .offset:         44
        .size:           4
        .value_kind:     by_value
      - .offset:         48
        .size:           4
        .value_kind:     by_value
      - .offset:         52
        .size:           4
        .value_kind:     by_value
      - .offset:         56
        .size:           4
        .value_kind:     by_value
      - .offset:         60
        .size:           4
        .value_kind:     by_value
      - .offset:         64
        .size:           4
        .value_kind:     by_value
      - .offset:         68
        .size:           4
        .value_kind:     by_value
      - .offset:         72
        .size:           4
        .value_kind:     by_value
      - .offset:         76
        .size:           4
        .value_kind:     by_value
      - .offset:         80
        .size:           4
        .value_kind:     by_value
      - .offset:         84
        .size:           4
        .value_kind:     by_value
      - .offset:         88
        .size:           4
        .value_kind:     by_value
      - .offset:         92
        .size:           4
        .value_kind:     by_value
      - .offset:         96
        .size:           4
        .value_kind:     hidden_block_count_x
      - .offset:         100
        .size:           4
        .value_kind:     hidden_block_count_y
      - .offset:         104
        .size:           4
        .value_kind:     hidden_block_count_z
      - .offset:         108
        .size:           2
        .value_kind:     hidden_group_size_x
      - .offset:         110
        .size:           2
        .value_kind:     hidden_group_size_y
      - .offset:         112
        .size:           2
        .value_kind:     hidden_group_size_z
      - .offset:         114
        .size:           2
        .value_kind:     hidden_remainder_x
      - .offset:         116
        .size:           2
        .value_kind:     hidden_remainder_y
      - .offset:         118
        .size:           2
        .value_kind:     hidden_remainder_z
      - .offset:         136
        .size:           8
        .value_kind:     hidden_global_offset_x
      - .offset:         144
        .size:           8
        .value_kind:     hidden_global_offset_y
      - .offset:         152
        .size:           8
        .value_kind:     hidden_global_offset_z
      - .offset:         160
        .size:           2
        .value_kind:     hidden_grid_dims
      - .offset:         176
        .size:           8
        .value_kind:     hidden_hostcall_buffer
    .group_segment_fixed_size: 0
    .kernarg_segment_align: 8
    .kernarg_segment_size: 352
    .language:       OpenCL C
    .language_version:
      - 2
      - 0
    .max_flat_workgroup_size: 64
    .name:           _ZL9mul_mat_fI7__half2Li64ELi4ELi2ELb1EEvPKT_PKfPKiPfiiiiiiiiiiiiiiii
    .private_segment_fixed_size: 16
    .sgpr_count:     36
    .sgpr_spill_count: 0
    .symbol:         _ZL9mul_mat_fI7__half2Li64ELi4ELi2ELb1EEvPKT_PKfPKiPfiiiiiiiiiiiiiiii.kd
    .uniform_work_group_size: 1
    .uses_dynamic_stack: false
    .vgpr_count:     38
    .vgpr_spill_count: 0
    .wavefront_size: 32
    .workgroup_processor_mode: 1
  - .args:
      - .actual_access:  read_only
        .address_space:  global
        .offset:         0
        .size:           8
        .value_kind:     global_buffer
      - .actual_access:  read_only
        .address_space:  global
        .offset:         8
        .size:           8
        .value_kind:     global_buffer
      - .actual_access:  read_only
        .address_space:  global
        .offset:         16
        .size:           8
        .value_kind:     global_buffer
      - .actual_access:  read_only
        .address_space:  global
        .offset:         24
        .size:           8
        .value_kind:     global_buffer
      - .offset:         32
        .size:           4
        .value_kind:     by_value
      - .offset:         36
        .size:           4
        .value_kind:     by_value
      - .offset:         40
        .size:           4
        .value_kind:     by_value
      - .offset:         44
        .size:           4
        .value_kind:     by_value
      - .offset:         48
        .size:           4
        .value_kind:     by_value
      - .offset:         52
        .size:           4
        .value_kind:     by_value
      - .offset:         56
        .size:           4
        .value_kind:     by_value
      - .offset:         60
        .size:           4
        .value_kind:     by_value
      - .offset:         64
        .size:           4
        .value_kind:     by_value
      - .offset:         68
        .size:           4
        .value_kind:     by_value
      - .offset:         72
        .size:           4
        .value_kind:     by_value
      - .offset:         76
        .size:           4
        .value_kind:     by_value
      - .offset:         80
        .size:           4
        .value_kind:     by_value
      - .offset:         84
        .size:           4
        .value_kind:     by_value
      - .offset:         88
        .size:           4
        .value_kind:     by_value
      - .offset:         92
        .size:           4
        .value_kind:     by_value
      - .offset:         96
        .size:           4
        .value_kind:     hidden_block_count_x
      - .offset:         100
        .size:           4
        .value_kind:     hidden_block_count_y
      - .offset:         104
        .size:           4
        .value_kind:     hidden_block_count_z
      - .offset:         108
        .size:           2
        .value_kind:     hidden_group_size_x
      - .offset:         110
        .size:           2
        .value_kind:     hidden_group_size_y
      - .offset:         112
        .size:           2
        .value_kind:     hidden_group_size_z
      - .offset:         114
        .size:           2
        .value_kind:     hidden_remainder_x
      - .offset:         116
        .size:           2
        .value_kind:     hidden_remainder_y
      - .offset:         118
        .size:           2
        .value_kind:     hidden_remainder_z
      - .offset:         136
        .size:           8
        .value_kind:     hidden_global_offset_x
      - .offset:         144
        .size:           8
        .value_kind:     hidden_global_offset_y
      - .offset:         152
        .size:           8
        .value_kind:     hidden_global_offset_z
      - .offset:         160
        .size:           2
        .value_kind:     hidden_grid_dims
      - .offset:         176
        .size:           8
        .value_kind:     hidden_hostcall_buffer
    .group_segment_fixed_size: 0
    .kernarg_segment_align: 8
    .kernarg_segment_size: 352
    .language:       OpenCL C
    .language_version:
      - 2
      - 0
    .max_flat_workgroup_size: 64
    .name:           _ZL9mul_mat_fI7__half2Li64ELi4ELi2ELb0EEvPKT_PKfPKiPfiiiiiiiiiiiiiiii
    .private_segment_fixed_size: 16
    .sgpr_count:     36
    .sgpr_spill_count: 0
    .symbol:         _ZL9mul_mat_fI7__half2Li64ELi4ELi2ELb0EEvPKT_PKfPKiPfiiiiiiiiiiiiiiii.kd
    .uniform_work_group_size: 1
    .uses_dynamic_stack: false
    .vgpr_count:     38
    .vgpr_spill_count: 0
    .wavefront_size: 32
    .workgroup_processor_mode: 1
  - .args:
      - .actual_access:  read_only
        .address_space:  global
        .offset:         0
        .size:           8
        .value_kind:     global_buffer
      - .actual_access:  read_only
        .address_space:  global
        .offset:         8
        .size:           8
        .value_kind:     global_buffer
      - .actual_access:  read_only
        .address_space:  global
        .offset:         16
        .size:           8
        .value_kind:     global_buffer
      - .actual_access:  read_only
        .address_space:  global
        .offset:         24
        .size:           8
        .value_kind:     global_buffer
      - .actual_access:  read_only
        .address_space:  global
        .offset:         32
        .size:           8
        .value_kind:     global_buffer
      - .actual_access:  read_only
        .address_space:  global
        .offset:         40
        .size:           8
        .value_kind:     global_buffer
      - .offset:         48
        .size:           4
        .value_kind:     by_value
      - .offset:         52
        .size:           4
        .value_kind:     by_value
      - .offset:         56
        .size:           4
        .value_kind:     by_value
      - .offset:         60
        .size:           4
        .value_kind:     by_value
      - .offset:         64
        .size:           4
        .value_kind:     by_value
      - .offset:         68
        .size:           4
        .value_kind:     by_value
      - .offset:         72
        .size:           4
        .value_kind:     by_value
      - .offset:         76
        .size:           4
        .value_kind:     by_value
      - .offset:         80
        .size:           4
        .value_kind:     by_value
      - .offset:         84
        .size:           4
        .value_kind:     by_value
      - .offset:         88
        .size:           4
        .value_kind:     by_value
      - .offset:         92
        .size:           4
        .value_kind:     by_value
      - .offset:         96
        .size:           4
        .value_kind:     by_value
      - .offset:         100
        .size:           4
        .value_kind:     by_value
      - .offset:         104
        .size:           12
        .value_kind:     by_value
      - .offset:         116
        .size:           12
        .value_kind:     by_value
      - .offset:         128
        .size:           4
        .value_kind:     hidden_block_count_x
      - .offset:         132
        .size:           4
        .value_kind:     hidden_block_count_y
      - .offset:         136
        .size:           4
        .value_kind:     hidden_block_count_z
      - .offset:         140
        .size:           2
        .value_kind:     hidden_group_size_x
      - .offset:         142
        .size:           2
        .value_kind:     hidden_group_size_y
      - .offset:         144
        .size:           2
        .value_kind:     hidden_group_size_z
      - .offset:         146
        .size:           2
        .value_kind:     hidden_remainder_x
      - .offset:         148
        .size:           2
        .value_kind:     hidden_remainder_y
      - .offset:         150
        .size:           2
        .value_kind:     hidden_remainder_z
      - .offset:         168
        .size:           8
        .value_kind:     hidden_global_offset_x
      - .offset:         176
        .size:           8
        .value_kind:     hidden_global_offset_y
      - .offset:         184
        .size:           8
        .value_kind:     hidden_global_offset_z
      - .offset:         192
        .size:           2
        .value_kind:     hidden_grid_dims
      - .offset:         208
        .size:           8
        .value_kind:     hidden_hostcall_buffer
    .group_segment_fixed_size: 0
    .kernarg_segment_align: 8
    .kernarg_segment_size: 384
    .language:       OpenCL C
    .language_version:
      - 2
      - 0
    .max_flat_workgroup_size: 96
    .name:           _ZL13mul_mat_f_idsI7__half2Li64ELi4ELi3EEvPKT_PKfPKiS7_S7_Pfiiiiiiiiiiiiii15HIP_vector_typeIjLj3EESA_
    .private_segment_fixed_size: 16
    .sgpr_count:     36
    .sgpr_spill_count: 0
    .symbol:         _ZL13mul_mat_f_idsI7__half2Li64ELi4ELi3EEvPKT_PKfPKiS7_S7_Pfiiiiiiiiiiiiii15HIP_vector_typeIjLj3EESA_.kd
    .uniform_work_group_size: 1
    .uses_dynamic_stack: false
    .vgpr_count:     38
    .vgpr_spill_count: 0
    .wavefront_size: 32
    .workgroup_processor_mode: 1
  - .args:
      - .actual_access:  read_only
        .address_space:  global
        .offset:         0
        .size:           8
        .value_kind:     global_buffer
      - .actual_access:  read_only
        .address_space:  global
        .offset:         8
        .size:           8
        .value_kind:     global_buffer
      - .actual_access:  read_only
        .address_space:  global
        .offset:         16
        .size:           8
        .value_kind:     global_buffer
      - .actual_access:  read_only
        .address_space:  global
        .offset:         24
        .size:           8
        .value_kind:     global_buffer
      - .offset:         32
        .size:           4
        .value_kind:     by_value
      - .offset:         36
        .size:           4
        .value_kind:     by_value
      - .offset:         40
        .size:           4
        .value_kind:     by_value
      - .offset:         44
        .size:           4
        .value_kind:     by_value
      - .offset:         48
        .size:           4
        .value_kind:     by_value
      - .offset:         52
        .size:           4
        .value_kind:     by_value
      - .offset:         56
        .size:           4
        .value_kind:     by_value
      - .offset:         60
        .size:           4
        .value_kind:     by_value
      - .offset:         64
        .size:           4
        .value_kind:     by_value
      - .offset:         68
        .size:           4
        .value_kind:     by_value
      - .offset:         72
        .size:           4
        .value_kind:     by_value
      - .offset:         76
        .size:           4
        .value_kind:     by_value
      - .offset:         80
        .size:           4
        .value_kind:     by_value
      - .offset:         84
        .size:           4
        .value_kind:     by_value
      - .offset:         88
        .size:           4
        .value_kind:     by_value
      - .offset:         92
        .size:           4
        .value_kind:     by_value
      - .offset:         96
        .size:           4
        .value_kind:     hidden_block_count_x
      - .offset:         100
        .size:           4
        .value_kind:     hidden_block_count_y
      - .offset:         104
        .size:           4
        .value_kind:     hidden_block_count_z
      - .offset:         108
        .size:           2
        .value_kind:     hidden_group_size_x
      - .offset:         110
        .size:           2
        .value_kind:     hidden_group_size_y
      - .offset:         112
        .size:           2
        .value_kind:     hidden_group_size_z
      - .offset:         114
        .size:           2
        .value_kind:     hidden_remainder_x
      - .offset:         116
        .size:           2
        .value_kind:     hidden_remainder_y
      - .offset:         118
        .size:           2
        .value_kind:     hidden_remainder_z
      - .offset:         136
        .size:           8
        .value_kind:     hidden_global_offset_x
      - .offset:         144
        .size:           8
        .value_kind:     hidden_global_offset_y
      - .offset:         152
        .size:           8
        .value_kind:     hidden_global_offset_z
      - .offset:         160
        .size:           2
        .value_kind:     hidden_grid_dims
      - .offset:         176
        .size:           8
        .value_kind:     hidden_hostcall_buffer
    .group_segment_fixed_size: 0
    .kernarg_segment_align: 8
    .kernarg_segment_size: 352
    .language:       OpenCL C
    .language_version:
      - 2
      - 0
    .max_flat_workgroup_size: 96
    .name:           _ZL9mul_mat_fI7__half2Li64ELi4ELi3ELb1EEvPKT_PKfPKiPfiiiiiiiiiiiiiiii
    .private_segment_fixed_size: 16
    .sgpr_count:     36
    .sgpr_spill_count: 0
    .symbol:         _ZL9mul_mat_fI7__half2Li64ELi4ELi3ELb1EEvPKT_PKfPKiPfiiiiiiiiiiiiiiii.kd
    .uniform_work_group_size: 1
    .uses_dynamic_stack: false
    .vgpr_count:     38
    .vgpr_spill_count: 0
    .wavefront_size: 32
    .workgroup_processor_mode: 1
  - .args:
      - .actual_access:  read_only
        .address_space:  global
        .offset:         0
        .size:           8
        .value_kind:     global_buffer
      - .actual_access:  read_only
        .address_space:  global
        .offset:         8
        .size:           8
        .value_kind:     global_buffer
      - .actual_access:  read_only
        .address_space:  global
        .offset:         16
        .size:           8
        .value_kind:     global_buffer
      - .actual_access:  read_only
        .address_space:  global
        .offset:         24
        .size:           8
        .value_kind:     global_buffer
      - .offset:         32
        .size:           4
        .value_kind:     by_value
      - .offset:         36
        .size:           4
        .value_kind:     by_value
      - .offset:         40
        .size:           4
        .value_kind:     by_value
      - .offset:         44
        .size:           4
        .value_kind:     by_value
      - .offset:         48
        .size:           4
        .value_kind:     by_value
      - .offset:         52
        .size:           4
        .value_kind:     by_value
      - .offset:         56
        .size:           4
        .value_kind:     by_value
      - .offset:         60
        .size:           4
        .value_kind:     by_value
      - .offset:         64
        .size:           4
        .value_kind:     by_value
      - .offset:         68
        .size:           4
        .value_kind:     by_value
      - .offset:         72
        .size:           4
        .value_kind:     by_value
      - .offset:         76
        .size:           4
        .value_kind:     by_value
      - .offset:         80
        .size:           4
        .value_kind:     by_value
      - .offset:         84
        .size:           4
        .value_kind:     by_value
      - .offset:         88
        .size:           4
        .value_kind:     by_value
      - .offset:         92
        .size:           4
        .value_kind:     by_value
      - .offset:         96
        .size:           4
        .value_kind:     hidden_block_count_x
      - .offset:         100
        .size:           4
        .value_kind:     hidden_block_count_y
      - .offset:         104
        .size:           4
        .value_kind:     hidden_block_count_z
      - .offset:         108
        .size:           2
        .value_kind:     hidden_group_size_x
      - .offset:         110
        .size:           2
        .value_kind:     hidden_group_size_y
      - .offset:         112
        .size:           2
        .value_kind:     hidden_group_size_z
      - .offset:         114
        .size:           2
        .value_kind:     hidden_remainder_x
      - .offset:         116
        .size:           2
        .value_kind:     hidden_remainder_y
      - .offset:         118
        .size:           2
        .value_kind:     hidden_remainder_z
      - .offset:         136
        .size:           8
        .value_kind:     hidden_global_offset_x
      - .offset:         144
        .size:           8
        .value_kind:     hidden_global_offset_y
      - .offset:         152
        .size:           8
        .value_kind:     hidden_global_offset_z
      - .offset:         160
        .size:           2
        .value_kind:     hidden_grid_dims
      - .offset:         176
        .size:           8
        .value_kind:     hidden_hostcall_buffer
    .group_segment_fixed_size: 0
    .kernarg_segment_align: 8
    .kernarg_segment_size: 352
    .language:       OpenCL C
    .language_version:
      - 2
      - 0
    .max_flat_workgroup_size: 96
    .name:           _ZL9mul_mat_fI7__half2Li64ELi4ELi3ELb0EEvPKT_PKfPKiPfiiiiiiiiiiiiiiii
    .private_segment_fixed_size: 16
    .sgpr_count:     36
    .sgpr_spill_count: 0
    .symbol:         _ZL9mul_mat_fI7__half2Li64ELi4ELi3ELb0EEvPKT_PKfPKiPfiiiiiiiiiiiiiiii.kd
    .uniform_work_group_size: 1
    .uses_dynamic_stack: false
    .vgpr_count:     38
    .vgpr_spill_count: 0
    .wavefront_size: 32
    .workgroup_processor_mode: 1
  - .args:
      - .actual_access:  read_only
        .address_space:  global
        .offset:         0
        .size:           8
        .value_kind:     global_buffer
      - .actual_access:  read_only
        .address_space:  global
        .offset:         8
        .size:           8
        .value_kind:     global_buffer
      - .actual_access:  read_only
        .address_space:  global
        .offset:         16
        .size:           8
        .value_kind:     global_buffer
      - .actual_access:  read_only
        .address_space:  global
        .offset:         24
        .size:           8
        .value_kind:     global_buffer
      - .actual_access:  read_only
        .address_space:  global
        .offset:         32
        .size:           8
        .value_kind:     global_buffer
      - .actual_access:  read_only
        .address_space:  global
        .offset:         40
        .size:           8
        .value_kind:     global_buffer
      - .offset:         48
        .size:           4
        .value_kind:     by_value
      - .offset:         52
        .size:           4
        .value_kind:     by_value
      - .offset:         56
        .size:           4
        .value_kind:     by_value
      - .offset:         60
        .size:           4
        .value_kind:     by_value
      - .offset:         64
        .size:           4
        .value_kind:     by_value
      - .offset:         68
        .size:           4
        .value_kind:     by_value
      - .offset:         72
        .size:           4
        .value_kind:     by_value
      - .offset:         76
        .size:           4
        .value_kind:     by_value
      - .offset:         80
        .size:           4
        .value_kind:     by_value
      - .offset:         84
        .size:           4
        .value_kind:     by_value
      - .offset:         88
        .size:           4
        .value_kind:     by_value
      - .offset:         92
        .size:           4
        .value_kind:     by_value
      - .offset:         96
        .size:           4
        .value_kind:     by_value
      - .offset:         100
        .size:           4
        .value_kind:     by_value
      - .offset:         104
        .size:           12
        .value_kind:     by_value
      - .offset:         116
        .size:           12
        .value_kind:     by_value
      - .offset:         128
        .size:           4
        .value_kind:     hidden_block_count_x
      - .offset:         132
        .size:           4
        .value_kind:     hidden_block_count_y
      - .offset:         136
        .size:           4
        .value_kind:     hidden_block_count_z
      - .offset:         140
        .size:           2
        .value_kind:     hidden_group_size_x
      - .offset:         142
        .size:           2
        .value_kind:     hidden_group_size_y
      - .offset:         144
        .size:           2
        .value_kind:     hidden_group_size_z
      - .offset:         146
        .size:           2
        .value_kind:     hidden_remainder_x
      - .offset:         148
        .size:           2
        .value_kind:     hidden_remainder_y
      - .offset:         150
        .size:           2
        .value_kind:     hidden_remainder_z
      - .offset:         168
        .size:           8
        .value_kind:     hidden_global_offset_x
      - .offset:         176
        .size:           8
        .value_kind:     hidden_global_offset_y
      - .offset:         184
        .size:           8
        .value_kind:     hidden_global_offset_z
      - .offset:         192
        .size:           2
        .value_kind:     hidden_grid_dims
      - .offset:         208
        .size:           8
        .value_kind:     hidden_hostcall_buffer
    .group_segment_fixed_size: 0
    .kernarg_segment_align: 8
    .kernarg_segment_size: 384
    .language:       OpenCL C
    .language_version:
      - 2
      - 0
    .max_flat_workgroup_size: 128
    .name:           _ZL13mul_mat_f_idsI7__half2Li64ELi4ELi4EEvPKT_PKfPKiS7_S7_Pfiiiiiiiiiiiiii15HIP_vector_typeIjLj3EESA_
    .private_segment_fixed_size: 16
    .sgpr_count:     36
    .sgpr_spill_count: 0
    .symbol:         _ZL13mul_mat_f_idsI7__half2Li64ELi4ELi4EEvPKT_PKfPKiS7_S7_Pfiiiiiiiiiiiiii15HIP_vector_typeIjLj3EESA_.kd
    .uniform_work_group_size: 1
    .uses_dynamic_stack: false
    .vgpr_count:     38
    .vgpr_spill_count: 0
    .wavefront_size: 32
    .workgroup_processor_mode: 1
  - .args:
      - .actual_access:  read_only
        .address_space:  global
        .offset:         0
        .size:           8
        .value_kind:     global_buffer
      - .actual_access:  read_only
        .address_space:  global
        .offset:         8
        .size:           8
        .value_kind:     global_buffer
      - .actual_access:  read_only
        .address_space:  global
        .offset:         16
        .size:           8
        .value_kind:     global_buffer
      - .actual_access:  read_only
        .address_space:  global
        .offset:         24
        .size:           8
        .value_kind:     global_buffer
      - .offset:         32
        .size:           4
        .value_kind:     by_value
      - .offset:         36
        .size:           4
        .value_kind:     by_value
      - .offset:         40
        .size:           4
        .value_kind:     by_value
      - .offset:         44
        .size:           4
        .value_kind:     by_value
      - .offset:         48
        .size:           4
        .value_kind:     by_value
      - .offset:         52
        .size:           4
        .value_kind:     by_value
      - .offset:         56
        .size:           4
        .value_kind:     by_value
      - .offset:         60
        .size:           4
        .value_kind:     by_value
      - .offset:         64
        .size:           4
        .value_kind:     by_value
      - .offset:         68
        .size:           4
        .value_kind:     by_value
      - .offset:         72
        .size:           4
        .value_kind:     by_value
      - .offset:         76
        .size:           4
        .value_kind:     by_value
      - .offset:         80
        .size:           4
        .value_kind:     by_value
      - .offset:         84
        .size:           4
        .value_kind:     by_value
      - .offset:         88
        .size:           4
        .value_kind:     by_value
      - .offset:         92
        .size:           4
        .value_kind:     by_value
      - .offset:         96
        .size:           4
        .value_kind:     hidden_block_count_x
      - .offset:         100
        .size:           4
        .value_kind:     hidden_block_count_y
      - .offset:         104
        .size:           4
        .value_kind:     hidden_block_count_z
      - .offset:         108
        .size:           2
        .value_kind:     hidden_group_size_x
      - .offset:         110
        .size:           2
        .value_kind:     hidden_group_size_y
      - .offset:         112
        .size:           2
        .value_kind:     hidden_group_size_z
      - .offset:         114
        .size:           2
        .value_kind:     hidden_remainder_x
      - .offset:         116
        .size:           2
        .value_kind:     hidden_remainder_y
      - .offset:         118
        .size:           2
        .value_kind:     hidden_remainder_z
      - .offset:         136
        .size:           8
        .value_kind:     hidden_global_offset_x
      - .offset:         144
        .size:           8
        .value_kind:     hidden_global_offset_y
      - .offset:         152
        .size:           8
        .value_kind:     hidden_global_offset_z
      - .offset:         160
        .size:           2
        .value_kind:     hidden_grid_dims
      - .offset:         176
        .size:           8
        .value_kind:     hidden_hostcall_buffer
    .group_segment_fixed_size: 0
    .kernarg_segment_align: 8
    .kernarg_segment_size: 352
    .language:       OpenCL C
    .language_version:
      - 2
      - 0
    .max_flat_workgroup_size: 128
    .name:           _ZL9mul_mat_fI7__half2Li64ELi4ELi4ELb1EEvPKT_PKfPKiPfiiiiiiiiiiiiiiii
    .private_segment_fixed_size: 16
    .sgpr_count:     36
    .sgpr_spill_count: 0
    .symbol:         _ZL9mul_mat_fI7__half2Li64ELi4ELi4ELb1EEvPKT_PKfPKiPfiiiiiiiiiiiiiiii.kd
    .uniform_work_group_size: 1
    .uses_dynamic_stack: false
    .vgpr_count:     38
    .vgpr_spill_count: 0
    .wavefront_size: 32
    .workgroup_processor_mode: 1
  - .args:
      - .actual_access:  read_only
        .address_space:  global
        .offset:         0
        .size:           8
        .value_kind:     global_buffer
      - .actual_access:  read_only
        .address_space:  global
        .offset:         8
        .size:           8
        .value_kind:     global_buffer
      - .actual_access:  read_only
        .address_space:  global
        .offset:         16
        .size:           8
        .value_kind:     global_buffer
      - .actual_access:  read_only
        .address_space:  global
        .offset:         24
        .size:           8
        .value_kind:     global_buffer
      - .offset:         32
        .size:           4
        .value_kind:     by_value
      - .offset:         36
        .size:           4
        .value_kind:     by_value
      - .offset:         40
        .size:           4
        .value_kind:     by_value
      - .offset:         44
        .size:           4
        .value_kind:     by_value
      - .offset:         48
        .size:           4
        .value_kind:     by_value
      - .offset:         52
        .size:           4
        .value_kind:     by_value
      - .offset:         56
        .size:           4
        .value_kind:     by_value
      - .offset:         60
        .size:           4
        .value_kind:     by_value
      - .offset:         64
        .size:           4
        .value_kind:     by_value
      - .offset:         68
        .size:           4
        .value_kind:     by_value
      - .offset:         72
        .size:           4
        .value_kind:     by_value
      - .offset:         76
        .size:           4
        .value_kind:     by_value
      - .offset:         80
        .size:           4
        .value_kind:     by_value
      - .offset:         84
        .size:           4
        .value_kind:     by_value
      - .offset:         88
        .size:           4
        .value_kind:     by_value
      - .offset:         92
        .size:           4
        .value_kind:     by_value
      - .offset:         96
        .size:           4
        .value_kind:     hidden_block_count_x
      - .offset:         100
        .size:           4
        .value_kind:     hidden_block_count_y
      - .offset:         104
        .size:           4
        .value_kind:     hidden_block_count_z
      - .offset:         108
        .size:           2
        .value_kind:     hidden_group_size_x
      - .offset:         110
        .size:           2
        .value_kind:     hidden_group_size_y
      - .offset:         112
        .size:           2
        .value_kind:     hidden_group_size_z
      - .offset:         114
        .size:           2
        .value_kind:     hidden_remainder_x
      - .offset:         116
        .size:           2
        .value_kind:     hidden_remainder_y
      - .offset:         118
        .size:           2
        .value_kind:     hidden_remainder_z
      - .offset:         136
        .size:           8
        .value_kind:     hidden_global_offset_x
      - .offset:         144
        .size:           8
        .value_kind:     hidden_global_offset_y
      - .offset:         152
        .size:           8
        .value_kind:     hidden_global_offset_z
      - .offset:         160
        .size:           2
        .value_kind:     hidden_grid_dims
      - .offset:         176
        .size:           8
        .value_kind:     hidden_hostcall_buffer
    .group_segment_fixed_size: 0
    .kernarg_segment_align: 8
    .kernarg_segment_size: 352
    .language:       OpenCL C
    .language_version:
      - 2
      - 0
    .max_flat_workgroup_size: 128
    .name:           _ZL9mul_mat_fI7__half2Li64ELi4ELi4ELb0EEvPKT_PKfPKiPfiiiiiiiiiiiiiiii
    .private_segment_fixed_size: 16
    .sgpr_count:     36
    .sgpr_spill_count: 0
    .symbol:         _ZL9mul_mat_fI7__half2Li64ELi4ELi4ELb0EEvPKT_PKfPKiPfiiiiiiiiiiiiiiii.kd
    .uniform_work_group_size: 1
    .uses_dynamic_stack: false
    .vgpr_count:     38
    .vgpr_spill_count: 0
    .wavefront_size: 32
    .workgroup_processor_mode: 1
  - .args:
      - .actual_access:  read_only
        .address_space:  global
        .offset:         0
        .size:           8
        .value_kind:     global_buffer
      - .actual_access:  read_only
        .address_space:  global
        .offset:         8
        .size:           8
        .value_kind:     global_buffer
      - .actual_access:  read_only
        .address_space:  global
        .offset:         16
        .size:           8
        .value_kind:     global_buffer
      - .actual_access:  read_only
        .address_space:  global
        .offset:         24
        .size:           8
        .value_kind:     global_buffer
      - .actual_access:  read_only
        .address_space:  global
        .offset:         32
        .size:           8
        .value_kind:     global_buffer
      - .actual_access:  read_only
        .address_space:  global
        .offset:         40
        .size:           8
        .value_kind:     global_buffer
      - .offset:         48
        .size:           4
        .value_kind:     by_value
      - .offset:         52
        .size:           4
        .value_kind:     by_value
      - .offset:         56
        .size:           4
        .value_kind:     by_value
      - .offset:         60
        .size:           4
        .value_kind:     by_value
      - .offset:         64
        .size:           4
        .value_kind:     by_value
      - .offset:         68
        .size:           4
        .value_kind:     by_value
      - .offset:         72
        .size:           4
        .value_kind:     by_value
      - .offset:         76
        .size:           4
        .value_kind:     by_value
      - .offset:         80
        .size:           4
        .value_kind:     by_value
      - .offset:         84
        .size:           4
        .value_kind:     by_value
      - .offset:         88
        .size:           4
        .value_kind:     by_value
      - .offset:         92
        .size:           4
        .value_kind:     by_value
      - .offset:         96
        .size:           4
        .value_kind:     by_value
      - .offset:         100
        .size:           4
        .value_kind:     by_value
      - .offset:         104
        .size:           12
        .value_kind:     by_value
      - .offset:         116
        .size:           12
        .value_kind:     by_value
      - .offset:         128
        .size:           4
        .value_kind:     hidden_block_count_x
      - .offset:         132
        .size:           4
        .value_kind:     hidden_block_count_y
      - .offset:         136
        .size:           4
        .value_kind:     hidden_block_count_z
      - .offset:         140
        .size:           2
        .value_kind:     hidden_group_size_x
      - .offset:         142
        .size:           2
        .value_kind:     hidden_group_size_y
      - .offset:         144
        .size:           2
        .value_kind:     hidden_group_size_z
      - .offset:         146
        .size:           2
        .value_kind:     hidden_remainder_x
      - .offset:         148
        .size:           2
        .value_kind:     hidden_remainder_y
      - .offset:         150
        .size:           2
        .value_kind:     hidden_remainder_z
      - .offset:         168
        .size:           8
        .value_kind:     hidden_global_offset_x
      - .offset:         176
        .size:           8
        .value_kind:     hidden_global_offset_y
      - .offset:         184
        .size:           8
        .value_kind:     hidden_global_offset_z
      - .offset:         192
        .size:           2
        .value_kind:     hidden_grid_dims
      - .offset:         208
        .size:           8
        .value_kind:     hidden_hostcall_buffer
    .group_segment_fixed_size: 0
    .kernarg_segment_align: 8
    .kernarg_segment_size: 384
    .language:       OpenCL C
    .language_version:
      - 2
      - 0
    .max_flat_workgroup_size: 160
    .name:           _ZL13mul_mat_f_idsI7__half2Li64ELi4ELi5EEvPKT_PKfPKiS7_S7_Pfiiiiiiiiiiiiii15HIP_vector_typeIjLj3EESA_
    .private_segment_fixed_size: 16
    .sgpr_count:     36
    .sgpr_spill_count: 0
    .symbol:         _ZL13mul_mat_f_idsI7__half2Li64ELi4ELi5EEvPKT_PKfPKiS7_S7_Pfiiiiiiiiiiiiii15HIP_vector_typeIjLj3EESA_.kd
    .uniform_work_group_size: 1
    .uses_dynamic_stack: false
    .vgpr_count:     38
    .vgpr_spill_count: 0
    .wavefront_size: 32
    .workgroup_processor_mode: 1
  - .args:
      - .actual_access:  read_only
        .address_space:  global
        .offset:         0
        .size:           8
        .value_kind:     global_buffer
      - .actual_access:  read_only
        .address_space:  global
        .offset:         8
        .size:           8
        .value_kind:     global_buffer
      - .actual_access:  read_only
        .address_space:  global
        .offset:         16
        .size:           8
        .value_kind:     global_buffer
      - .actual_access:  read_only
        .address_space:  global
        .offset:         24
        .size:           8
        .value_kind:     global_buffer
      - .offset:         32
        .size:           4
        .value_kind:     by_value
      - .offset:         36
        .size:           4
        .value_kind:     by_value
      - .offset:         40
        .size:           4
        .value_kind:     by_value
      - .offset:         44
        .size:           4
        .value_kind:     by_value
      - .offset:         48
        .size:           4
        .value_kind:     by_value
      - .offset:         52
        .size:           4
        .value_kind:     by_value
      - .offset:         56
        .size:           4
        .value_kind:     by_value
      - .offset:         60
        .size:           4
        .value_kind:     by_value
      - .offset:         64
        .size:           4
        .value_kind:     by_value
      - .offset:         68
        .size:           4
        .value_kind:     by_value
      - .offset:         72
        .size:           4
        .value_kind:     by_value
      - .offset:         76
        .size:           4
        .value_kind:     by_value
      - .offset:         80
        .size:           4
        .value_kind:     by_value
      - .offset:         84
        .size:           4
        .value_kind:     by_value
      - .offset:         88
        .size:           4
        .value_kind:     by_value
      - .offset:         92
        .size:           4
        .value_kind:     by_value
      - .offset:         96
        .size:           4
        .value_kind:     hidden_block_count_x
      - .offset:         100
        .size:           4
        .value_kind:     hidden_block_count_y
      - .offset:         104
        .size:           4
        .value_kind:     hidden_block_count_z
      - .offset:         108
        .size:           2
        .value_kind:     hidden_group_size_x
      - .offset:         110
        .size:           2
        .value_kind:     hidden_group_size_y
      - .offset:         112
        .size:           2
        .value_kind:     hidden_group_size_z
      - .offset:         114
        .size:           2
        .value_kind:     hidden_remainder_x
      - .offset:         116
        .size:           2
        .value_kind:     hidden_remainder_y
      - .offset:         118
        .size:           2
        .value_kind:     hidden_remainder_z
      - .offset:         136
        .size:           8
        .value_kind:     hidden_global_offset_x
      - .offset:         144
        .size:           8
        .value_kind:     hidden_global_offset_y
      - .offset:         152
        .size:           8
        .value_kind:     hidden_global_offset_z
      - .offset:         160
        .size:           2
        .value_kind:     hidden_grid_dims
      - .offset:         176
        .size:           8
        .value_kind:     hidden_hostcall_buffer
    .group_segment_fixed_size: 0
    .kernarg_segment_align: 8
    .kernarg_segment_size: 352
    .language:       OpenCL C
    .language_version:
      - 2
      - 0
    .max_flat_workgroup_size: 160
    .name:           _ZL9mul_mat_fI7__half2Li64ELi4ELi5ELb1EEvPKT_PKfPKiPfiiiiiiiiiiiiiiii
    .private_segment_fixed_size: 16
    .sgpr_count:     36
    .sgpr_spill_count: 0
    .symbol:         _ZL9mul_mat_fI7__half2Li64ELi4ELi5ELb1EEvPKT_PKfPKiPfiiiiiiiiiiiiiiii.kd
    .uniform_work_group_size: 1
    .uses_dynamic_stack: false
    .vgpr_count:     38
    .vgpr_spill_count: 0
    .wavefront_size: 32
    .workgroup_processor_mode: 1
  - .args:
      - .actual_access:  read_only
        .address_space:  global
        .offset:         0
        .size:           8
        .value_kind:     global_buffer
      - .actual_access:  read_only
        .address_space:  global
        .offset:         8
        .size:           8
        .value_kind:     global_buffer
      - .actual_access:  read_only
        .address_space:  global
        .offset:         16
        .size:           8
        .value_kind:     global_buffer
      - .actual_access:  read_only
        .address_space:  global
        .offset:         24
        .size:           8
        .value_kind:     global_buffer
      - .offset:         32
        .size:           4
        .value_kind:     by_value
      - .offset:         36
        .size:           4
        .value_kind:     by_value
      - .offset:         40
        .size:           4
        .value_kind:     by_value
      - .offset:         44
        .size:           4
        .value_kind:     by_value
      - .offset:         48
        .size:           4
        .value_kind:     by_value
      - .offset:         52
        .size:           4
        .value_kind:     by_value
      - .offset:         56
        .size:           4
        .value_kind:     by_value
      - .offset:         60
        .size:           4
        .value_kind:     by_value
      - .offset:         64
        .size:           4
        .value_kind:     by_value
      - .offset:         68
        .size:           4
        .value_kind:     by_value
      - .offset:         72
        .size:           4
        .value_kind:     by_value
      - .offset:         76
        .size:           4
        .value_kind:     by_value
      - .offset:         80
        .size:           4
        .value_kind:     by_value
      - .offset:         84
        .size:           4
        .value_kind:     by_value
      - .offset:         88
        .size:           4
        .value_kind:     by_value
      - .offset:         92
        .size:           4
        .value_kind:     by_value
      - .offset:         96
        .size:           4
        .value_kind:     hidden_block_count_x
      - .offset:         100
        .size:           4
        .value_kind:     hidden_block_count_y
      - .offset:         104
        .size:           4
        .value_kind:     hidden_block_count_z
      - .offset:         108
        .size:           2
        .value_kind:     hidden_group_size_x
      - .offset:         110
        .size:           2
        .value_kind:     hidden_group_size_y
      - .offset:         112
        .size:           2
        .value_kind:     hidden_group_size_z
      - .offset:         114
        .size:           2
        .value_kind:     hidden_remainder_x
      - .offset:         116
        .size:           2
        .value_kind:     hidden_remainder_y
      - .offset:         118
        .size:           2
        .value_kind:     hidden_remainder_z
      - .offset:         136
        .size:           8
        .value_kind:     hidden_global_offset_x
      - .offset:         144
        .size:           8
        .value_kind:     hidden_global_offset_y
      - .offset:         152
        .size:           8
        .value_kind:     hidden_global_offset_z
      - .offset:         160
        .size:           2
        .value_kind:     hidden_grid_dims
      - .offset:         176
        .size:           8
        .value_kind:     hidden_hostcall_buffer
    .group_segment_fixed_size: 0
    .kernarg_segment_align: 8
    .kernarg_segment_size: 352
    .language:       OpenCL C
    .language_version:
      - 2
      - 0
    .max_flat_workgroup_size: 160
    .name:           _ZL9mul_mat_fI7__half2Li64ELi4ELi5ELb0EEvPKT_PKfPKiPfiiiiiiiiiiiiiiii
    .private_segment_fixed_size: 16
    .sgpr_count:     36
    .sgpr_spill_count: 0
    .symbol:         _ZL9mul_mat_fI7__half2Li64ELi4ELi5ELb0EEvPKT_PKfPKiPfiiiiiiiiiiiiiiii.kd
    .uniform_work_group_size: 1
    .uses_dynamic_stack: false
    .vgpr_count:     38
    .vgpr_spill_count: 0
    .wavefront_size: 32
    .workgroup_processor_mode: 1
  - .args:
      - .actual_access:  read_only
        .address_space:  global
        .offset:         0
        .size:           8
        .value_kind:     global_buffer
      - .actual_access:  read_only
        .address_space:  global
        .offset:         8
        .size:           8
        .value_kind:     global_buffer
      - .actual_access:  read_only
        .address_space:  global
        .offset:         16
        .size:           8
        .value_kind:     global_buffer
      - .actual_access:  read_only
        .address_space:  global
        .offset:         24
        .size:           8
        .value_kind:     global_buffer
      - .actual_access:  read_only
        .address_space:  global
        .offset:         32
        .size:           8
        .value_kind:     global_buffer
      - .actual_access:  read_only
        .address_space:  global
        .offset:         40
        .size:           8
        .value_kind:     global_buffer
      - .offset:         48
        .size:           4
        .value_kind:     by_value
      - .offset:         52
        .size:           4
        .value_kind:     by_value
      - .offset:         56
        .size:           4
        .value_kind:     by_value
      - .offset:         60
        .size:           4
        .value_kind:     by_value
      - .offset:         64
        .size:           4
        .value_kind:     by_value
      - .offset:         68
        .size:           4
        .value_kind:     by_value
      - .offset:         72
        .size:           4
        .value_kind:     by_value
      - .offset:         76
        .size:           4
        .value_kind:     by_value
      - .offset:         80
        .size:           4
        .value_kind:     by_value
      - .offset:         84
        .size:           4
        .value_kind:     by_value
      - .offset:         88
        .size:           4
        .value_kind:     by_value
      - .offset:         92
        .size:           4
        .value_kind:     by_value
      - .offset:         96
        .size:           4
        .value_kind:     by_value
      - .offset:         100
        .size:           4
        .value_kind:     by_value
      - .offset:         104
        .size:           12
        .value_kind:     by_value
      - .offset:         116
        .size:           12
        .value_kind:     by_value
      - .offset:         128
        .size:           4
        .value_kind:     hidden_block_count_x
      - .offset:         132
        .size:           4
        .value_kind:     hidden_block_count_y
      - .offset:         136
        .size:           4
        .value_kind:     hidden_block_count_z
      - .offset:         140
        .size:           2
        .value_kind:     hidden_group_size_x
      - .offset:         142
        .size:           2
        .value_kind:     hidden_group_size_y
      - .offset:         144
        .size:           2
        .value_kind:     hidden_group_size_z
      - .offset:         146
        .size:           2
        .value_kind:     hidden_remainder_x
      - .offset:         148
        .size:           2
        .value_kind:     hidden_remainder_y
      - .offset:         150
        .size:           2
        .value_kind:     hidden_remainder_z
      - .offset:         168
        .size:           8
        .value_kind:     hidden_global_offset_x
      - .offset:         176
        .size:           8
        .value_kind:     hidden_global_offset_y
      - .offset:         184
        .size:           8
        .value_kind:     hidden_global_offset_z
      - .offset:         192
        .size:           2
        .value_kind:     hidden_grid_dims
      - .offset:         208
        .size:           8
        .value_kind:     hidden_hostcall_buffer
    .group_segment_fixed_size: 0
    .kernarg_segment_align: 8
    .kernarg_segment_size: 384
    .language:       OpenCL C
    .language_version:
      - 2
      - 0
    .max_flat_workgroup_size: 192
    .name:           _ZL13mul_mat_f_idsI7__half2Li64ELi4ELi6EEvPKT_PKfPKiS7_S7_Pfiiiiiiiiiiiiii15HIP_vector_typeIjLj3EESA_
    .private_segment_fixed_size: 16
    .sgpr_count:     36
    .sgpr_spill_count: 0
    .symbol:         _ZL13mul_mat_f_idsI7__half2Li64ELi4ELi6EEvPKT_PKfPKiS7_S7_Pfiiiiiiiiiiiiii15HIP_vector_typeIjLj3EESA_.kd
    .uniform_work_group_size: 1
    .uses_dynamic_stack: false
    .vgpr_count:     38
    .vgpr_spill_count: 0
    .wavefront_size: 32
    .workgroup_processor_mode: 1
  - .args:
      - .actual_access:  read_only
        .address_space:  global
        .offset:         0
        .size:           8
        .value_kind:     global_buffer
      - .actual_access:  read_only
        .address_space:  global
        .offset:         8
        .size:           8
        .value_kind:     global_buffer
      - .actual_access:  read_only
        .address_space:  global
        .offset:         16
        .size:           8
        .value_kind:     global_buffer
      - .actual_access:  read_only
        .address_space:  global
        .offset:         24
        .size:           8
        .value_kind:     global_buffer
      - .offset:         32
        .size:           4
        .value_kind:     by_value
      - .offset:         36
        .size:           4
        .value_kind:     by_value
      - .offset:         40
        .size:           4
        .value_kind:     by_value
      - .offset:         44
        .size:           4
        .value_kind:     by_value
      - .offset:         48
        .size:           4
        .value_kind:     by_value
      - .offset:         52
        .size:           4
        .value_kind:     by_value
      - .offset:         56
        .size:           4
        .value_kind:     by_value
      - .offset:         60
        .size:           4
        .value_kind:     by_value
      - .offset:         64
        .size:           4
        .value_kind:     by_value
      - .offset:         68
        .size:           4
        .value_kind:     by_value
      - .offset:         72
        .size:           4
        .value_kind:     by_value
      - .offset:         76
        .size:           4
        .value_kind:     by_value
      - .offset:         80
        .size:           4
        .value_kind:     by_value
      - .offset:         84
        .size:           4
        .value_kind:     by_value
      - .offset:         88
        .size:           4
        .value_kind:     by_value
      - .offset:         92
        .size:           4
        .value_kind:     by_value
      - .offset:         96
        .size:           4
        .value_kind:     hidden_block_count_x
      - .offset:         100
        .size:           4
        .value_kind:     hidden_block_count_y
      - .offset:         104
        .size:           4
        .value_kind:     hidden_block_count_z
      - .offset:         108
        .size:           2
        .value_kind:     hidden_group_size_x
      - .offset:         110
        .size:           2
        .value_kind:     hidden_group_size_y
      - .offset:         112
        .size:           2
        .value_kind:     hidden_group_size_z
      - .offset:         114
        .size:           2
        .value_kind:     hidden_remainder_x
      - .offset:         116
        .size:           2
        .value_kind:     hidden_remainder_y
      - .offset:         118
        .size:           2
        .value_kind:     hidden_remainder_z
      - .offset:         136
        .size:           8
        .value_kind:     hidden_global_offset_x
      - .offset:         144
        .size:           8
        .value_kind:     hidden_global_offset_y
      - .offset:         152
        .size:           8
        .value_kind:     hidden_global_offset_z
      - .offset:         160
        .size:           2
        .value_kind:     hidden_grid_dims
      - .offset:         176
        .size:           8
        .value_kind:     hidden_hostcall_buffer
    .group_segment_fixed_size: 0
    .kernarg_segment_align: 8
    .kernarg_segment_size: 352
    .language:       OpenCL C
    .language_version:
      - 2
      - 0
    .max_flat_workgroup_size: 192
    .name:           _ZL9mul_mat_fI7__half2Li64ELi4ELi6ELb1EEvPKT_PKfPKiPfiiiiiiiiiiiiiiii
    .private_segment_fixed_size: 16
    .sgpr_count:     36
    .sgpr_spill_count: 0
    .symbol:         _ZL9mul_mat_fI7__half2Li64ELi4ELi6ELb1EEvPKT_PKfPKiPfiiiiiiiiiiiiiiii.kd
    .uniform_work_group_size: 1
    .uses_dynamic_stack: false
    .vgpr_count:     38
    .vgpr_spill_count: 0
    .wavefront_size: 32
    .workgroup_processor_mode: 1
  - .args:
      - .actual_access:  read_only
        .address_space:  global
        .offset:         0
        .size:           8
        .value_kind:     global_buffer
      - .actual_access:  read_only
        .address_space:  global
        .offset:         8
        .size:           8
        .value_kind:     global_buffer
      - .actual_access:  read_only
        .address_space:  global
        .offset:         16
        .size:           8
        .value_kind:     global_buffer
      - .actual_access:  read_only
        .address_space:  global
        .offset:         24
        .size:           8
        .value_kind:     global_buffer
      - .offset:         32
        .size:           4
        .value_kind:     by_value
      - .offset:         36
        .size:           4
        .value_kind:     by_value
      - .offset:         40
        .size:           4
        .value_kind:     by_value
      - .offset:         44
        .size:           4
        .value_kind:     by_value
      - .offset:         48
        .size:           4
        .value_kind:     by_value
      - .offset:         52
        .size:           4
        .value_kind:     by_value
      - .offset:         56
        .size:           4
        .value_kind:     by_value
      - .offset:         60
        .size:           4
        .value_kind:     by_value
      - .offset:         64
        .size:           4
        .value_kind:     by_value
      - .offset:         68
        .size:           4
        .value_kind:     by_value
      - .offset:         72
        .size:           4
        .value_kind:     by_value
      - .offset:         76
        .size:           4
        .value_kind:     by_value
      - .offset:         80
        .size:           4
        .value_kind:     by_value
      - .offset:         84
        .size:           4
        .value_kind:     by_value
      - .offset:         88
        .size:           4
        .value_kind:     by_value
      - .offset:         92
        .size:           4
        .value_kind:     by_value
      - .offset:         96
        .size:           4
        .value_kind:     hidden_block_count_x
      - .offset:         100
        .size:           4
        .value_kind:     hidden_block_count_y
      - .offset:         104
        .size:           4
        .value_kind:     hidden_block_count_z
      - .offset:         108
        .size:           2
        .value_kind:     hidden_group_size_x
      - .offset:         110
        .size:           2
        .value_kind:     hidden_group_size_y
      - .offset:         112
        .size:           2
        .value_kind:     hidden_group_size_z
      - .offset:         114
        .size:           2
        .value_kind:     hidden_remainder_x
      - .offset:         116
        .size:           2
        .value_kind:     hidden_remainder_y
      - .offset:         118
        .size:           2
        .value_kind:     hidden_remainder_z
      - .offset:         136
        .size:           8
        .value_kind:     hidden_global_offset_x
      - .offset:         144
        .size:           8
        .value_kind:     hidden_global_offset_y
      - .offset:         152
        .size:           8
        .value_kind:     hidden_global_offset_z
      - .offset:         160
        .size:           2
        .value_kind:     hidden_grid_dims
      - .offset:         176
        .size:           8
        .value_kind:     hidden_hostcall_buffer
    .group_segment_fixed_size: 0
    .kernarg_segment_align: 8
    .kernarg_segment_size: 352
    .language:       OpenCL C
    .language_version:
      - 2
      - 0
    .max_flat_workgroup_size: 192
    .name:           _ZL9mul_mat_fI7__half2Li64ELi4ELi6ELb0EEvPKT_PKfPKiPfiiiiiiiiiiiiiiii
    .private_segment_fixed_size: 16
    .sgpr_count:     36
    .sgpr_spill_count: 0
    .symbol:         _ZL9mul_mat_fI7__half2Li64ELi4ELi6ELb0EEvPKT_PKfPKiPfiiiiiiiiiiiiiiii.kd
    .uniform_work_group_size: 1
    .uses_dynamic_stack: false
    .vgpr_count:     38
    .vgpr_spill_count: 0
    .wavefront_size: 32
    .workgroup_processor_mode: 1
  - .args:
      - .actual_access:  read_only
        .address_space:  global
        .offset:         0
        .size:           8
        .value_kind:     global_buffer
      - .actual_access:  read_only
        .address_space:  global
        .offset:         8
        .size:           8
        .value_kind:     global_buffer
      - .actual_access:  read_only
        .address_space:  global
        .offset:         16
        .size:           8
        .value_kind:     global_buffer
      - .actual_access:  read_only
        .address_space:  global
        .offset:         24
        .size:           8
        .value_kind:     global_buffer
      - .actual_access:  read_only
        .address_space:  global
        .offset:         32
        .size:           8
        .value_kind:     global_buffer
      - .actual_access:  read_only
        .address_space:  global
        .offset:         40
        .size:           8
        .value_kind:     global_buffer
      - .offset:         48
        .size:           4
        .value_kind:     by_value
      - .offset:         52
        .size:           4
        .value_kind:     by_value
      - .offset:         56
        .size:           4
        .value_kind:     by_value
      - .offset:         60
        .size:           4
        .value_kind:     by_value
      - .offset:         64
        .size:           4
        .value_kind:     by_value
      - .offset:         68
        .size:           4
        .value_kind:     by_value
      - .offset:         72
        .size:           4
        .value_kind:     by_value
      - .offset:         76
        .size:           4
        .value_kind:     by_value
      - .offset:         80
        .size:           4
        .value_kind:     by_value
      - .offset:         84
        .size:           4
        .value_kind:     by_value
      - .offset:         88
        .size:           4
        .value_kind:     by_value
      - .offset:         92
        .size:           4
        .value_kind:     by_value
      - .offset:         96
        .size:           4
        .value_kind:     by_value
      - .offset:         100
        .size:           4
        .value_kind:     by_value
      - .offset:         104
        .size:           12
        .value_kind:     by_value
      - .offset:         116
        .size:           12
        .value_kind:     by_value
      - .offset:         128
        .size:           4
        .value_kind:     hidden_block_count_x
      - .offset:         132
        .size:           4
        .value_kind:     hidden_block_count_y
      - .offset:         136
        .size:           4
        .value_kind:     hidden_block_count_z
      - .offset:         140
        .size:           2
        .value_kind:     hidden_group_size_x
      - .offset:         142
        .size:           2
        .value_kind:     hidden_group_size_y
      - .offset:         144
        .size:           2
        .value_kind:     hidden_group_size_z
      - .offset:         146
        .size:           2
        .value_kind:     hidden_remainder_x
      - .offset:         148
        .size:           2
        .value_kind:     hidden_remainder_y
      - .offset:         150
        .size:           2
        .value_kind:     hidden_remainder_z
      - .offset:         168
        .size:           8
        .value_kind:     hidden_global_offset_x
      - .offset:         176
        .size:           8
        .value_kind:     hidden_global_offset_y
      - .offset:         184
        .size:           8
        .value_kind:     hidden_global_offset_z
      - .offset:         192
        .size:           2
        .value_kind:     hidden_grid_dims
      - .offset:         208
        .size:           8
        .value_kind:     hidden_hostcall_buffer
    .group_segment_fixed_size: 0
    .kernarg_segment_align: 8
    .kernarg_segment_size: 384
    .language:       OpenCL C
    .language_version:
      - 2
      - 0
    .max_flat_workgroup_size: 224
    .name:           _ZL13mul_mat_f_idsI7__half2Li64ELi4ELi7EEvPKT_PKfPKiS7_S7_Pfiiiiiiiiiiiiii15HIP_vector_typeIjLj3EESA_
    .private_segment_fixed_size: 16
    .sgpr_count:     36
    .sgpr_spill_count: 0
    .symbol:         _ZL13mul_mat_f_idsI7__half2Li64ELi4ELi7EEvPKT_PKfPKiS7_S7_Pfiiiiiiiiiiiiii15HIP_vector_typeIjLj3EESA_.kd
    .uniform_work_group_size: 1
    .uses_dynamic_stack: false
    .vgpr_count:     38
    .vgpr_spill_count: 0
    .wavefront_size: 32
    .workgroup_processor_mode: 1
  - .args:
      - .actual_access:  read_only
        .address_space:  global
        .offset:         0
        .size:           8
        .value_kind:     global_buffer
      - .actual_access:  read_only
        .address_space:  global
        .offset:         8
        .size:           8
        .value_kind:     global_buffer
      - .actual_access:  read_only
        .address_space:  global
        .offset:         16
        .size:           8
        .value_kind:     global_buffer
      - .actual_access:  read_only
        .address_space:  global
        .offset:         24
        .size:           8
        .value_kind:     global_buffer
      - .offset:         32
        .size:           4
        .value_kind:     by_value
      - .offset:         36
        .size:           4
        .value_kind:     by_value
      - .offset:         40
        .size:           4
        .value_kind:     by_value
      - .offset:         44
        .size:           4
        .value_kind:     by_value
      - .offset:         48
        .size:           4
        .value_kind:     by_value
      - .offset:         52
        .size:           4
        .value_kind:     by_value
      - .offset:         56
        .size:           4
        .value_kind:     by_value
      - .offset:         60
        .size:           4
        .value_kind:     by_value
      - .offset:         64
        .size:           4
        .value_kind:     by_value
      - .offset:         68
        .size:           4
        .value_kind:     by_value
      - .offset:         72
        .size:           4
        .value_kind:     by_value
      - .offset:         76
        .size:           4
        .value_kind:     by_value
      - .offset:         80
        .size:           4
        .value_kind:     by_value
      - .offset:         84
        .size:           4
        .value_kind:     by_value
      - .offset:         88
        .size:           4
        .value_kind:     by_value
      - .offset:         92
        .size:           4
        .value_kind:     by_value
      - .offset:         96
        .size:           4
        .value_kind:     hidden_block_count_x
      - .offset:         100
        .size:           4
        .value_kind:     hidden_block_count_y
      - .offset:         104
        .size:           4
        .value_kind:     hidden_block_count_z
      - .offset:         108
        .size:           2
        .value_kind:     hidden_group_size_x
      - .offset:         110
        .size:           2
        .value_kind:     hidden_group_size_y
      - .offset:         112
        .size:           2
        .value_kind:     hidden_group_size_z
      - .offset:         114
        .size:           2
        .value_kind:     hidden_remainder_x
      - .offset:         116
        .size:           2
        .value_kind:     hidden_remainder_y
      - .offset:         118
        .size:           2
        .value_kind:     hidden_remainder_z
      - .offset:         136
        .size:           8
        .value_kind:     hidden_global_offset_x
      - .offset:         144
        .size:           8
        .value_kind:     hidden_global_offset_y
      - .offset:         152
        .size:           8
        .value_kind:     hidden_global_offset_z
      - .offset:         160
        .size:           2
        .value_kind:     hidden_grid_dims
      - .offset:         176
        .size:           8
        .value_kind:     hidden_hostcall_buffer
    .group_segment_fixed_size: 0
    .kernarg_segment_align: 8
    .kernarg_segment_size: 352
    .language:       OpenCL C
    .language_version:
      - 2
      - 0
    .max_flat_workgroup_size: 224
    .name:           _ZL9mul_mat_fI7__half2Li64ELi4ELi7ELb1EEvPKT_PKfPKiPfiiiiiiiiiiiiiiii
    .private_segment_fixed_size: 16
    .sgpr_count:     36
    .sgpr_spill_count: 0
    .symbol:         _ZL9mul_mat_fI7__half2Li64ELi4ELi7ELb1EEvPKT_PKfPKiPfiiiiiiiiiiiiiiii.kd
    .uniform_work_group_size: 1
    .uses_dynamic_stack: false
    .vgpr_count:     38
    .vgpr_spill_count: 0
    .wavefront_size: 32
    .workgroup_processor_mode: 1
  - .args:
      - .actual_access:  read_only
        .address_space:  global
        .offset:         0
        .size:           8
        .value_kind:     global_buffer
      - .actual_access:  read_only
        .address_space:  global
        .offset:         8
        .size:           8
        .value_kind:     global_buffer
      - .actual_access:  read_only
        .address_space:  global
        .offset:         16
        .size:           8
        .value_kind:     global_buffer
      - .actual_access:  read_only
        .address_space:  global
        .offset:         24
        .size:           8
        .value_kind:     global_buffer
      - .offset:         32
        .size:           4
        .value_kind:     by_value
      - .offset:         36
        .size:           4
        .value_kind:     by_value
      - .offset:         40
        .size:           4
        .value_kind:     by_value
      - .offset:         44
        .size:           4
        .value_kind:     by_value
      - .offset:         48
        .size:           4
        .value_kind:     by_value
      - .offset:         52
        .size:           4
        .value_kind:     by_value
      - .offset:         56
        .size:           4
        .value_kind:     by_value
      - .offset:         60
        .size:           4
        .value_kind:     by_value
      - .offset:         64
        .size:           4
        .value_kind:     by_value
      - .offset:         68
        .size:           4
        .value_kind:     by_value
      - .offset:         72
        .size:           4
        .value_kind:     by_value
      - .offset:         76
        .size:           4
        .value_kind:     by_value
      - .offset:         80
        .size:           4
        .value_kind:     by_value
      - .offset:         84
        .size:           4
        .value_kind:     by_value
      - .offset:         88
        .size:           4
        .value_kind:     by_value
      - .offset:         92
        .size:           4
        .value_kind:     by_value
      - .offset:         96
        .size:           4
        .value_kind:     hidden_block_count_x
      - .offset:         100
        .size:           4
        .value_kind:     hidden_block_count_y
      - .offset:         104
        .size:           4
        .value_kind:     hidden_block_count_z
      - .offset:         108
        .size:           2
        .value_kind:     hidden_group_size_x
      - .offset:         110
        .size:           2
        .value_kind:     hidden_group_size_y
      - .offset:         112
        .size:           2
        .value_kind:     hidden_group_size_z
      - .offset:         114
        .size:           2
        .value_kind:     hidden_remainder_x
      - .offset:         116
        .size:           2
        .value_kind:     hidden_remainder_y
      - .offset:         118
        .size:           2
        .value_kind:     hidden_remainder_z
      - .offset:         136
        .size:           8
        .value_kind:     hidden_global_offset_x
      - .offset:         144
        .size:           8
        .value_kind:     hidden_global_offset_y
      - .offset:         152
        .size:           8
        .value_kind:     hidden_global_offset_z
      - .offset:         160
        .size:           2
        .value_kind:     hidden_grid_dims
      - .offset:         176
        .size:           8
        .value_kind:     hidden_hostcall_buffer
    .group_segment_fixed_size: 0
    .kernarg_segment_align: 8
    .kernarg_segment_size: 352
    .language:       OpenCL C
    .language_version:
      - 2
      - 0
    .max_flat_workgroup_size: 224
    .name:           _ZL9mul_mat_fI7__half2Li64ELi4ELi7ELb0EEvPKT_PKfPKiPfiiiiiiiiiiiiiiii
    .private_segment_fixed_size: 16
    .sgpr_count:     36
    .sgpr_spill_count: 0
    .symbol:         _ZL9mul_mat_fI7__half2Li64ELi4ELi7ELb0EEvPKT_PKfPKiPfiiiiiiiiiiiiiiii.kd
    .uniform_work_group_size: 1
    .uses_dynamic_stack: false
    .vgpr_count:     38
    .vgpr_spill_count: 0
    .wavefront_size: 32
    .workgroup_processor_mode: 1
  - .args:
      - .actual_access:  read_only
        .address_space:  global
        .offset:         0
        .size:           8
        .value_kind:     global_buffer
      - .actual_access:  read_only
        .address_space:  global
        .offset:         8
        .size:           8
        .value_kind:     global_buffer
      - .actual_access:  read_only
        .address_space:  global
        .offset:         16
        .size:           8
        .value_kind:     global_buffer
      - .actual_access:  read_only
        .address_space:  global
        .offset:         24
        .size:           8
        .value_kind:     global_buffer
      - .actual_access:  read_only
        .address_space:  global
        .offset:         32
        .size:           8
        .value_kind:     global_buffer
      - .actual_access:  read_only
        .address_space:  global
        .offset:         40
        .size:           8
        .value_kind:     global_buffer
      - .offset:         48
        .size:           4
        .value_kind:     by_value
      - .offset:         52
        .size:           4
        .value_kind:     by_value
      - .offset:         56
        .size:           4
        .value_kind:     by_value
      - .offset:         60
        .size:           4
        .value_kind:     by_value
      - .offset:         64
        .size:           4
        .value_kind:     by_value
      - .offset:         68
        .size:           4
        .value_kind:     by_value
      - .offset:         72
        .size:           4
        .value_kind:     by_value
      - .offset:         76
        .size:           4
        .value_kind:     by_value
      - .offset:         80
        .size:           4
        .value_kind:     by_value
      - .offset:         84
        .size:           4
        .value_kind:     by_value
      - .offset:         88
        .size:           4
        .value_kind:     by_value
      - .offset:         92
        .size:           4
        .value_kind:     by_value
      - .offset:         96
        .size:           4
        .value_kind:     by_value
      - .offset:         100
        .size:           4
        .value_kind:     by_value
      - .offset:         104
        .size:           12
        .value_kind:     by_value
      - .offset:         116
        .size:           12
        .value_kind:     by_value
      - .offset:         128
        .size:           4
        .value_kind:     hidden_block_count_x
      - .offset:         132
        .size:           4
        .value_kind:     hidden_block_count_y
      - .offset:         136
        .size:           4
        .value_kind:     hidden_block_count_z
      - .offset:         140
        .size:           2
        .value_kind:     hidden_group_size_x
      - .offset:         142
        .size:           2
        .value_kind:     hidden_group_size_y
      - .offset:         144
        .size:           2
        .value_kind:     hidden_group_size_z
      - .offset:         146
        .size:           2
        .value_kind:     hidden_remainder_x
      - .offset:         148
        .size:           2
        .value_kind:     hidden_remainder_y
      - .offset:         150
        .size:           2
        .value_kind:     hidden_remainder_z
      - .offset:         168
        .size:           8
        .value_kind:     hidden_global_offset_x
      - .offset:         176
        .size:           8
        .value_kind:     hidden_global_offset_y
      - .offset:         184
        .size:           8
        .value_kind:     hidden_global_offset_z
      - .offset:         192
        .size:           2
        .value_kind:     hidden_grid_dims
      - .offset:         208
        .size:           8
        .value_kind:     hidden_hostcall_buffer
    .group_segment_fixed_size: 0
    .kernarg_segment_align: 8
    .kernarg_segment_size: 384
    .language:       OpenCL C
    .language_version:
      - 2
      - 0
    .max_flat_workgroup_size: 256
    .name:           _ZL13mul_mat_f_idsI7__half2Li64ELi4ELi8EEvPKT_PKfPKiS7_S7_Pfiiiiiiiiiiiiii15HIP_vector_typeIjLj3EESA_
    .private_segment_fixed_size: 16
    .sgpr_count:     36
    .sgpr_spill_count: 0
    .symbol:         _ZL13mul_mat_f_idsI7__half2Li64ELi4ELi8EEvPKT_PKfPKiS7_S7_Pfiiiiiiiiiiiiii15HIP_vector_typeIjLj3EESA_.kd
    .uniform_work_group_size: 1
    .uses_dynamic_stack: false
    .vgpr_count:     38
    .vgpr_spill_count: 0
    .wavefront_size: 32
    .workgroup_processor_mode: 1
  - .args:
      - .actual_access:  read_only
        .address_space:  global
        .offset:         0
        .size:           8
        .value_kind:     global_buffer
      - .actual_access:  read_only
        .address_space:  global
        .offset:         8
        .size:           8
        .value_kind:     global_buffer
      - .actual_access:  read_only
        .address_space:  global
        .offset:         16
        .size:           8
        .value_kind:     global_buffer
      - .actual_access:  read_only
        .address_space:  global
        .offset:         24
        .size:           8
        .value_kind:     global_buffer
      - .offset:         32
        .size:           4
        .value_kind:     by_value
      - .offset:         36
        .size:           4
        .value_kind:     by_value
      - .offset:         40
        .size:           4
        .value_kind:     by_value
      - .offset:         44
        .size:           4
        .value_kind:     by_value
      - .offset:         48
        .size:           4
        .value_kind:     by_value
      - .offset:         52
        .size:           4
        .value_kind:     by_value
      - .offset:         56
        .size:           4
        .value_kind:     by_value
      - .offset:         60
        .size:           4
        .value_kind:     by_value
      - .offset:         64
        .size:           4
        .value_kind:     by_value
      - .offset:         68
        .size:           4
        .value_kind:     by_value
      - .offset:         72
        .size:           4
        .value_kind:     by_value
      - .offset:         76
        .size:           4
        .value_kind:     by_value
      - .offset:         80
        .size:           4
        .value_kind:     by_value
      - .offset:         84
        .size:           4
        .value_kind:     by_value
      - .offset:         88
        .size:           4
        .value_kind:     by_value
      - .offset:         92
        .size:           4
        .value_kind:     by_value
      - .offset:         96
        .size:           4
        .value_kind:     hidden_block_count_x
      - .offset:         100
        .size:           4
        .value_kind:     hidden_block_count_y
      - .offset:         104
        .size:           4
        .value_kind:     hidden_block_count_z
      - .offset:         108
        .size:           2
        .value_kind:     hidden_group_size_x
      - .offset:         110
        .size:           2
        .value_kind:     hidden_group_size_y
      - .offset:         112
        .size:           2
        .value_kind:     hidden_group_size_z
      - .offset:         114
        .size:           2
        .value_kind:     hidden_remainder_x
      - .offset:         116
        .size:           2
        .value_kind:     hidden_remainder_y
      - .offset:         118
        .size:           2
        .value_kind:     hidden_remainder_z
      - .offset:         136
        .size:           8
        .value_kind:     hidden_global_offset_x
      - .offset:         144
        .size:           8
        .value_kind:     hidden_global_offset_y
      - .offset:         152
        .size:           8
        .value_kind:     hidden_global_offset_z
      - .offset:         160
        .size:           2
        .value_kind:     hidden_grid_dims
      - .offset:         176
        .size:           8
        .value_kind:     hidden_hostcall_buffer
    .group_segment_fixed_size: 0
    .kernarg_segment_align: 8
    .kernarg_segment_size: 352
    .language:       OpenCL C
    .language_version:
      - 2
      - 0
    .max_flat_workgroup_size: 256
    .name:           _ZL9mul_mat_fI7__half2Li64ELi4ELi8ELb1EEvPKT_PKfPKiPfiiiiiiiiiiiiiiii
    .private_segment_fixed_size: 16
    .sgpr_count:     36
    .sgpr_spill_count: 0
    .symbol:         _ZL9mul_mat_fI7__half2Li64ELi4ELi8ELb1EEvPKT_PKfPKiPfiiiiiiiiiiiiiiii.kd
    .uniform_work_group_size: 1
    .uses_dynamic_stack: false
    .vgpr_count:     38
    .vgpr_spill_count: 0
    .wavefront_size: 32
    .workgroup_processor_mode: 1
  - .args:
      - .actual_access:  read_only
        .address_space:  global
        .offset:         0
        .size:           8
        .value_kind:     global_buffer
      - .actual_access:  read_only
        .address_space:  global
        .offset:         8
        .size:           8
        .value_kind:     global_buffer
      - .actual_access:  read_only
        .address_space:  global
        .offset:         16
        .size:           8
        .value_kind:     global_buffer
      - .actual_access:  read_only
        .address_space:  global
        .offset:         24
        .size:           8
        .value_kind:     global_buffer
      - .offset:         32
        .size:           4
        .value_kind:     by_value
      - .offset:         36
        .size:           4
        .value_kind:     by_value
      - .offset:         40
        .size:           4
        .value_kind:     by_value
      - .offset:         44
        .size:           4
        .value_kind:     by_value
      - .offset:         48
        .size:           4
        .value_kind:     by_value
      - .offset:         52
        .size:           4
        .value_kind:     by_value
      - .offset:         56
        .size:           4
        .value_kind:     by_value
      - .offset:         60
        .size:           4
        .value_kind:     by_value
      - .offset:         64
        .size:           4
        .value_kind:     by_value
      - .offset:         68
        .size:           4
        .value_kind:     by_value
      - .offset:         72
        .size:           4
        .value_kind:     by_value
      - .offset:         76
        .size:           4
        .value_kind:     by_value
      - .offset:         80
        .size:           4
        .value_kind:     by_value
      - .offset:         84
        .size:           4
        .value_kind:     by_value
      - .offset:         88
        .size:           4
        .value_kind:     by_value
      - .offset:         92
        .size:           4
        .value_kind:     by_value
      - .offset:         96
        .size:           4
        .value_kind:     hidden_block_count_x
      - .offset:         100
        .size:           4
        .value_kind:     hidden_block_count_y
      - .offset:         104
        .size:           4
        .value_kind:     hidden_block_count_z
      - .offset:         108
        .size:           2
        .value_kind:     hidden_group_size_x
      - .offset:         110
        .size:           2
        .value_kind:     hidden_group_size_y
      - .offset:         112
        .size:           2
        .value_kind:     hidden_group_size_z
      - .offset:         114
        .size:           2
        .value_kind:     hidden_remainder_x
      - .offset:         116
        .size:           2
        .value_kind:     hidden_remainder_y
      - .offset:         118
        .size:           2
        .value_kind:     hidden_remainder_z
      - .offset:         136
        .size:           8
        .value_kind:     hidden_global_offset_x
      - .offset:         144
        .size:           8
        .value_kind:     hidden_global_offset_y
      - .offset:         152
        .size:           8
        .value_kind:     hidden_global_offset_z
      - .offset:         160
        .size:           2
        .value_kind:     hidden_grid_dims
      - .offset:         176
        .size:           8
        .value_kind:     hidden_hostcall_buffer
    .group_segment_fixed_size: 0
    .kernarg_segment_align: 8
    .kernarg_segment_size: 352
    .language:       OpenCL C
    .language_version:
      - 2
      - 0
    .max_flat_workgroup_size: 256
    .name:           _ZL9mul_mat_fI7__half2Li64ELi4ELi8ELb0EEvPKT_PKfPKiPfiiiiiiiiiiiiiiii
    .private_segment_fixed_size: 16
    .sgpr_count:     36
    .sgpr_spill_count: 0
    .symbol:         _ZL9mul_mat_fI7__half2Li64ELi4ELi8ELb0EEvPKT_PKfPKiPfiiiiiiiiiiiiiiii.kd
    .uniform_work_group_size: 1
    .uses_dynamic_stack: false
    .vgpr_count:     38
    .vgpr_spill_count: 0
    .wavefront_size: 32
    .workgroup_processor_mode: 1
  - .args:
      - .actual_access:  read_only
        .address_space:  global
        .offset:         0
        .size:           8
        .value_kind:     global_buffer
      - .actual_access:  read_only
        .address_space:  global
        .offset:         8
        .size:           8
        .value_kind:     global_buffer
      - .actual_access:  read_only
        .address_space:  global
        .offset:         16
        .size:           8
        .value_kind:     global_buffer
      - .actual_access:  read_only
        .address_space:  global
        .offset:         24
        .size:           8
        .value_kind:     global_buffer
      - .actual_access:  read_only
        .address_space:  global
        .offset:         32
        .size:           8
        .value_kind:     global_buffer
      - .actual_access:  read_only
        .address_space:  global
        .offset:         40
        .size:           8
        .value_kind:     global_buffer
      - .offset:         48
        .size:           4
        .value_kind:     by_value
      - .offset:         52
        .size:           4
        .value_kind:     by_value
      - .offset:         56
        .size:           4
        .value_kind:     by_value
      - .offset:         60
        .size:           4
        .value_kind:     by_value
      - .offset:         64
        .size:           4
        .value_kind:     by_value
      - .offset:         68
        .size:           4
        .value_kind:     by_value
      - .offset:         72
        .size:           4
        .value_kind:     by_value
      - .offset:         76
        .size:           4
        .value_kind:     by_value
      - .offset:         80
        .size:           4
        .value_kind:     by_value
      - .offset:         84
        .size:           4
        .value_kind:     by_value
      - .offset:         88
        .size:           4
        .value_kind:     by_value
      - .offset:         92
        .size:           4
        .value_kind:     by_value
      - .offset:         96
        .size:           4
        .value_kind:     by_value
      - .offset:         100
        .size:           4
        .value_kind:     by_value
      - .offset:         104
        .size:           12
        .value_kind:     by_value
      - .offset:         116
        .size:           12
        .value_kind:     by_value
      - .offset:         128
        .size:           4
        .value_kind:     hidden_block_count_x
      - .offset:         132
        .size:           4
        .value_kind:     hidden_block_count_y
      - .offset:         136
        .size:           4
        .value_kind:     hidden_block_count_z
      - .offset:         140
        .size:           2
        .value_kind:     hidden_group_size_x
      - .offset:         142
        .size:           2
        .value_kind:     hidden_group_size_y
      - .offset:         144
        .size:           2
        .value_kind:     hidden_group_size_z
      - .offset:         146
        .size:           2
        .value_kind:     hidden_remainder_x
      - .offset:         148
        .size:           2
        .value_kind:     hidden_remainder_y
      - .offset:         150
        .size:           2
        .value_kind:     hidden_remainder_z
      - .offset:         168
        .size:           8
        .value_kind:     hidden_global_offset_x
      - .offset:         176
        .size:           8
        .value_kind:     hidden_global_offset_y
      - .offset:         184
        .size:           8
        .value_kind:     hidden_global_offset_z
      - .offset:         192
        .size:           2
        .value_kind:     hidden_grid_dims
      - .offset:         208
        .size:           8
        .value_kind:     hidden_hostcall_buffer
    .group_segment_fixed_size: 0
    .kernarg_segment_align: 8
    .kernarg_segment_size: 384
    .language:       OpenCL C
    .language_version:
      - 2
      - 0
    .max_flat_workgroup_size: 32
    .name:           _ZL13mul_mat_f_idsI15__hip_bfloat162Li64ELi4ELi1EEvPKT_PKfPKiS7_S7_Pfiiiiiiiiiiiiii15HIP_vector_typeIjLj3EESA_
    .private_segment_fixed_size: 16
    .sgpr_count:     36
    .sgpr_spill_count: 0
    .symbol:         _ZL13mul_mat_f_idsI15__hip_bfloat162Li64ELi4ELi1EEvPKT_PKfPKiS7_S7_Pfiiiiiiiiiiiiii15HIP_vector_typeIjLj3EESA_.kd
    .uniform_work_group_size: 1
    .uses_dynamic_stack: false
    .vgpr_count:     38
    .vgpr_spill_count: 0
    .wavefront_size: 32
    .workgroup_processor_mode: 1
  - .args:
      - .actual_access:  read_only
        .address_space:  global
        .offset:         0
        .size:           8
        .value_kind:     global_buffer
      - .actual_access:  read_only
        .address_space:  global
        .offset:         8
        .size:           8
        .value_kind:     global_buffer
      - .actual_access:  read_only
        .address_space:  global
        .offset:         16
        .size:           8
        .value_kind:     global_buffer
      - .actual_access:  read_only
        .address_space:  global
        .offset:         24
        .size:           8
        .value_kind:     global_buffer
      - .offset:         32
        .size:           4
        .value_kind:     by_value
      - .offset:         36
        .size:           4
        .value_kind:     by_value
      - .offset:         40
        .size:           4
        .value_kind:     by_value
      - .offset:         44
        .size:           4
        .value_kind:     by_value
      - .offset:         48
        .size:           4
        .value_kind:     by_value
      - .offset:         52
        .size:           4
        .value_kind:     by_value
      - .offset:         56
        .size:           4
        .value_kind:     by_value
      - .offset:         60
        .size:           4
        .value_kind:     by_value
      - .offset:         64
        .size:           4
        .value_kind:     by_value
      - .offset:         68
        .size:           4
        .value_kind:     by_value
      - .offset:         72
        .size:           4
        .value_kind:     by_value
      - .offset:         76
        .size:           4
        .value_kind:     by_value
      - .offset:         80
        .size:           4
        .value_kind:     by_value
      - .offset:         84
        .size:           4
        .value_kind:     by_value
      - .offset:         88
        .size:           4
        .value_kind:     by_value
      - .offset:         92
        .size:           4
        .value_kind:     by_value
      - .offset:         96
        .size:           4
        .value_kind:     hidden_block_count_x
      - .offset:         100
        .size:           4
        .value_kind:     hidden_block_count_y
      - .offset:         104
        .size:           4
        .value_kind:     hidden_block_count_z
      - .offset:         108
        .size:           2
        .value_kind:     hidden_group_size_x
      - .offset:         110
        .size:           2
        .value_kind:     hidden_group_size_y
      - .offset:         112
        .size:           2
        .value_kind:     hidden_group_size_z
      - .offset:         114
        .size:           2
        .value_kind:     hidden_remainder_x
      - .offset:         116
        .size:           2
        .value_kind:     hidden_remainder_y
      - .offset:         118
        .size:           2
        .value_kind:     hidden_remainder_z
      - .offset:         136
        .size:           8
        .value_kind:     hidden_global_offset_x
      - .offset:         144
        .size:           8
        .value_kind:     hidden_global_offset_y
      - .offset:         152
        .size:           8
        .value_kind:     hidden_global_offset_z
      - .offset:         160
        .size:           2
        .value_kind:     hidden_grid_dims
      - .offset:         176
        .size:           8
        .value_kind:     hidden_hostcall_buffer
    .group_segment_fixed_size: 0
    .kernarg_segment_align: 8
    .kernarg_segment_size: 352
    .language:       OpenCL C
    .language_version:
      - 2
      - 0
    .max_flat_workgroup_size: 32
    .name:           _ZL9mul_mat_fI15__hip_bfloat162Li64ELi4ELi1ELb1EEvPKT_PKfPKiPfiiiiiiiiiiiiiiii
    .private_segment_fixed_size: 16
    .sgpr_count:     36
    .sgpr_spill_count: 0
    .symbol:         _ZL9mul_mat_fI15__hip_bfloat162Li64ELi4ELi1ELb1EEvPKT_PKfPKiPfiiiiiiiiiiiiiiii.kd
    .uniform_work_group_size: 1
    .uses_dynamic_stack: false
    .vgpr_count:     38
    .vgpr_spill_count: 0
    .wavefront_size: 32
    .workgroup_processor_mode: 1
  - .args:
      - .actual_access:  read_only
        .address_space:  global
        .offset:         0
        .size:           8
        .value_kind:     global_buffer
      - .actual_access:  read_only
        .address_space:  global
        .offset:         8
        .size:           8
        .value_kind:     global_buffer
      - .actual_access:  read_only
        .address_space:  global
        .offset:         16
        .size:           8
        .value_kind:     global_buffer
      - .actual_access:  read_only
        .address_space:  global
        .offset:         24
        .size:           8
        .value_kind:     global_buffer
      - .offset:         32
        .size:           4
        .value_kind:     by_value
      - .offset:         36
        .size:           4
        .value_kind:     by_value
      - .offset:         40
        .size:           4
        .value_kind:     by_value
      - .offset:         44
        .size:           4
        .value_kind:     by_value
      - .offset:         48
        .size:           4
        .value_kind:     by_value
      - .offset:         52
        .size:           4
        .value_kind:     by_value
      - .offset:         56
        .size:           4
        .value_kind:     by_value
      - .offset:         60
        .size:           4
        .value_kind:     by_value
      - .offset:         64
        .size:           4
        .value_kind:     by_value
      - .offset:         68
        .size:           4
        .value_kind:     by_value
      - .offset:         72
        .size:           4
        .value_kind:     by_value
      - .offset:         76
        .size:           4
        .value_kind:     by_value
      - .offset:         80
        .size:           4
        .value_kind:     by_value
      - .offset:         84
        .size:           4
        .value_kind:     by_value
      - .offset:         88
        .size:           4
        .value_kind:     by_value
      - .offset:         92
        .size:           4
        .value_kind:     by_value
      - .offset:         96
        .size:           4
        .value_kind:     hidden_block_count_x
      - .offset:         100
        .size:           4
        .value_kind:     hidden_block_count_y
      - .offset:         104
        .size:           4
        .value_kind:     hidden_block_count_z
      - .offset:         108
        .size:           2
        .value_kind:     hidden_group_size_x
      - .offset:         110
        .size:           2
        .value_kind:     hidden_group_size_y
      - .offset:         112
        .size:           2
        .value_kind:     hidden_group_size_z
      - .offset:         114
        .size:           2
        .value_kind:     hidden_remainder_x
      - .offset:         116
        .size:           2
        .value_kind:     hidden_remainder_y
      - .offset:         118
        .size:           2
        .value_kind:     hidden_remainder_z
      - .offset:         136
        .size:           8
        .value_kind:     hidden_global_offset_x
      - .offset:         144
        .size:           8
        .value_kind:     hidden_global_offset_y
      - .offset:         152
        .size:           8
        .value_kind:     hidden_global_offset_z
      - .offset:         160
        .size:           2
        .value_kind:     hidden_grid_dims
      - .offset:         176
        .size:           8
        .value_kind:     hidden_hostcall_buffer
    .group_segment_fixed_size: 0
    .kernarg_segment_align: 8
    .kernarg_segment_size: 352
    .language:       OpenCL C
    .language_version:
      - 2
      - 0
    .max_flat_workgroup_size: 32
    .name:           _ZL9mul_mat_fI15__hip_bfloat162Li64ELi4ELi1ELb0EEvPKT_PKfPKiPfiiiiiiiiiiiiiiii
    .private_segment_fixed_size: 16
    .sgpr_count:     36
    .sgpr_spill_count: 0
    .symbol:         _ZL9mul_mat_fI15__hip_bfloat162Li64ELi4ELi1ELb0EEvPKT_PKfPKiPfiiiiiiiiiiiiiiii.kd
    .uniform_work_group_size: 1
    .uses_dynamic_stack: false
    .vgpr_count:     38
    .vgpr_spill_count: 0
    .wavefront_size: 32
    .workgroup_processor_mode: 1
  - .args:
      - .actual_access:  read_only
        .address_space:  global
        .offset:         0
        .size:           8
        .value_kind:     global_buffer
      - .actual_access:  read_only
        .address_space:  global
        .offset:         8
        .size:           8
        .value_kind:     global_buffer
      - .actual_access:  read_only
        .address_space:  global
        .offset:         16
        .size:           8
        .value_kind:     global_buffer
      - .actual_access:  read_only
        .address_space:  global
        .offset:         24
        .size:           8
        .value_kind:     global_buffer
      - .actual_access:  read_only
        .address_space:  global
        .offset:         32
        .size:           8
        .value_kind:     global_buffer
      - .actual_access:  read_only
        .address_space:  global
        .offset:         40
        .size:           8
        .value_kind:     global_buffer
      - .offset:         48
        .size:           4
        .value_kind:     by_value
      - .offset:         52
        .size:           4
        .value_kind:     by_value
      - .offset:         56
        .size:           4
        .value_kind:     by_value
      - .offset:         60
        .size:           4
        .value_kind:     by_value
      - .offset:         64
        .size:           4
        .value_kind:     by_value
      - .offset:         68
        .size:           4
        .value_kind:     by_value
      - .offset:         72
        .size:           4
        .value_kind:     by_value
      - .offset:         76
        .size:           4
        .value_kind:     by_value
      - .offset:         80
        .size:           4
        .value_kind:     by_value
      - .offset:         84
        .size:           4
        .value_kind:     by_value
      - .offset:         88
        .size:           4
        .value_kind:     by_value
      - .offset:         92
        .size:           4
        .value_kind:     by_value
      - .offset:         96
        .size:           4
        .value_kind:     by_value
      - .offset:         100
        .size:           4
        .value_kind:     by_value
      - .offset:         104
        .size:           12
        .value_kind:     by_value
      - .offset:         116
        .size:           12
        .value_kind:     by_value
      - .offset:         128
        .size:           4
        .value_kind:     hidden_block_count_x
      - .offset:         132
        .size:           4
        .value_kind:     hidden_block_count_y
      - .offset:         136
        .size:           4
        .value_kind:     hidden_block_count_z
      - .offset:         140
        .size:           2
        .value_kind:     hidden_group_size_x
      - .offset:         142
        .size:           2
        .value_kind:     hidden_group_size_y
      - .offset:         144
        .size:           2
        .value_kind:     hidden_group_size_z
      - .offset:         146
        .size:           2
        .value_kind:     hidden_remainder_x
      - .offset:         148
        .size:           2
        .value_kind:     hidden_remainder_y
      - .offset:         150
        .size:           2
        .value_kind:     hidden_remainder_z
      - .offset:         168
        .size:           8
        .value_kind:     hidden_global_offset_x
      - .offset:         176
        .size:           8
        .value_kind:     hidden_global_offset_y
      - .offset:         184
        .size:           8
        .value_kind:     hidden_global_offset_z
      - .offset:         192
        .size:           2
        .value_kind:     hidden_grid_dims
      - .offset:         208
        .size:           8
        .value_kind:     hidden_hostcall_buffer
    .group_segment_fixed_size: 0
    .kernarg_segment_align: 8
    .kernarg_segment_size: 384
    .language:       OpenCL C
    .language_version:
      - 2
      - 0
    .max_flat_workgroup_size: 64
    .name:           _ZL13mul_mat_f_idsI15__hip_bfloat162Li64ELi4ELi2EEvPKT_PKfPKiS7_S7_Pfiiiiiiiiiiiiii15HIP_vector_typeIjLj3EESA_
    .private_segment_fixed_size: 16
    .sgpr_count:     36
    .sgpr_spill_count: 0
    .symbol:         _ZL13mul_mat_f_idsI15__hip_bfloat162Li64ELi4ELi2EEvPKT_PKfPKiS7_S7_Pfiiiiiiiiiiiiii15HIP_vector_typeIjLj3EESA_.kd
    .uniform_work_group_size: 1
    .uses_dynamic_stack: false
    .vgpr_count:     38
    .vgpr_spill_count: 0
    .wavefront_size: 32
    .workgroup_processor_mode: 1
  - .args:
      - .actual_access:  read_only
        .address_space:  global
        .offset:         0
        .size:           8
        .value_kind:     global_buffer
      - .actual_access:  read_only
        .address_space:  global
        .offset:         8
        .size:           8
        .value_kind:     global_buffer
      - .actual_access:  read_only
        .address_space:  global
        .offset:         16
        .size:           8
        .value_kind:     global_buffer
      - .actual_access:  read_only
        .address_space:  global
        .offset:         24
        .size:           8
        .value_kind:     global_buffer
      - .offset:         32
        .size:           4
        .value_kind:     by_value
      - .offset:         36
        .size:           4
        .value_kind:     by_value
      - .offset:         40
        .size:           4
        .value_kind:     by_value
      - .offset:         44
        .size:           4
        .value_kind:     by_value
      - .offset:         48
        .size:           4
        .value_kind:     by_value
      - .offset:         52
        .size:           4
        .value_kind:     by_value
      - .offset:         56
        .size:           4
        .value_kind:     by_value
      - .offset:         60
        .size:           4
        .value_kind:     by_value
      - .offset:         64
        .size:           4
        .value_kind:     by_value
      - .offset:         68
        .size:           4
        .value_kind:     by_value
      - .offset:         72
        .size:           4
        .value_kind:     by_value
      - .offset:         76
        .size:           4
        .value_kind:     by_value
      - .offset:         80
        .size:           4
        .value_kind:     by_value
      - .offset:         84
        .size:           4
        .value_kind:     by_value
      - .offset:         88
        .size:           4
        .value_kind:     by_value
      - .offset:         92
        .size:           4
        .value_kind:     by_value
      - .offset:         96
        .size:           4
        .value_kind:     hidden_block_count_x
      - .offset:         100
        .size:           4
        .value_kind:     hidden_block_count_y
      - .offset:         104
        .size:           4
        .value_kind:     hidden_block_count_z
      - .offset:         108
        .size:           2
        .value_kind:     hidden_group_size_x
      - .offset:         110
        .size:           2
        .value_kind:     hidden_group_size_y
      - .offset:         112
        .size:           2
        .value_kind:     hidden_group_size_z
      - .offset:         114
        .size:           2
        .value_kind:     hidden_remainder_x
      - .offset:         116
        .size:           2
        .value_kind:     hidden_remainder_y
      - .offset:         118
        .size:           2
        .value_kind:     hidden_remainder_z
      - .offset:         136
        .size:           8
        .value_kind:     hidden_global_offset_x
      - .offset:         144
        .size:           8
        .value_kind:     hidden_global_offset_y
      - .offset:         152
        .size:           8
        .value_kind:     hidden_global_offset_z
      - .offset:         160
        .size:           2
        .value_kind:     hidden_grid_dims
      - .offset:         176
        .size:           8
        .value_kind:     hidden_hostcall_buffer
    .group_segment_fixed_size: 0
    .kernarg_segment_align: 8
    .kernarg_segment_size: 352
    .language:       OpenCL C
    .language_version:
      - 2
      - 0
    .max_flat_workgroup_size: 64
    .name:           _ZL9mul_mat_fI15__hip_bfloat162Li64ELi4ELi2ELb1EEvPKT_PKfPKiPfiiiiiiiiiiiiiiii
    .private_segment_fixed_size: 16
    .sgpr_count:     36
    .sgpr_spill_count: 0
    .symbol:         _ZL9mul_mat_fI15__hip_bfloat162Li64ELi4ELi2ELb1EEvPKT_PKfPKiPfiiiiiiiiiiiiiiii.kd
    .uniform_work_group_size: 1
    .uses_dynamic_stack: false
    .vgpr_count:     38
    .vgpr_spill_count: 0
    .wavefront_size: 32
    .workgroup_processor_mode: 1
  - .args:
      - .actual_access:  read_only
        .address_space:  global
        .offset:         0
        .size:           8
        .value_kind:     global_buffer
      - .actual_access:  read_only
        .address_space:  global
        .offset:         8
        .size:           8
        .value_kind:     global_buffer
      - .actual_access:  read_only
        .address_space:  global
        .offset:         16
        .size:           8
        .value_kind:     global_buffer
      - .actual_access:  read_only
        .address_space:  global
        .offset:         24
        .size:           8
        .value_kind:     global_buffer
      - .offset:         32
        .size:           4
        .value_kind:     by_value
      - .offset:         36
        .size:           4
        .value_kind:     by_value
      - .offset:         40
        .size:           4
        .value_kind:     by_value
      - .offset:         44
        .size:           4
        .value_kind:     by_value
      - .offset:         48
        .size:           4
        .value_kind:     by_value
      - .offset:         52
        .size:           4
        .value_kind:     by_value
      - .offset:         56
        .size:           4
        .value_kind:     by_value
      - .offset:         60
        .size:           4
        .value_kind:     by_value
      - .offset:         64
        .size:           4
        .value_kind:     by_value
      - .offset:         68
        .size:           4
        .value_kind:     by_value
      - .offset:         72
        .size:           4
        .value_kind:     by_value
      - .offset:         76
        .size:           4
        .value_kind:     by_value
      - .offset:         80
        .size:           4
        .value_kind:     by_value
      - .offset:         84
        .size:           4
        .value_kind:     by_value
      - .offset:         88
        .size:           4
        .value_kind:     by_value
      - .offset:         92
        .size:           4
        .value_kind:     by_value
      - .offset:         96
        .size:           4
        .value_kind:     hidden_block_count_x
      - .offset:         100
        .size:           4
        .value_kind:     hidden_block_count_y
      - .offset:         104
        .size:           4
        .value_kind:     hidden_block_count_z
      - .offset:         108
        .size:           2
        .value_kind:     hidden_group_size_x
      - .offset:         110
        .size:           2
        .value_kind:     hidden_group_size_y
      - .offset:         112
        .size:           2
        .value_kind:     hidden_group_size_z
      - .offset:         114
        .size:           2
        .value_kind:     hidden_remainder_x
      - .offset:         116
        .size:           2
        .value_kind:     hidden_remainder_y
      - .offset:         118
        .size:           2
        .value_kind:     hidden_remainder_z
      - .offset:         136
        .size:           8
        .value_kind:     hidden_global_offset_x
      - .offset:         144
        .size:           8
        .value_kind:     hidden_global_offset_y
      - .offset:         152
        .size:           8
        .value_kind:     hidden_global_offset_z
      - .offset:         160
        .size:           2
        .value_kind:     hidden_grid_dims
      - .offset:         176
        .size:           8
        .value_kind:     hidden_hostcall_buffer
    .group_segment_fixed_size: 0
    .kernarg_segment_align: 8
    .kernarg_segment_size: 352
    .language:       OpenCL C
    .language_version:
      - 2
      - 0
    .max_flat_workgroup_size: 64
    .name:           _ZL9mul_mat_fI15__hip_bfloat162Li64ELi4ELi2ELb0EEvPKT_PKfPKiPfiiiiiiiiiiiiiiii
    .private_segment_fixed_size: 16
    .sgpr_count:     36
    .sgpr_spill_count: 0
    .symbol:         _ZL9mul_mat_fI15__hip_bfloat162Li64ELi4ELi2ELb0EEvPKT_PKfPKiPfiiiiiiiiiiiiiiii.kd
    .uniform_work_group_size: 1
    .uses_dynamic_stack: false
    .vgpr_count:     38
    .vgpr_spill_count: 0
    .wavefront_size: 32
    .workgroup_processor_mode: 1
  - .args:
      - .actual_access:  read_only
        .address_space:  global
        .offset:         0
        .size:           8
        .value_kind:     global_buffer
      - .actual_access:  read_only
        .address_space:  global
        .offset:         8
        .size:           8
        .value_kind:     global_buffer
      - .actual_access:  read_only
        .address_space:  global
        .offset:         16
        .size:           8
        .value_kind:     global_buffer
      - .actual_access:  read_only
        .address_space:  global
        .offset:         24
        .size:           8
        .value_kind:     global_buffer
      - .actual_access:  read_only
        .address_space:  global
        .offset:         32
        .size:           8
        .value_kind:     global_buffer
      - .actual_access:  read_only
        .address_space:  global
        .offset:         40
        .size:           8
        .value_kind:     global_buffer
      - .offset:         48
        .size:           4
        .value_kind:     by_value
      - .offset:         52
        .size:           4
        .value_kind:     by_value
      - .offset:         56
        .size:           4
        .value_kind:     by_value
      - .offset:         60
        .size:           4
        .value_kind:     by_value
      - .offset:         64
        .size:           4
        .value_kind:     by_value
      - .offset:         68
        .size:           4
        .value_kind:     by_value
      - .offset:         72
        .size:           4
        .value_kind:     by_value
      - .offset:         76
        .size:           4
        .value_kind:     by_value
      - .offset:         80
        .size:           4
        .value_kind:     by_value
      - .offset:         84
        .size:           4
        .value_kind:     by_value
      - .offset:         88
        .size:           4
        .value_kind:     by_value
      - .offset:         92
        .size:           4
        .value_kind:     by_value
      - .offset:         96
        .size:           4
        .value_kind:     by_value
      - .offset:         100
        .size:           4
        .value_kind:     by_value
      - .offset:         104
        .size:           12
        .value_kind:     by_value
      - .offset:         116
        .size:           12
        .value_kind:     by_value
      - .offset:         128
        .size:           4
        .value_kind:     hidden_block_count_x
      - .offset:         132
        .size:           4
        .value_kind:     hidden_block_count_y
      - .offset:         136
        .size:           4
        .value_kind:     hidden_block_count_z
      - .offset:         140
        .size:           2
        .value_kind:     hidden_group_size_x
      - .offset:         142
        .size:           2
        .value_kind:     hidden_group_size_y
      - .offset:         144
        .size:           2
        .value_kind:     hidden_group_size_z
      - .offset:         146
        .size:           2
        .value_kind:     hidden_remainder_x
      - .offset:         148
        .size:           2
        .value_kind:     hidden_remainder_y
      - .offset:         150
        .size:           2
        .value_kind:     hidden_remainder_z
      - .offset:         168
        .size:           8
        .value_kind:     hidden_global_offset_x
      - .offset:         176
        .size:           8
        .value_kind:     hidden_global_offset_y
      - .offset:         184
        .size:           8
        .value_kind:     hidden_global_offset_z
      - .offset:         192
        .size:           2
        .value_kind:     hidden_grid_dims
      - .offset:         208
        .size:           8
        .value_kind:     hidden_hostcall_buffer
    .group_segment_fixed_size: 0
    .kernarg_segment_align: 8
    .kernarg_segment_size: 384
    .language:       OpenCL C
    .language_version:
      - 2
      - 0
    .max_flat_workgroup_size: 96
    .name:           _ZL13mul_mat_f_idsI15__hip_bfloat162Li64ELi4ELi3EEvPKT_PKfPKiS7_S7_Pfiiiiiiiiiiiiii15HIP_vector_typeIjLj3EESA_
    .private_segment_fixed_size: 16
    .sgpr_count:     36
    .sgpr_spill_count: 0
    .symbol:         _ZL13mul_mat_f_idsI15__hip_bfloat162Li64ELi4ELi3EEvPKT_PKfPKiS7_S7_Pfiiiiiiiiiiiiii15HIP_vector_typeIjLj3EESA_.kd
    .uniform_work_group_size: 1
    .uses_dynamic_stack: false
    .vgpr_count:     38
    .vgpr_spill_count: 0
    .wavefront_size: 32
    .workgroup_processor_mode: 1
  - .args:
      - .actual_access:  read_only
        .address_space:  global
        .offset:         0
        .size:           8
        .value_kind:     global_buffer
      - .actual_access:  read_only
        .address_space:  global
        .offset:         8
        .size:           8
        .value_kind:     global_buffer
      - .actual_access:  read_only
        .address_space:  global
        .offset:         16
        .size:           8
        .value_kind:     global_buffer
      - .actual_access:  read_only
        .address_space:  global
        .offset:         24
        .size:           8
        .value_kind:     global_buffer
      - .offset:         32
        .size:           4
        .value_kind:     by_value
      - .offset:         36
        .size:           4
        .value_kind:     by_value
      - .offset:         40
        .size:           4
        .value_kind:     by_value
      - .offset:         44
        .size:           4
        .value_kind:     by_value
      - .offset:         48
        .size:           4
        .value_kind:     by_value
      - .offset:         52
        .size:           4
        .value_kind:     by_value
      - .offset:         56
        .size:           4
        .value_kind:     by_value
      - .offset:         60
        .size:           4
        .value_kind:     by_value
      - .offset:         64
        .size:           4
        .value_kind:     by_value
      - .offset:         68
        .size:           4
        .value_kind:     by_value
      - .offset:         72
        .size:           4
        .value_kind:     by_value
      - .offset:         76
        .size:           4
        .value_kind:     by_value
      - .offset:         80
        .size:           4
        .value_kind:     by_value
      - .offset:         84
        .size:           4
        .value_kind:     by_value
      - .offset:         88
        .size:           4
        .value_kind:     by_value
      - .offset:         92
        .size:           4
        .value_kind:     by_value
      - .offset:         96
        .size:           4
        .value_kind:     hidden_block_count_x
      - .offset:         100
        .size:           4
        .value_kind:     hidden_block_count_y
      - .offset:         104
        .size:           4
        .value_kind:     hidden_block_count_z
      - .offset:         108
        .size:           2
        .value_kind:     hidden_group_size_x
      - .offset:         110
        .size:           2
        .value_kind:     hidden_group_size_y
      - .offset:         112
        .size:           2
        .value_kind:     hidden_group_size_z
      - .offset:         114
        .size:           2
        .value_kind:     hidden_remainder_x
      - .offset:         116
        .size:           2
        .value_kind:     hidden_remainder_y
      - .offset:         118
        .size:           2
        .value_kind:     hidden_remainder_z
      - .offset:         136
        .size:           8
        .value_kind:     hidden_global_offset_x
      - .offset:         144
        .size:           8
        .value_kind:     hidden_global_offset_y
      - .offset:         152
        .size:           8
        .value_kind:     hidden_global_offset_z
      - .offset:         160
        .size:           2
        .value_kind:     hidden_grid_dims
      - .offset:         176
        .size:           8
        .value_kind:     hidden_hostcall_buffer
    .group_segment_fixed_size: 0
    .kernarg_segment_align: 8
    .kernarg_segment_size: 352
    .language:       OpenCL C
    .language_version:
      - 2
      - 0
    .max_flat_workgroup_size: 96
    .name:           _ZL9mul_mat_fI15__hip_bfloat162Li64ELi4ELi3ELb1EEvPKT_PKfPKiPfiiiiiiiiiiiiiiii
    .private_segment_fixed_size: 16
    .sgpr_count:     36
    .sgpr_spill_count: 0
    .symbol:         _ZL9mul_mat_fI15__hip_bfloat162Li64ELi4ELi3ELb1EEvPKT_PKfPKiPfiiiiiiiiiiiiiiii.kd
    .uniform_work_group_size: 1
    .uses_dynamic_stack: false
    .vgpr_count:     38
    .vgpr_spill_count: 0
    .wavefront_size: 32
    .workgroup_processor_mode: 1
  - .args:
      - .actual_access:  read_only
        .address_space:  global
        .offset:         0
        .size:           8
        .value_kind:     global_buffer
      - .actual_access:  read_only
        .address_space:  global
        .offset:         8
        .size:           8
        .value_kind:     global_buffer
      - .actual_access:  read_only
        .address_space:  global
        .offset:         16
        .size:           8
        .value_kind:     global_buffer
      - .actual_access:  read_only
        .address_space:  global
        .offset:         24
        .size:           8
        .value_kind:     global_buffer
      - .offset:         32
        .size:           4
        .value_kind:     by_value
      - .offset:         36
        .size:           4
        .value_kind:     by_value
      - .offset:         40
        .size:           4
        .value_kind:     by_value
      - .offset:         44
        .size:           4
        .value_kind:     by_value
      - .offset:         48
        .size:           4
        .value_kind:     by_value
      - .offset:         52
        .size:           4
        .value_kind:     by_value
      - .offset:         56
        .size:           4
        .value_kind:     by_value
      - .offset:         60
        .size:           4
        .value_kind:     by_value
      - .offset:         64
        .size:           4
        .value_kind:     by_value
      - .offset:         68
        .size:           4
        .value_kind:     by_value
      - .offset:         72
        .size:           4
        .value_kind:     by_value
      - .offset:         76
        .size:           4
        .value_kind:     by_value
      - .offset:         80
        .size:           4
        .value_kind:     by_value
      - .offset:         84
        .size:           4
        .value_kind:     by_value
      - .offset:         88
        .size:           4
        .value_kind:     by_value
      - .offset:         92
        .size:           4
        .value_kind:     by_value
      - .offset:         96
        .size:           4
        .value_kind:     hidden_block_count_x
      - .offset:         100
        .size:           4
        .value_kind:     hidden_block_count_y
      - .offset:         104
        .size:           4
        .value_kind:     hidden_block_count_z
      - .offset:         108
        .size:           2
        .value_kind:     hidden_group_size_x
      - .offset:         110
        .size:           2
        .value_kind:     hidden_group_size_y
      - .offset:         112
        .size:           2
        .value_kind:     hidden_group_size_z
      - .offset:         114
        .size:           2
        .value_kind:     hidden_remainder_x
      - .offset:         116
        .size:           2
        .value_kind:     hidden_remainder_y
      - .offset:         118
        .size:           2
        .value_kind:     hidden_remainder_z
      - .offset:         136
        .size:           8
        .value_kind:     hidden_global_offset_x
      - .offset:         144
        .size:           8
        .value_kind:     hidden_global_offset_y
      - .offset:         152
        .size:           8
        .value_kind:     hidden_global_offset_z
      - .offset:         160
        .size:           2
        .value_kind:     hidden_grid_dims
      - .offset:         176
        .size:           8
        .value_kind:     hidden_hostcall_buffer
    .group_segment_fixed_size: 0
    .kernarg_segment_align: 8
    .kernarg_segment_size: 352
    .language:       OpenCL C
    .language_version:
      - 2
      - 0
    .max_flat_workgroup_size: 96
    .name:           _ZL9mul_mat_fI15__hip_bfloat162Li64ELi4ELi3ELb0EEvPKT_PKfPKiPfiiiiiiiiiiiiiiii
    .private_segment_fixed_size: 16
    .sgpr_count:     36
    .sgpr_spill_count: 0
    .symbol:         _ZL9mul_mat_fI15__hip_bfloat162Li64ELi4ELi3ELb0EEvPKT_PKfPKiPfiiiiiiiiiiiiiiii.kd
    .uniform_work_group_size: 1
    .uses_dynamic_stack: false
    .vgpr_count:     38
    .vgpr_spill_count: 0
    .wavefront_size: 32
    .workgroup_processor_mode: 1
  - .args:
      - .actual_access:  read_only
        .address_space:  global
        .offset:         0
        .size:           8
        .value_kind:     global_buffer
      - .actual_access:  read_only
        .address_space:  global
        .offset:         8
        .size:           8
        .value_kind:     global_buffer
      - .actual_access:  read_only
        .address_space:  global
        .offset:         16
        .size:           8
        .value_kind:     global_buffer
      - .actual_access:  read_only
        .address_space:  global
        .offset:         24
        .size:           8
        .value_kind:     global_buffer
      - .actual_access:  read_only
        .address_space:  global
        .offset:         32
        .size:           8
        .value_kind:     global_buffer
      - .actual_access:  read_only
        .address_space:  global
        .offset:         40
        .size:           8
        .value_kind:     global_buffer
      - .offset:         48
        .size:           4
        .value_kind:     by_value
      - .offset:         52
        .size:           4
        .value_kind:     by_value
      - .offset:         56
        .size:           4
        .value_kind:     by_value
      - .offset:         60
        .size:           4
        .value_kind:     by_value
      - .offset:         64
        .size:           4
        .value_kind:     by_value
      - .offset:         68
        .size:           4
        .value_kind:     by_value
      - .offset:         72
        .size:           4
        .value_kind:     by_value
      - .offset:         76
        .size:           4
        .value_kind:     by_value
      - .offset:         80
        .size:           4
        .value_kind:     by_value
      - .offset:         84
        .size:           4
        .value_kind:     by_value
      - .offset:         88
        .size:           4
        .value_kind:     by_value
      - .offset:         92
        .size:           4
        .value_kind:     by_value
      - .offset:         96
        .size:           4
        .value_kind:     by_value
      - .offset:         100
        .size:           4
        .value_kind:     by_value
      - .offset:         104
        .size:           12
        .value_kind:     by_value
      - .offset:         116
        .size:           12
        .value_kind:     by_value
      - .offset:         128
        .size:           4
        .value_kind:     hidden_block_count_x
      - .offset:         132
        .size:           4
        .value_kind:     hidden_block_count_y
      - .offset:         136
        .size:           4
        .value_kind:     hidden_block_count_z
      - .offset:         140
        .size:           2
        .value_kind:     hidden_group_size_x
      - .offset:         142
        .size:           2
        .value_kind:     hidden_group_size_y
      - .offset:         144
        .size:           2
        .value_kind:     hidden_group_size_z
      - .offset:         146
        .size:           2
        .value_kind:     hidden_remainder_x
      - .offset:         148
        .size:           2
        .value_kind:     hidden_remainder_y
      - .offset:         150
        .size:           2
        .value_kind:     hidden_remainder_z
      - .offset:         168
        .size:           8
        .value_kind:     hidden_global_offset_x
      - .offset:         176
        .size:           8
        .value_kind:     hidden_global_offset_y
      - .offset:         184
        .size:           8
        .value_kind:     hidden_global_offset_z
      - .offset:         192
        .size:           2
        .value_kind:     hidden_grid_dims
      - .offset:         208
        .size:           8
        .value_kind:     hidden_hostcall_buffer
    .group_segment_fixed_size: 0
    .kernarg_segment_align: 8
    .kernarg_segment_size: 384
    .language:       OpenCL C
    .language_version:
      - 2
      - 0
    .max_flat_workgroup_size: 128
    .name:           _ZL13mul_mat_f_idsI15__hip_bfloat162Li64ELi4ELi4EEvPKT_PKfPKiS7_S7_Pfiiiiiiiiiiiiii15HIP_vector_typeIjLj3EESA_
    .private_segment_fixed_size: 16
    .sgpr_count:     36
    .sgpr_spill_count: 0
    .symbol:         _ZL13mul_mat_f_idsI15__hip_bfloat162Li64ELi4ELi4EEvPKT_PKfPKiS7_S7_Pfiiiiiiiiiiiiii15HIP_vector_typeIjLj3EESA_.kd
    .uniform_work_group_size: 1
    .uses_dynamic_stack: false
    .vgpr_count:     38
    .vgpr_spill_count: 0
    .wavefront_size: 32
    .workgroup_processor_mode: 1
  - .args:
      - .actual_access:  read_only
        .address_space:  global
        .offset:         0
        .size:           8
        .value_kind:     global_buffer
      - .actual_access:  read_only
        .address_space:  global
        .offset:         8
        .size:           8
        .value_kind:     global_buffer
      - .actual_access:  read_only
        .address_space:  global
        .offset:         16
        .size:           8
        .value_kind:     global_buffer
      - .actual_access:  read_only
        .address_space:  global
        .offset:         24
        .size:           8
        .value_kind:     global_buffer
      - .offset:         32
        .size:           4
        .value_kind:     by_value
      - .offset:         36
        .size:           4
        .value_kind:     by_value
      - .offset:         40
        .size:           4
        .value_kind:     by_value
      - .offset:         44
        .size:           4
        .value_kind:     by_value
      - .offset:         48
        .size:           4
        .value_kind:     by_value
      - .offset:         52
        .size:           4
        .value_kind:     by_value
      - .offset:         56
        .size:           4
        .value_kind:     by_value
      - .offset:         60
        .size:           4
        .value_kind:     by_value
      - .offset:         64
        .size:           4
        .value_kind:     by_value
      - .offset:         68
        .size:           4
        .value_kind:     by_value
      - .offset:         72
        .size:           4
        .value_kind:     by_value
      - .offset:         76
        .size:           4
        .value_kind:     by_value
      - .offset:         80
        .size:           4
        .value_kind:     by_value
      - .offset:         84
        .size:           4
        .value_kind:     by_value
      - .offset:         88
        .size:           4
        .value_kind:     by_value
      - .offset:         92
        .size:           4
        .value_kind:     by_value
      - .offset:         96
        .size:           4
        .value_kind:     hidden_block_count_x
      - .offset:         100
        .size:           4
        .value_kind:     hidden_block_count_y
      - .offset:         104
        .size:           4
        .value_kind:     hidden_block_count_z
      - .offset:         108
        .size:           2
        .value_kind:     hidden_group_size_x
      - .offset:         110
        .size:           2
        .value_kind:     hidden_group_size_y
      - .offset:         112
        .size:           2
        .value_kind:     hidden_group_size_z
      - .offset:         114
        .size:           2
        .value_kind:     hidden_remainder_x
      - .offset:         116
        .size:           2
        .value_kind:     hidden_remainder_y
      - .offset:         118
        .size:           2
        .value_kind:     hidden_remainder_z
      - .offset:         136
        .size:           8
        .value_kind:     hidden_global_offset_x
      - .offset:         144
        .size:           8
        .value_kind:     hidden_global_offset_y
      - .offset:         152
        .size:           8
        .value_kind:     hidden_global_offset_z
      - .offset:         160
        .size:           2
        .value_kind:     hidden_grid_dims
      - .offset:         176
        .size:           8
        .value_kind:     hidden_hostcall_buffer
    .group_segment_fixed_size: 0
    .kernarg_segment_align: 8
    .kernarg_segment_size: 352
    .language:       OpenCL C
    .language_version:
      - 2
      - 0
    .max_flat_workgroup_size: 128
    .name:           _ZL9mul_mat_fI15__hip_bfloat162Li64ELi4ELi4ELb1EEvPKT_PKfPKiPfiiiiiiiiiiiiiiii
    .private_segment_fixed_size: 16
    .sgpr_count:     36
    .sgpr_spill_count: 0
    .symbol:         _ZL9mul_mat_fI15__hip_bfloat162Li64ELi4ELi4ELb1EEvPKT_PKfPKiPfiiiiiiiiiiiiiiii.kd
    .uniform_work_group_size: 1
    .uses_dynamic_stack: false
    .vgpr_count:     38
    .vgpr_spill_count: 0
    .wavefront_size: 32
    .workgroup_processor_mode: 1
  - .args:
      - .actual_access:  read_only
        .address_space:  global
        .offset:         0
        .size:           8
        .value_kind:     global_buffer
      - .actual_access:  read_only
        .address_space:  global
        .offset:         8
        .size:           8
        .value_kind:     global_buffer
      - .actual_access:  read_only
        .address_space:  global
        .offset:         16
        .size:           8
        .value_kind:     global_buffer
      - .actual_access:  read_only
        .address_space:  global
        .offset:         24
        .size:           8
        .value_kind:     global_buffer
      - .offset:         32
        .size:           4
        .value_kind:     by_value
      - .offset:         36
        .size:           4
        .value_kind:     by_value
      - .offset:         40
        .size:           4
        .value_kind:     by_value
      - .offset:         44
        .size:           4
        .value_kind:     by_value
      - .offset:         48
        .size:           4
        .value_kind:     by_value
      - .offset:         52
        .size:           4
        .value_kind:     by_value
      - .offset:         56
        .size:           4
        .value_kind:     by_value
      - .offset:         60
        .size:           4
        .value_kind:     by_value
      - .offset:         64
        .size:           4
        .value_kind:     by_value
      - .offset:         68
        .size:           4
        .value_kind:     by_value
      - .offset:         72
        .size:           4
        .value_kind:     by_value
      - .offset:         76
        .size:           4
        .value_kind:     by_value
      - .offset:         80
        .size:           4
        .value_kind:     by_value
      - .offset:         84
        .size:           4
        .value_kind:     by_value
      - .offset:         88
        .size:           4
        .value_kind:     by_value
      - .offset:         92
        .size:           4
        .value_kind:     by_value
      - .offset:         96
        .size:           4
        .value_kind:     hidden_block_count_x
      - .offset:         100
        .size:           4
        .value_kind:     hidden_block_count_y
      - .offset:         104
        .size:           4
        .value_kind:     hidden_block_count_z
      - .offset:         108
        .size:           2
        .value_kind:     hidden_group_size_x
      - .offset:         110
        .size:           2
        .value_kind:     hidden_group_size_y
      - .offset:         112
        .size:           2
        .value_kind:     hidden_group_size_z
      - .offset:         114
        .size:           2
        .value_kind:     hidden_remainder_x
      - .offset:         116
        .size:           2
        .value_kind:     hidden_remainder_y
      - .offset:         118
        .size:           2
        .value_kind:     hidden_remainder_z
      - .offset:         136
        .size:           8
        .value_kind:     hidden_global_offset_x
      - .offset:         144
        .size:           8
        .value_kind:     hidden_global_offset_y
      - .offset:         152
        .size:           8
        .value_kind:     hidden_global_offset_z
      - .offset:         160
        .size:           2
        .value_kind:     hidden_grid_dims
      - .offset:         176
        .size:           8
        .value_kind:     hidden_hostcall_buffer
    .group_segment_fixed_size: 0
    .kernarg_segment_align: 8
    .kernarg_segment_size: 352
    .language:       OpenCL C
    .language_version:
      - 2
      - 0
    .max_flat_workgroup_size: 128
    .name:           _ZL9mul_mat_fI15__hip_bfloat162Li64ELi4ELi4ELb0EEvPKT_PKfPKiPfiiiiiiiiiiiiiiii
    .private_segment_fixed_size: 16
    .sgpr_count:     36
    .sgpr_spill_count: 0
    .symbol:         _ZL9mul_mat_fI15__hip_bfloat162Li64ELi4ELi4ELb0EEvPKT_PKfPKiPfiiiiiiiiiiiiiiii.kd
    .uniform_work_group_size: 1
    .uses_dynamic_stack: false
    .vgpr_count:     38
    .vgpr_spill_count: 0
    .wavefront_size: 32
    .workgroup_processor_mode: 1
  - .args:
      - .actual_access:  read_only
        .address_space:  global
        .offset:         0
        .size:           8
        .value_kind:     global_buffer
      - .actual_access:  read_only
        .address_space:  global
        .offset:         8
        .size:           8
        .value_kind:     global_buffer
      - .actual_access:  read_only
        .address_space:  global
        .offset:         16
        .size:           8
        .value_kind:     global_buffer
      - .actual_access:  read_only
        .address_space:  global
        .offset:         24
        .size:           8
        .value_kind:     global_buffer
      - .actual_access:  read_only
        .address_space:  global
        .offset:         32
        .size:           8
        .value_kind:     global_buffer
      - .actual_access:  read_only
        .address_space:  global
        .offset:         40
        .size:           8
        .value_kind:     global_buffer
      - .offset:         48
        .size:           4
        .value_kind:     by_value
      - .offset:         52
        .size:           4
        .value_kind:     by_value
      - .offset:         56
        .size:           4
        .value_kind:     by_value
      - .offset:         60
        .size:           4
        .value_kind:     by_value
      - .offset:         64
        .size:           4
        .value_kind:     by_value
      - .offset:         68
        .size:           4
        .value_kind:     by_value
      - .offset:         72
        .size:           4
        .value_kind:     by_value
      - .offset:         76
        .size:           4
        .value_kind:     by_value
      - .offset:         80
        .size:           4
        .value_kind:     by_value
      - .offset:         84
        .size:           4
        .value_kind:     by_value
      - .offset:         88
        .size:           4
        .value_kind:     by_value
      - .offset:         92
        .size:           4
        .value_kind:     by_value
      - .offset:         96
        .size:           4
        .value_kind:     by_value
      - .offset:         100
        .size:           4
        .value_kind:     by_value
      - .offset:         104
        .size:           12
        .value_kind:     by_value
      - .offset:         116
        .size:           12
        .value_kind:     by_value
      - .offset:         128
        .size:           4
        .value_kind:     hidden_block_count_x
      - .offset:         132
        .size:           4
        .value_kind:     hidden_block_count_y
      - .offset:         136
        .size:           4
        .value_kind:     hidden_block_count_z
      - .offset:         140
        .size:           2
        .value_kind:     hidden_group_size_x
      - .offset:         142
        .size:           2
        .value_kind:     hidden_group_size_y
      - .offset:         144
        .size:           2
        .value_kind:     hidden_group_size_z
      - .offset:         146
        .size:           2
        .value_kind:     hidden_remainder_x
      - .offset:         148
        .size:           2
        .value_kind:     hidden_remainder_y
      - .offset:         150
        .size:           2
        .value_kind:     hidden_remainder_z
      - .offset:         168
        .size:           8
        .value_kind:     hidden_global_offset_x
      - .offset:         176
        .size:           8
        .value_kind:     hidden_global_offset_y
      - .offset:         184
        .size:           8
        .value_kind:     hidden_global_offset_z
      - .offset:         192
        .size:           2
        .value_kind:     hidden_grid_dims
      - .offset:         208
        .size:           8
        .value_kind:     hidden_hostcall_buffer
    .group_segment_fixed_size: 0
    .kernarg_segment_align: 8
    .kernarg_segment_size: 384
    .language:       OpenCL C
    .language_version:
      - 2
      - 0
    .max_flat_workgroup_size: 160
    .name:           _ZL13mul_mat_f_idsI15__hip_bfloat162Li64ELi4ELi5EEvPKT_PKfPKiS7_S7_Pfiiiiiiiiiiiiii15HIP_vector_typeIjLj3EESA_
    .private_segment_fixed_size: 16
    .sgpr_count:     36
    .sgpr_spill_count: 0
    .symbol:         _ZL13mul_mat_f_idsI15__hip_bfloat162Li64ELi4ELi5EEvPKT_PKfPKiS7_S7_Pfiiiiiiiiiiiiii15HIP_vector_typeIjLj3EESA_.kd
    .uniform_work_group_size: 1
    .uses_dynamic_stack: false
    .vgpr_count:     38
    .vgpr_spill_count: 0
    .wavefront_size: 32
    .workgroup_processor_mode: 1
  - .args:
      - .actual_access:  read_only
        .address_space:  global
        .offset:         0
        .size:           8
        .value_kind:     global_buffer
      - .actual_access:  read_only
        .address_space:  global
        .offset:         8
        .size:           8
        .value_kind:     global_buffer
      - .actual_access:  read_only
        .address_space:  global
        .offset:         16
        .size:           8
        .value_kind:     global_buffer
      - .actual_access:  read_only
        .address_space:  global
        .offset:         24
        .size:           8
        .value_kind:     global_buffer
      - .offset:         32
        .size:           4
        .value_kind:     by_value
      - .offset:         36
        .size:           4
        .value_kind:     by_value
      - .offset:         40
        .size:           4
        .value_kind:     by_value
      - .offset:         44
        .size:           4
        .value_kind:     by_value
      - .offset:         48
        .size:           4
        .value_kind:     by_value
      - .offset:         52
        .size:           4
        .value_kind:     by_value
      - .offset:         56
        .size:           4
        .value_kind:     by_value
      - .offset:         60
        .size:           4
        .value_kind:     by_value
      - .offset:         64
        .size:           4
        .value_kind:     by_value
      - .offset:         68
        .size:           4
        .value_kind:     by_value
      - .offset:         72
        .size:           4
        .value_kind:     by_value
      - .offset:         76
        .size:           4
        .value_kind:     by_value
      - .offset:         80
        .size:           4
        .value_kind:     by_value
      - .offset:         84
        .size:           4
        .value_kind:     by_value
      - .offset:         88
        .size:           4
        .value_kind:     by_value
      - .offset:         92
        .size:           4
        .value_kind:     by_value
      - .offset:         96
        .size:           4
        .value_kind:     hidden_block_count_x
      - .offset:         100
        .size:           4
        .value_kind:     hidden_block_count_y
      - .offset:         104
        .size:           4
        .value_kind:     hidden_block_count_z
      - .offset:         108
        .size:           2
        .value_kind:     hidden_group_size_x
      - .offset:         110
        .size:           2
        .value_kind:     hidden_group_size_y
      - .offset:         112
        .size:           2
        .value_kind:     hidden_group_size_z
      - .offset:         114
        .size:           2
        .value_kind:     hidden_remainder_x
      - .offset:         116
        .size:           2
        .value_kind:     hidden_remainder_y
      - .offset:         118
        .size:           2
        .value_kind:     hidden_remainder_z
      - .offset:         136
        .size:           8
        .value_kind:     hidden_global_offset_x
      - .offset:         144
        .size:           8
        .value_kind:     hidden_global_offset_y
      - .offset:         152
        .size:           8
        .value_kind:     hidden_global_offset_z
      - .offset:         160
        .size:           2
        .value_kind:     hidden_grid_dims
      - .offset:         176
        .size:           8
        .value_kind:     hidden_hostcall_buffer
    .group_segment_fixed_size: 0
    .kernarg_segment_align: 8
    .kernarg_segment_size: 352
    .language:       OpenCL C
    .language_version:
      - 2
      - 0
    .max_flat_workgroup_size: 160
    .name:           _ZL9mul_mat_fI15__hip_bfloat162Li64ELi4ELi5ELb1EEvPKT_PKfPKiPfiiiiiiiiiiiiiiii
    .private_segment_fixed_size: 16
    .sgpr_count:     36
    .sgpr_spill_count: 0
    .symbol:         _ZL9mul_mat_fI15__hip_bfloat162Li64ELi4ELi5ELb1EEvPKT_PKfPKiPfiiiiiiiiiiiiiiii.kd
    .uniform_work_group_size: 1
    .uses_dynamic_stack: false
    .vgpr_count:     38
    .vgpr_spill_count: 0
    .wavefront_size: 32
    .workgroup_processor_mode: 1
  - .args:
      - .actual_access:  read_only
        .address_space:  global
        .offset:         0
        .size:           8
        .value_kind:     global_buffer
      - .actual_access:  read_only
        .address_space:  global
        .offset:         8
        .size:           8
        .value_kind:     global_buffer
      - .actual_access:  read_only
        .address_space:  global
        .offset:         16
        .size:           8
        .value_kind:     global_buffer
      - .actual_access:  read_only
        .address_space:  global
        .offset:         24
        .size:           8
        .value_kind:     global_buffer
      - .offset:         32
        .size:           4
        .value_kind:     by_value
      - .offset:         36
        .size:           4
        .value_kind:     by_value
      - .offset:         40
        .size:           4
        .value_kind:     by_value
      - .offset:         44
        .size:           4
        .value_kind:     by_value
      - .offset:         48
        .size:           4
        .value_kind:     by_value
      - .offset:         52
        .size:           4
        .value_kind:     by_value
      - .offset:         56
        .size:           4
        .value_kind:     by_value
      - .offset:         60
        .size:           4
        .value_kind:     by_value
      - .offset:         64
        .size:           4
        .value_kind:     by_value
      - .offset:         68
        .size:           4
        .value_kind:     by_value
      - .offset:         72
        .size:           4
        .value_kind:     by_value
      - .offset:         76
        .size:           4
        .value_kind:     by_value
      - .offset:         80
        .size:           4
        .value_kind:     by_value
      - .offset:         84
        .size:           4
        .value_kind:     by_value
      - .offset:         88
        .size:           4
        .value_kind:     by_value
      - .offset:         92
        .size:           4
        .value_kind:     by_value
      - .offset:         96
        .size:           4
        .value_kind:     hidden_block_count_x
      - .offset:         100
        .size:           4
        .value_kind:     hidden_block_count_y
      - .offset:         104
        .size:           4
        .value_kind:     hidden_block_count_z
      - .offset:         108
        .size:           2
        .value_kind:     hidden_group_size_x
      - .offset:         110
        .size:           2
        .value_kind:     hidden_group_size_y
      - .offset:         112
        .size:           2
        .value_kind:     hidden_group_size_z
      - .offset:         114
        .size:           2
        .value_kind:     hidden_remainder_x
      - .offset:         116
        .size:           2
        .value_kind:     hidden_remainder_y
      - .offset:         118
        .size:           2
        .value_kind:     hidden_remainder_z
      - .offset:         136
        .size:           8
        .value_kind:     hidden_global_offset_x
      - .offset:         144
        .size:           8
        .value_kind:     hidden_global_offset_y
      - .offset:         152
        .size:           8
        .value_kind:     hidden_global_offset_z
      - .offset:         160
        .size:           2
        .value_kind:     hidden_grid_dims
      - .offset:         176
        .size:           8
        .value_kind:     hidden_hostcall_buffer
    .group_segment_fixed_size: 0
    .kernarg_segment_align: 8
    .kernarg_segment_size: 352
    .language:       OpenCL C
    .language_version:
      - 2
      - 0
    .max_flat_workgroup_size: 160
    .name:           _ZL9mul_mat_fI15__hip_bfloat162Li64ELi4ELi5ELb0EEvPKT_PKfPKiPfiiiiiiiiiiiiiiii
    .private_segment_fixed_size: 16
    .sgpr_count:     36
    .sgpr_spill_count: 0
    .symbol:         _ZL9mul_mat_fI15__hip_bfloat162Li64ELi4ELi5ELb0EEvPKT_PKfPKiPfiiiiiiiiiiiiiiii.kd
    .uniform_work_group_size: 1
    .uses_dynamic_stack: false
    .vgpr_count:     38
    .vgpr_spill_count: 0
    .wavefront_size: 32
    .workgroup_processor_mode: 1
  - .args:
      - .actual_access:  read_only
        .address_space:  global
        .offset:         0
        .size:           8
        .value_kind:     global_buffer
      - .actual_access:  read_only
        .address_space:  global
        .offset:         8
        .size:           8
        .value_kind:     global_buffer
      - .actual_access:  read_only
        .address_space:  global
        .offset:         16
        .size:           8
        .value_kind:     global_buffer
      - .actual_access:  read_only
        .address_space:  global
        .offset:         24
        .size:           8
        .value_kind:     global_buffer
      - .actual_access:  read_only
        .address_space:  global
        .offset:         32
        .size:           8
        .value_kind:     global_buffer
      - .actual_access:  read_only
        .address_space:  global
        .offset:         40
        .size:           8
        .value_kind:     global_buffer
      - .offset:         48
        .size:           4
        .value_kind:     by_value
      - .offset:         52
        .size:           4
        .value_kind:     by_value
      - .offset:         56
        .size:           4
        .value_kind:     by_value
      - .offset:         60
        .size:           4
        .value_kind:     by_value
      - .offset:         64
        .size:           4
        .value_kind:     by_value
      - .offset:         68
        .size:           4
        .value_kind:     by_value
      - .offset:         72
        .size:           4
        .value_kind:     by_value
      - .offset:         76
        .size:           4
        .value_kind:     by_value
      - .offset:         80
        .size:           4
        .value_kind:     by_value
      - .offset:         84
        .size:           4
        .value_kind:     by_value
      - .offset:         88
        .size:           4
        .value_kind:     by_value
      - .offset:         92
        .size:           4
        .value_kind:     by_value
      - .offset:         96
        .size:           4
        .value_kind:     by_value
      - .offset:         100
        .size:           4
        .value_kind:     by_value
      - .offset:         104
        .size:           12
        .value_kind:     by_value
      - .offset:         116
        .size:           12
        .value_kind:     by_value
      - .offset:         128
        .size:           4
        .value_kind:     hidden_block_count_x
      - .offset:         132
        .size:           4
        .value_kind:     hidden_block_count_y
      - .offset:         136
        .size:           4
        .value_kind:     hidden_block_count_z
      - .offset:         140
        .size:           2
        .value_kind:     hidden_group_size_x
      - .offset:         142
        .size:           2
        .value_kind:     hidden_group_size_y
      - .offset:         144
        .size:           2
        .value_kind:     hidden_group_size_z
      - .offset:         146
        .size:           2
        .value_kind:     hidden_remainder_x
      - .offset:         148
        .size:           2
        .value_kind:     hidden_remainder_y
      - .offset:         150
        .size:           2
        .value_kind:     hidden_remainder_z
      - .offset:         168
        .size:           8
        .value_kind:     hidden_global_offset_x
      - .offset:         176
        .size:           8
        .value_kind:     hidden_global_offset_y
      - .offset:         184
        .size:           8
        .value_kind:     hidden_global_offset_z
      - .offset:         192
        .size:           2
        .value_kind:     hidden_grid_dims
      - .offset:         208
        .size:           8
        .value_kind:     hidden_hostcall_buffer
    .group_segment_fixed_size: 0
    .kernarg_segment_align: 8
    .kernarg_segment_size: 384
    .language:       OpenCL C
    .language_version:
      - 2
      - 0
    .max_flat_workgroup_size: 192
    .name:           _ZL13mul_mat_f_idsI15__hip_bfloat162Li64ELi4ELi6EEvPKT_PKfPKiS7_S7_Pfiiiiiiiiiiiiii15HIP_vector_typeIjLj3EESA_
    .private_segment_fixed_size: 16
    .sgpr_count:     36
    .sgpr_spill_count: 0
    .symbol:         _ZL13mul_mat_f_idsI15__hip_bfloat162Li64ELi4ELi6EEvPKT_PKfPKiS7_S7_Pfiiiiiiiiiiiiii15HIP_vector_typeIjLj3EESA_.kd
    .uniform_work_group_size: 1
    .uses_dynamic_stack: false
    .vgpr_count:     38
    .vgpr_spill_count: 0
    .wavefront_size: 32
    .workgroup_processor_mode: 1
  - .args:
      - .actual_access:  read_only
        .address_space:  global
        .offset:         0
        .size:           8
        .value_kind:     global_buffer
      - .actual_access:  read_only
        .address_space:  global
        .offset:         8
        .size:           8
        .value_kind:     global_buffer
      - .actual_access:  read_only
        .address_space:  global
        .offset:         16
        .size:           8
        .value_kind:     global_buffer
      - .actual_access:  read_only
        .address_space:  global
        .offset:         24
        .size:           8
        .value_kind:     global_buffer
      - .offset:         32
        .size:           4
        .value_kind:     by_value
      - .offset:         36
        .size:           4
        .value_kind:     by_value
      - .offset:         40
        .size:           4
        .value_kind:     by_value
      - .offset:         44
        .size:           4
        .value_kind:     by_value
      - .offset:         48
        .size:           4
        .value_kind:     by_value
      - .offset:         52
        .size:           4
        .value_kind:     by_value
      - .offset:         56
        .size:           4
        .value_kind:     by_value
      - .offset:         60
        .size:           4
        .value_kind:     by_value
      - .offset:         64
        .size:           4
        .value_kind:     by_value
      - .offset:         68
        .size:           4
        .value_kind:     by_value
      - .offset:         72
        .size:           4
        .value_kind:     by_value
      - .offset:         76
        .size:           4
        .value_kind:     by_value
      - .offset:         80
        .size:           4
        .value_kind:     by_value
      - .offset:         84
        .size:           4
        .value_kind:     by_value
      - .offset:         88
        .size:           4
        .value_kind:     by_value
      - .offset:         92
        .size:           4
        .value_kind:     by_value
      - .offset:         96
        .size:           4
        .value_kind:     hidden_block_count_x
      - .offset:         100
        .size:           4
        .value_kind:     hidden_block_count_y
      - .offset:         104
        .size:           4
        .value_kind:     hidden_block_count_z
      - .offset:         108
        .size:           2
        .value_kind:     hidden_group_size_x
      - .offset:         110
        .size:           2
        .value_kind:     hidden_group_size_y
      - .offset:         112
        .size:           2
        .value_kind:     hidden_group_size_z
      - .offset:         114
        .size:           2
        .value_kind:     hidden_remainder_x
      - .offset:         116
        .size:           2
        .value_kind:     hidden_remainder_y
      - .offset:         118
        .size:           2
        .value_kind:     hidden_remainder_z
      - .offset:         136
        .size:           8
        .value_kind:     hidden_global_offset_x
      - .offset:         144
        .size:           8
        .value_kind:     hidden_global_offset_y
      - .offset:         152
        .size:           8
        .value_kind:     hidden_global_offset_z
      - .offset:         160
        .size:           2
        .value_kind:     hidden_grid_dims
      - .offset:         176
        .size:           8
        .value_kind:     hidden_hostcall_buffer
    .group_segment_fixed_size: 0
    .kernarg_segment_align: 8
    .kernarg_segment_size: 352
    .language:       OpenCL C
    .language_version:
      - 2
      - 0
    .max_flat_workgroup_size: 192
    .name:           _ZL9mul_mat_fI15__hip_bfloat162Li64ELi4ELi6ELb1EEvPKT_PKfPKiPfiiiiiiiiiiiiiiii
    .private_segment_fixed_size: 16
    .sgpr_count:     36
    .sgpr_spill_count: 0
    .symbol:         _ZL9mul_mat_fI15__hip_bfloat162Li64ELi4ELi6ELb1EEvPKT_PKfPKiPfiiiiiiiiiiiiiiii.kd
    .uniform_work_group_size: 1
    .uses_dynamic_stack: false
    .vgpr_count:     38
    .vgpr_spill_count: 0
    .wavefront_size: 32
    .workgroup_processor_mode: 1
  - .args:
      - .actual_access:  read_only
        .address_space:  global
        .offset:         0
        .size:           8
        .value_kind:     global_buffer
      - .actual_access:  read_only
        .address_space:  global
        .offset:         8
        .size:           8
        .value_kind:     global_buffer
      - .actual_access:  read_only
        .address_space:  global
        .offset:         16
        .size:           8
        .value_kind:     global_buffer
      - .actual_access:  read_only
        .address_space:  global
        .offset:         24
        .size:           8
        .value_kind:     global_buffer
      - .offset:         32
        .size:           4
        .value_kind:     by_value
      - .offset:         36
        .size:           4
        .value_kind:     by_value
      - .offset:         40
        .size:           4
        .value_kind:     by_value
      - .offset:         44
        .size:           4
        .value_kind:     by_value
      - .offset:         48
        .size:           4
        .value_kind:     by_value
      - .offset:         52
        .size:           4
        .value_kind:     by_value
      - .offset:         56
        .size:           4
        .value_kind:     by_value
      - .offset:         60
        .size:           4
        .value_kind:     by_value
      - .offset:         64
        .size:           4
        .value_kind:     by_value
      - .offset:         68
        .size:           4
        .value_kind:     by_value
      - .offset:         72
        .size:           4
        .value_kind:     by_value
      - .offset:         76
        .size:           4
        .value_kind:     by_value
      - .offset:         80
        .size:           4
        .value_kind:     by_value
      - .offset:         84
        .size:           4
        .value_kind:     by_value
      - .offset:         88
        .size:           4
        .value_kind:     by_value
      - .offset:         92
        .size:           4
        .value_kind:     by_value
      - .offset:         96
        .size:           4
        .value_kind:     hidden_block_count_x
      - .offset:         100
        .size:           4
        .value_kind:     hidden_block_count_y
      - .offset:         104
        .size:           4
        .value_kind:     hidden_block_count_z
      - .offset:         108
        .size:           2
        .value_kind:     hidden_group_size_x
      - .offset:         110
        .size:           2
        .value_kind:     hidden_group_size_y
      - .offset:         112
        .size:           2
        .value_kind:     hidden_group_size_z
      - .offset:         114
        .size:           2
        .value_kind:     hidden_remainder_x
      - .offset:         116
        .size:           2
        .value_kind:     hidden_remainder_y
      - .offset:         118
        .size:           2
        .value_kind:     hidden_remainder_z
      - .offset:         136
        .size:           8
        .value_kind:     hidden_global_offset_x
      - .offset:         144
        .size:           8
        .value_kind:     hidden_global_offset_y
      - .offset:         152
        .size:           8
        .value_kind:     hidden_global_offset_z
      - .offset:         160
        .size:           2
        .value_kind:     hidden_grid_dims
      - .offset:         176
        .size:           8
        .value_kind:     hidden_hostcall_buffer
    .group_segment_fixed_size: 0
    .kernarg_segment_align: 8
    .kernarg_segment_size: 352
    .language:       OpenCL C
    .language_version:
      - 2
      - 0
    .max_flat_workgroup_size: 192
    .name:           _ZL9mul_mat_fI15__hip_bfloat162Li64ELi4ELi6ELb0EEvPKT_PKfPKiPfiiiiiiiiiiiiiiii
    .private_segment_fixed_size: 16
    .sgpr_count:     36
    .sgpr_spill_count: 0
    .symbol:         _ZL9mul_mat_fI15__hip_bfloat162Li64ELi4ELi6ELb0EEvPKT_PKfPKiPfiiiiiiiiiiiiiiii.kd
    .uniform_work_group_size: 1
    .uses_dynamic_stack: false
    .vgpr_count:     38
    .vgpr_spill_count: 0
    .wavefront_size: 32
    .workgroup_processor_mode: 1
  - .args:
      - .actual_access:  read_only
        .address_space:  global
        .offset:         0
        .size:           8
        .value_kind:     global_buffer
      - .actual_access:  read_only
        .address_space:  global
        .offset:         8
        .size:           8
        .value_kind:     global_buffer
      - .actual_access:  read_only
        .address_space:  global
        .offset:         16
        .size:           8
        .value_kind:     global_buffer
      - .actual_access:  read_only
        .address_space:  global
        .offset:         24
        .size:           8
        .value_kind:     global_buffer
      - .actual_access:  read_only
        .address_space:  global
        .offset:         32
        .size:           8
        .value_kind:     global_buffer
      - .actual_access:  read_only
        .address_space:  global
        .offset:         40
        .size:           8
        .value_kind:     global_buffer
      - .offset:         48
        .size:           4
        .value_kind:     by_value
      - .offset:         52
        .size:           4
        .value_kind:     by_value
      - .offset:         56
        .size:           4
        .value_kind:     by_value
      - .offset:         60
        .size:           4
        .value_kind:     by_value
      - .offset:         64
        .size:           4
        .value_kind:     by_value
      - .offset:         68
        .size:           4
        .value_kind:     by_value
      - .offset:         72
        .size:           4
        .value_kind:     by_value
      - .offset:         76
        .size:           4
        .value_kind:     by_value
      - .offset:         80
        .size:           4
        .value_kind:     by_value
      - .offset:         84
        .size:           4
        .value_kind:     by_value
      - .offset:         88
        .size:           4
        .value_kind:     by_value
      - .offset:         92
        .size:           4
        .value_kind:     by_value
      - .offset:         96
        .size:           4
        .value_kind:     by_value
      - .offset:         100
        .size:           4
        .value_kind:     by_value
      - .offset:         104
        .size:           12
        .value_kind:     by_value
      - .offset:         116
        .size:           12
        .value_kind:     by_value
      - .offset:         128
        .size:           4
        .value_kind:     hidden_block_count_x
      - .offset:         132
        .size:           4
        .value_kind:     hidden_block_count_y
      - .offset:         136
        .size:           4
        .value_kind:     hidden_block_count_z
      - .offset:         140
        .size:           2
        .value_kind:     hidden_group_size_x
      - .offset:         142
        .size:           2
        .value_kind:     hidden_group_size_y
      - .offset:         144
        .size:           2
        .value_kind:     hidden_group_size_z
      - .offset:         146
        .size:           2
        .value_kind:     hidden_remainder_x
      - .offset:         148
        .size:           2
        .value_kind:     hidden_remainder_y
      - .offset:         150
        .size:           2
        .value_kind:     hidden_remainder_z
      - .offset:         168
        .size:           8
        .value_kind:     hidden_global_offset_x
      - .offset:         176
        .size:           8
        .value_kind:     hidden_global_offset_y
      - .offset:         184
        .size:           8
        .value_kind:     hidden_global_offset_z
      - .offset:         192
        .size:           2
        .value_kind:     hidden_grid_dims
      - .offset:         208
        .size:           8
        .value_kind:     hidden_hostcall_buffer
    .group_segment_fixed_size: 0
    .kernarg_segment_align: 8
    .kernarg_segment_size: 384
    .language:       OpenCL C
    .language_version:
      - 2
      - 0
    .max_flat_workgroup_size: 224
    .name:           _ZL13mul_mat_f_idsI15__hip_bfloat162Li64ELi4ELi7EEvPKT_PKfPKiS7_S7_Pfiiiiiiiiiiiiii15HIP_vector_typeIjLj3EESA_
    .private_segment_fixed_size: 16
    .sgpr_count:     36
    .sgpr_spill_count: 0
    .symbol:         _ZL13mul_mat_f_idsI15__hip_bfloat162Li64ELi4ELi7EEvPKT_PKfPKiS7_S7_Pfiiiiiiiiiiiiii15HIP_vector_typeIjLj3EESA_.kd
    .uniform_work_group_size: 1
    .uses_dynamic_stack: false
    .vgpr_count:     38
    .vgpr_spill_count: 0
    .wavefront_size: 32
    .workgroup_processor_mode: 1
  - .args:
      - .actual_access:  read_only
        .address_space:  global
        .offset:         0
        .size:           8
        .value_kind:     global_buffer
      - .actual_access:  read_only
        .address_space:  global
        .offset:         8
        .size:           8
        .value_kind:     global_buffer
      - .actual_access:  read_only
        .address_space:  global
        .offset:         16
        .size:           8
        .value_kind:     global_buffer
      - .actual_access:  read_only
        .address_space:  global
        .offset:         24
        .size:           8
        .value_kind:     global_buffer
      - .offset:         32
        .size:           4
        .value_kind:     by_value
      - .offset:         36
        .size:           4
        .value_kind:     by_value
      - .offset:         40
        .size:           4
        .value_kind:     by_value
      - .offset:         44
        .size:           4
        .value_kind:     by_value
      - .offset:         48
        .size:           4
        .value_kind:     by_value
      - .offset:         52
        .size:           4
        .value_kind:     by_value
      - .offset:         56
        .size:           4
        .value_kind:     by_value
      - .offset:         60
        .size:           4
        .value_kind:     by_value
      - .offset:         64
        .size:           4
        .value_kind:     by_value
      - .offset:         68
        .size:           4
        .value_kind:     by_value
      - .offset:         72
        .size:           4
        .value_kind:     by_value
      - .offset:         76
        .size:           4
        .value_kind:     by_value
      - .offset:         80
        .size:           4
        .value_kind:     by_value
      - .offset:         84
        .size:           4
        .value_kind:     by_value
      - .offset:         88
        .size:           4
        .value_kind:     by_value
      - .offset:         92
        .size:           4
        .value_kind:     by_value
      - .offset:         96
        .size:           4
        .value_kind:     hidden_block_count_x
      - .offset:         100
        .size:           4
        .value_kind:     hidden_block_count_y
      - .offset:         104
        .size:           4
        .value_kind:     hidden_block_count_z
      - .offset:         108
        .size:           2
        .value_kind:     hidden_group_size_x
      - .offset:         110
        .size:           2
        .value_kind:     hidden_group_size_y
      - .offset:         112
        .size:           2
        .value_kind:     hidden_group_size_z
      - .offset:         114
        .size:           2
        .value_kind:     hidden_remainder_x
      - .offset:         116
        .size:           2
        .value_kind:     hidden_remainder_y
      - .offset:         118
        .size:           2
        .value_kind:     hidden_remainder_z
      - .offset:         136
        .size:           8
        .value_kind:     hidden_global_offset_x
      - .offset:         144
        .size:           8
        .value_kind:     hidden_global_offset_y
      - .offset:         152
        .size:           8
        .value_kind:     hidden_global_offset_z
      - .offset:         160
        .size:           2
        .value_kind:     hidden_grid_dims
      - .offset:         176
        .size:           8
        .value_kind:     hidden_hostcall_buffer
    .group_segment_fixed_size: 0
    .kernarg_segment_align: 8
    .kernarg_segment_size: 352
    .language:       OpenCL C
    .language_version:
      - 2
      - 0
    .max_flat_workgroup_size: 224
    .name:           _ZL9mul_mat_fI15__hip_bfloat162Li64ELi4ELi7ELb1EEvPKT_PKfPKiPfiiiiiiiiiiiiiiii
    .private_segment_fixed_size: 16
    .sgpr_count:     36
    .sgpr_spill_count: 0
    .symbol:         _ZL9mul_mat_fI15__hip_bfloat162Li64ELi4ELi7ELb1EEvPKT_PKfPKiPfiiiiiiiiiiiiiiii.kd
    .uniform_work_group_size: 1
    .uses_dynamic_stack: false
    .vgpr_count:     38
    .vgpr_spill_count: 0
    .wavefront_size: 32
    .workgroup_processor_mode: 1
  - .args:
      - .actual_access:  read_only
        .address_space:  global
        .offset:         0
        .size:           8
        .value_kind:     global_buffer
      - .actual_access:  read_only
        .address_space:  global
        .offset:         8
        .size:           8
        .value_kind:     global_buffer
      - .actual_access:  read_only
        .address_space:  global
        .offset:         16
        .size:           8
        .value_kind:     global_buffer
      - .actual_access:  read_only
        .address_space:  global
        .offset:         24
        .size:           8
        .value_kind:     global_buffer
      - .offset:         32
        .size:           4
        .value_kind:     by_value
      - .offset:         36
        .size:           4
        .value_kind:     by_value
      - .offset:         40
        .size:           4
        .value_kind:     by_value
      - .offset:         44
        .size:           4
        .value_kind:     by_value
      - .offset:         48
        .size:           4
        .value_kind:     by_value
      - .offset:         52
        .size:           4
        .value_kind:     by_value
      - .offset:         56
        .size:           4
        .value_kind:     by_value
      - .offset:         60
        .size:           4
        .value_kind:     by_value
      - .offset:         64
        .size:           4
        .value_kind:     by_value
      - .offset:         68
        .size:           4
        .value_kind:     by_value
      - .offset:         72
        .size:           4
        .value_kind:     by_value
      - .offset:         76
        .size:           4
        .value_kind:     by_value
      - .offset:         80
        .size:           4
        .value_kind:     by_value
      - .offset:         84
        .size:           4
        .value_kind:     by_value
      - .offset:         88
        .size:           4
        .value_kind:     by_value
      - .offset:         92
        .size:           4
        .value_kind:     by_value
      - .offset:         96
        .size:           4
        .value_kind:     hidden_block_count_x
      - .offset:         100
        .size:           4
        .value_kind:     hidden_block_count_y
      - .offset:         104
        .size:           4
        .value_kind:     hidden_block_count_z
      - .offset:         108
        .size:           2
        .value_kind:     hidden_group_size_x
      - .offset:         110
        .size:           2
        .value_kind:     hidden_group_size_y
      - .offset:         112
        .size:           2
        .value_kind:     hidden_group_size_z
      - .offset:         114
        .size:           2
        .value_kind:     hidden_remainder_x
      - .offset:         116
        .size:           2
        .value_kind:     hidden_remainder_y
      - .offset:         118
        .size:           2
        .value_kind:     hidden_remainder_z
      - .offset:         136
        .size:           8
        .value_kind:     hidden_global_offset_x
      - .offset:         144
        .size:           8
        .value_kind:     hidden_global_offset_y
      - .offset:         152
        .size:           8
        .value_kind:     hidden_global_offset_z
      - .offset:         160
        .size:           2
        .value_kind:     hidden_grid_dims
      - .offset:         176
        .size:           8
        .value_kind:     hidden_hostcall_buffer
    .group_segment_fixed_size: 0
    .kernarg_segment_align: 8
    .kernarg_segment_size: 352
    .language:       OpenCL C
    .language_version:
      - 2
      - 0
    .max_flat_workgroup_size: 224
    .name:           _ZL9mul_mat_fI15__hip_bfloat162Li64ELi4ELi7ELb0EEvPKT_PKfPKiPfiiiiiiiiiiiiiiii
    .private_segment_fixed_size: 16
    .sgpr_count:     36
    .sgpr_spill_count: 0
    .symbol:         _ZL9mul_mat_fI15__hip_bfloat162Li64ELi4ELi7ELb0EEvPKT_PKfPKiPfiiiiiiiiiiiiiiii.kd
    .uniform_work_group_size: 1
    .uses_dynamic_stack: false
    .vgpr_count:     38
    .vgpr_spill_count: 0
    .wavefront_size: 32
    .workgroup_processor_mode: 1
  - .args:
      - .actual_access:  read_only
        .address_space:  global
        .offset:         0
        .size:           8
        .value_kind:     global_buffer
      - .actual_access:  read_only
        .address_space:  global
        .offset:         8
        .size:           8
        .value_kind:     global_buffer
      - .actual_access:  read_only
        .address_space:  global
        .offset:         16
        .size:           8
        .value_kind:     global_buffer
      - .actual_access:  read_only
        .address_space:  global
        .offset:         24
        .size:           8
        .value_kind:     global_buffer
      - .actual_access:  read_only
        .address_space:  global
        .offset:         32
        .size:           8
        .value_kind:     global_buffer
      - .actual_access:  read_only
        .address_space:  global
        .offset:         40
        .size:           8
        .value_kind:     global_buffer
      - .offset:         48
        .size:           4
        .value_kind:     by_value
      - .offset:         52
        .size:           4
        .value_kind:     by_value
      - .offset:         56
        .size:           4
        .value_kind:     by_value
      - .offset:         60
        .size:           4
        .value_kind:     by_value
      - .offset:         64
        .size:           4
        .value_kind:     by_value
      - .offset:         68
        .size:           4
        .value_kind:     by_value
      - .offset:         72
        .size:           4
        .value_kind:     by_value
      - .offset:         76
        .size:           4
        .value_kind:     by_value
      - .offset:         80
        .size:           4
        .value_kind:     by_value
      - .offset:         84
        .size:           4
        .value_kind:     by_value
      - .offset:         88
        .size:           4
        .value_kind:     by_value
      - .offset:         92
        .size:           4
        .value_kind:     by_value
      - .offset:         96
        .size:           4
        .value_kind:     by_value
      - .offset:         100
        .size:           4
        .value_kind:     by_value
      - .offset:         104
        .size:           12
        .value_kind:     by_value
      - .offset:         116
        .size:           12
        .value_kind:     by_value
      - .offset:         128
        .size:           4
        .value_kind:     hidden_block_count_x
      - .offset:         132
        .size:           4
        .value_kind:     hidden_block_count_y
      - .offset:         136
        .size:           4
        .value_kind:     hidden_block_count_z
      - .offset:         140
        .size:           2
        .value_kind:     hidden_group_size_x
      - .offset:         142
        .size:           2
        .value_kind:     hidden_group_size_y
      - .offset:         144
        .size:           2
        .value_kind:     hidden_group_size_z
      - .offset:         146
        .size:           2
        .value_kind:     hidden_remainder_x
      - .offset:         148
        .size:           2
        .value_kind:     hidden_remainder_y
      - .offset:         150
        .size:           2
        .value_kind:     hidden_remainder_z
      - .offset:         168
        .size:           8
        .value_kind:     hidden_global_offset_x
      - .offset:         176
        .size:           8
        .value_kind:     hidden_global_offset_y
      - .offset:         184
        .size:           8
        .value_kind:     hidden_global_offset_z
      - .offset:         192
        .size:           2
        .value_kind:     hidden_grid_dims
      - .offset:         208
        .size:           8
        .value_kind:     hidden_hostcall_buffer
    .group_segment_fixed_size: 0
    .kernarg_segment_align: 8
    .kernarg_segment_size: 384
    .language:       OpenCL C
    .language_version:
      - 2
      - 0
    .max_flat_workgroup_size: 256
    .name:           _ZL13mul_mat_f_idsI15__hip_bfloat162Li64ELi4ELi8EEvPKT_PKfPKiS7_S7_Pfiiiiiiiiiiiiii15HIP_vector_typeIjLj3EESA_
    .private_segment_fixed_size: 16
    .sgpr_count:     36
    .sgpr_spill_count: 0
    .symbol:         _ZL13mul_mat_f_idsI15__hip_bfloat162Li64ELi4ELi8EEvPKT_PKfPKiS7_S7_Pfiiiiiiiiiiiiii15HIP_vector_typeIjLj3EESA_.kd
    .uniform_work_group_size: 1
    .uses_dynamic_stack: false
    .vgpr_count:     38
    .vgpr_spill_count: 0
    .wavefront_size: 32
    .workgroup_processor_mode: 1
  - .args:
      - .actual_access:  read_only
        .address_space:  global
        .offset:         0
        .size:           8
        .value_kind:     global_buffer
      - .actual_access:  read_only
        .address_space:  global
        .offset:         8
        .size:           8
        .value_kind:     global_buffer
      - .actual_access:  read_only
        .address_space:  global
        .offset:         16
        .size:           8
        .value_kind:     global_buffer
      - .actual_access:  read_only
        .address_space:  global
        .offset:         24
        .size:           8
        .value_kind:     global_buffer
      - .offset:         32
        .size:           4
        .value_kind:     by_value
      - .offset:         36
        .size:           4
        .value_kind:     by_value
      - .offset:         40
        .size:           4
        .value_kind:     by_value
      - .offset:         44
        .size:           4
        .value_kind:     by_value
      - .offset:         48
        .size:           4
        .value_kind:     by_value
      - .offset:         52
        .size:           4
        .value_kind:     by_value
      - .offset:         56
        .size:           4
        .value_kind:     by_value
      - .offset:         60
        .size:           4
        .value_kind:     by_value
      - .offset:         64
        .size:           4
        .value_kind:     by_value
      - .offset:         68
        .size:           4
        .value_kind:     by_value
      - .offset:         72
        .size:           4
        .value_kind:     by_value
      - .offset:         76
        .size:           4
        .value_kind:     by_value
      - .offset:         80
        .size:           4
        .value_kind:     by_value
      - .offset:         84
        .size:           4
        .value_kind:     by_value
      - .offset:         88
        .size:           4
        .value_kind:     by_value
      - .offset:         92
        .size:           4
        .value_kind:     by_value
      - .offset:         96
        .size:           4
        .value_kind:     hidden_block_count_x
      - .offset:         100
        .size:           4
        .value_kind:     hidden_block_count_y
      - .offset:         104
        .size:           4
        .value_kind:     hidden_block_count_z
      - .offset:         108
        .size:           2
        .value_kind:     hidden_group_size_x
      - .offset:         110
        .size:           2
        .value_kind:     hidden_group_size_y
      - .offset:         112
        .size:           2
        .value_kind:     hidden_group_size_z
      - .offset:         114
        .size:           2
        .value_kind:     hidden_remainder_x
      - .offset:         116
        .size:           2
        .value_kind:     hidden_remainder_y
      - .offset:         118
        .size:           2
        .value_kind:     hidden_remainder_z
      - .offset:         136
        .size:           8
        .value_kind:     hidden_global_offset_x
      - .offset:         144
        .size:           8
        .value_kind:     hidden_global_offset_y
      - .offset:         152
        .size:           8
        .value_kind:     hidden_global_offset_z
      - .offset:         160
        .size:           2
        .value_kind:     hidden_grid_dims
      - .offset:         176
        .size:           8
        .value_kind:     hidden_hostcall_buffer
    .group_segment_fixed_size: 0
    .kernarg_segment_align: 8
    .kernarg_segment_size: 352
    .language:       OpenCL C
    .language_version:
      - 2
      - 0
    .max_flat_workgroup_size: 256
    .name:           _ZL9mul_mat_fI15__hip_bfloat162Li64ELi4ELi8ELb1EEvPKT_PKfPKiPfiiiiiiiiiiiiiiii
    .private_segment_fixed_size: 16
    .sgpr_count:     36
    .sgpr_spill_count: 0
    .symbol:         _ZL9mul_mat_fI15__hip_bfloat162Li64ELi4ELi8ELb1EEvPKT_PKfPKiPfiiiiiiiiiiiiiiii.kd
    .uniform_work_group_size: 1
    .uses_dynamic_stack: false
    .vgpr_count:     38
    .vgpr_spill_count: 0
    .wavefront_size: 32
    .workgroup_processor_mode: 1
  - .args:
      - .actual_access:  read_only
        .address_space:  global
        .offset:         0
        .size:           8
        .value_kind:     global_buffer
      - .actual_access:  read_only
        .address_space:  global
        .offset:         8
        .size:           8
        .value_kind:     global_buffer
      - .actual_access:  read_only
        .address_space:  global
        .offset:         16
        .size:           8
        .value_kind:     global_buffer
      - .actual_access:  read_only
        .address_space:  global
        .offset:         24
        .size:           8
        .value_kind:     global_buffer
      - .offset:         32
        .size:           4
        .value_kind:     by_value
      - .offset:         36
        .size:           4
        .value_kind:     by_value
      - .offset:         40
        .size:           4
        .value_kind:     by_value
      - .offset:         44
        .size:           4
        .value_kind:     by_value
      - .offset:         48
        .size:           4
        .value_kind:     by_value
      - .offset:         52
        .size:           4
        .value_kind:     by_value
      - .offset:         56
        .size:           4
        .value_kind:     by_value
      - .offset:         60
        .size:           4
        .value_kind:     by_value
      - .offset:         64
        .size:           4
        .value_kind:     by_value
      - .offset:         68
        .size:           4
        .value_kind:     by_value
      - .offset:         72
        .size:           4
        .value_kind:     by_value
      - .offset:         76
        .size:           4
        .value_kind:     by_value
      - .offset:         80
        .size:           4
        .value_kind:     by_value
      - .offset:         84
        .size:           4
        .value_kind:     by_value
      - .offset:         88
        .size:           4
        .value_kind:     by_value
      - .offset:         92
        .size:           4
        .value_kind:     by_value
      - .offset:         96
        .size:           4
        .value_kind:     hidden_block_count_x
      - .offset:         100
        .size:           4
        .value_kind:     hidden_block_count_y
      - .offset:         104
        .size:           4
        .value_kind:     hidden_block_count_z
      - .offset:         108
        .size:           2
        .value_kind:     hidden_group_size_x
      - .offset:         110
        .size:           2
        .value_kind:     hidden_group_size_y
      - .offset:         112
        .size:           2
        .value_kind:     hidden_group_size_z
      - .offset:         114
        .size:           2
        .value_kind:     hidden_remainder_x
      - .offset:         116
        .size:           2
        .value_kind:     hidden_remainder_y
      - .offset:         118
        .size:           2
        .value_kind:     hidden_remainder_z
      - .offset:         136
        .size:           8
        .value_kind:     hidden_global_offset_x
      - .offset:         144
        .size:           8
        .value_kind:     hidden_global_offset_y
      - .offset:         152
        .size:           8
        .value_kind:     hidden_global_offset_z
      - .offset:         160
        .size:           2
        .value_kind:     hidden_grid_dims
      - .offset:         176
        .size:           8
        .value_kind:     hidden_hostcall_buffer
    .group_segment_fixed_size: 0
    .kernarg_segment_align: 8
    .kernarg_segment_size: 352
    .language:       OpenCL C
    .language_version:
      - 2
      - 0
    .max_flat_workgroup_size: 256
    .name:           _ZL9mul_mat_fI15__hip_bfloat162Li64ELi4ELi8ELb0EEvPKT_PKfPKiPfiiiiiiiiiiiiiiii
    .private_segment_fixed_size: 16
    .sgpr_count:     36
    .sgpr_spill_count: 0
    .symbol:         _ZL9mul_mat_fI15__hip_bfloat162Li64ELi4ELi8ELb0EEvPKT_PKfPKiPfiiiiiiiiiiiiiiii.kd
    .uniform_work_group_size: 1
    .uses_dynamic_stack: false
    .vgpr_count:     38
    .vgpr_spill_count: 0
    .wavefront_size: 32
    .workgroup_processor_mode: 1
amdhsa.target:   amdgcn-amd-amdhsa--gfx1201
amdhsa.version:
  - 1
  - 2
...

	.end_amdgpu_metadata
